;; amdgpu-corpus repo=ROCm/rocSPARSE kind=compiled arch=gfx942 opt=O3
	.text
	.amdgcn_target "amdgcn-amd-amdhsa--gfx942"
	.amdhsa_code_object_version 6
	.section	.text._ZN9rocsparseL24csr2gebsr_nnz_kernel_bm1ILj256EEEvi21rocsparse_index_base_PKiS3_S1_Pii,"axG",@progbits,_ZN9rocsparseL24csr2gebsr_nnz_kernel_bm1ILj256EEEvi21rocsparse_index_base_PKiS3_S1_Pii,comdat
	.globl	_ZN9rocsparseL24csr2gebsr_nnz_kernel_bm1ILj256EEEvi21rocsparse_index_base_PKiS3_S1_Pii ; -- Begin function _ZN9rocsparseL24csr2gebsr_nnz_kernel_bm1ILj256EEEvi21rocsparse_index_base_PKiS3_S1_Pii
	.p2align	8
	.type	_ZN9rocsparseL24csr2gebsr_nnz_kernel_bm1ILj256EEEvi21rocsparse_index_base_PKiS3_S1_Pii,@function
_ZN9rocsparseL24csr2gebsr_nnz_kernel_bm1ILj256EEEvi21rocsparse_index_base_PKiS3_S1_Pii: ; @_ZN9rocsparseL24csr2gebsr_nnz_kernel_bm1ILj256EEEvi21rocsparse_index_base_PKiS3_S1_Pii
; %bb.0:
	s_load_dwordx2 s[6:7], s[0:1], 0x0
	v_lshl_or_b32 v0, s2, 8, v0
	s_waitcnt lgkmcnt(0)
	v_cmp_gt_i32_e32 vcc, s6, v0
	s_and_saveexec_b64 s[2:3], vcc
	s_cbranch_execz .LBB0_14
; %bb.1:
	s_load_dwordx2 s[2:3], s[0:1], 0x8
	s_load_dwordx2 s[4:5], s[0:1], 0x20
	v_ashrrev_i32_e32 v1, 31, v0
	v_mov_b32_e32 v10, 0
	v_mov_b32_e32 v7, 0
	s_waitcnt lgkmcnt(0)
	v_lshl_add_u64 v[2:3], v[0:1], 2, s[2:3]
	global_load_dwordx2 v[4:5], v[2:3], off
	s_waitcnt vmcnt(0)
	v_cmp_lt_i32_e32 vcc, v4, v5
	s_and_saveexec_b64 s[8:9], vcc
	s_cbranch_execz .LBB0_13
; %bb.2:
	v_subrev_u32_e32 v2, s7, v4
	v_subrev_u32_e32 v11, s7, v5
	s_load_dwordx2 s[10:11], s[0:1], 0x10
	s_load_dword s6, s[0:1], 0x28
	v_add_u32_e32 v3, 1, v2
	v_max_i32_e32 v3, v3, v11
	v_add_u32_e32 v3, s7, v3
	v_sub_u32_e32 v3, v3, v4
	v_cmp_lt_u32_e32 vcc, 1, v3
	s_mov_b64 s[2:3], 0
                                        ; implicit-def: $vgpr12
                                        ; implicit-def: $vgpr7
                                        ; implicit-def: $sgpr17
                                        ; implicit-def: $sgpr16
                                        ; implicit-def: $vgpr4_vgpr5
	s_and_saveexec_b64 s[12:13], vcc
	s_xor_b64 s[12:13], exec, s[12:13]
	s_cbranch_execz .LBB0_6
; %bb.3:
	s_waitcnt lgkmcnt(0)
	s_abs_i32 s16, s6
	v_cvt_f32_u32_e32 v4, s16
	s_sub_i32 s2, 0, s16
	v_and_b32_e32 v8, -2, v3
	v_mov_b32_e32 v5, 0
	v_rcp_iflag_f32_e32 v4, v4
	s_mov_b32 s18, s7
	s_ashr_i32 s17, s6, 31
	s_mov_b64 s[14:15], 0
	v_mul_f32_e32 v4, 0x4f7ffffe, v4
	v_cvt_u32_f32_e32 v4, v4
	v_mov_b32_e32 v14, -1
	v_mov_b32_e32 v6, v2
	v_mov_b32_e32 v9, v8
	v_mul_lo_u32 v7, s2, v4
	v_mul_hi_u32 v7, v4, v7
	v_add_u32_e32 v4, v4, v7
	v_mov_b32_e32 v13, v5
	v_mov_b32_e32 v15, v5
.LBB0_4:                                ; =>This Inner Loop Header: Depth=1
	v_ashrrev_i32_e32 v7, 31, v6
	v_lshl_add_u64 v[16:17], v[6:7], 2, s[10:11]
	global_load_dwordx2 v[16:17], v[16:17], off
	v_add_u32_e32 v9, -2, v9
	v_cmp_eq_u32_e32 vcc, 0, v9
	s_or_b64 s[14:15], vcc, s[14:15]
	v_add_u32_e32 v6, 2, v6
	s_waitcnt vmcnt(0)
	v_subrev_u32_e32 v12, s18, v16
	v_subrev_u32_e32 v7, s7, v17
	v_sub_u32_e32 v17, 0, v12
	v_ashrrev_i32_e32 v16, 31, v12
	v_ashrrev_i32_e32 v18, 31, v7
	v_sub_u32_e32 v19, 0, v7
	v_max_i32_e32 v12, v12, v17
	v_xor_b32_e32 v17, s17, v18
	v_max_i32_e32 v7, v7, v19
	v_mul_hi_u32 v18, v12, v4
	v_mul_hi_u32 v19, v7, v4
	v_mul_lo_u32 v20, v18, s16
	v_mul_lo_u32 v22, v19, s16
	v_sub_u32_e32 v12, v12, v20
	v_add_u32_e32 v21, 1, v18
	v_sub_u32_e32 v7, v7, v22
	v_cmp_le_u32_e32 vcc, s16, v12
	v_subrev_u32_e32 v20, s16, v12
	v_add_u32_e32 v23, 1, v19
	v_cndmask_b32_e32 v18, v18, v21, vcc
	v_cmp_le_u32_e64 s[2:3], s16, v7
	v_subrev_u32_e32 v21, s16, v7
	v_cndmask_b32_e32 v12, v12, v20, vcc
	v_cndmask_b32_e64 v19, v19, v23, s[2:3]
	v_add_u32_e32 v20, 1, v18
	v_cndmask_b32_e64 v7, v7, v21, s[2:3]
	v_cmp_le_u32_e32 vcc, s16, v12
	v_add_u32_e32 v21, 1, v19
	v_xor_b32_e32 v16, s17, v16
	v_cndmask_b32_e32 v12, v18, v20, vcc
	v_cmp_le_u32_e32 vcc, s16, v7
	v_xor_b32_e32 v12, v12, v16
	v_sub_u32_e32 v16, v12, v16
	v_cndmask_b32_e32 v7, v19, v21, vcc
	v_xor_b32_e32 v7, v7, v17
	v_sub_u32_e32 v12, v7, v17
	v_cmp_ne_u32_e32 vcc, v12, v16
	s_nop 1
	v_addc_co_u32_e32 v15, vcc, 0, v15, vcc
	v_cmp_ne_u32_e32 vcc, v16, v14
	v_mov_b32_e32 v14, v12
	s_nop 0
	v_addc_co_u32_e32 v13, vcc, 0, v13, vcc
	s_andn2_b64 exec, exec, s[14:15]
	s_cbranch_execnz .LBB0_4
; %bb.5:
	s_or_b64 exec, exec, s[14:15]
	v_cmp_ne_u32_e32 vcc, v3, v8
	v_add_u32_e32 v2, v2, v8
	v_add_u32_e32 v7, v13, v15
	s_and_b64 s[2:3], vcc, exec
.LBB0_6:
	s_or_saveexec_b64 s[12:13], s[12:13]
	v_mov_b32_e32 v13, s17
	v_mov_b32_e32 v14, s16
	s_xor_b64 exec, exec, s[12:13]
	s_cbranch_execz .LBB0_8
; %bb.7:
	s_waitcnt lgkmcnt(0)
	s_abs_i32 s14, s6
	v_cvt_f32_u32_e32 v3, s14
	s_sub_i32 s15, 0, s14
	s_ashr_i32 s6, s6, 31
	v_mov_b32_e32 v7, 0
	v_rcp_iflag_f32_e32 v3, v3
	v_mov_b32_e32 v12, -1
	v_mov_b32_e32 v13, s6
	v_mov_b32_e32 v14, s14
	v_mul_f32_e32 v3, 0x4f7ffffe, v3
	v_cvt_u32_f32_e32 v3, v3
	s_or_b64 s[2:3], s[2:3], exec
	v_mul_lo_u32 v4, s15, v3
	v_mul_hi_u32 v4, v3, v4
	v_add_u32_e32 v6, v3, v4
	v_mov_b64_e32 v[4:5], v[6:7]
.LBB0_8:
	s_or_b64 exec, exec, s[12:13]
	s_and_saveexec_b64 s[12:13], s[2:3]
	s_cbranch_execz .LBB0_12
; %bb.9:
	v_ashrrev_i32_e32 v3, 31, v2
	s_waitcnt lgkmcnt(0)
	v_lshl_add_u64 v[8:9], v[2:3], 2, s[10:11]
	s_mov_b64 s[2:3], 0
.LBB0_10:                               ; =>This Inner Loop Header: Depth=1
	global_load_dword v3, v[8:9], off
	v_add_u32_e32 v2, 1, v2
	v_cmp_ge_i32_e32 vcc, v2, v11
	s_or_b64 s[2:3], vcc, s[2:3]
	v_lshl_add_u64 v[8:9], v[8:9], 0, 4
	s_waitcnt vmcnt(0)
	v_subrev_u32_e32 v3, s7, v3
	v_sub_u32_e32 v15, 0, v3
	v_ashrrev_i32_e32 v6, 31, v3
	v_max_i32_e32 v3, v3, v15
	v_xor_b32_e32 v18, v6, v13
	v_mul_hi_u32 v6, v3, v4
	v_mad_u64_u32 v[16:17], s[10:11], v3, v5, v[6:7]
	v_mul_lo_u32 v6, v16, v14
	v_sub_u32_e32 v3, v3, v6
	v_add_u32_e32 v15, 1, v16
	v_cmp_ge_u32_e32 vcc, v3, v14
	s_nop 1
	v_cndmask_b32_e32 v6, v16, v15, vcc
	v_sub_u32_e32 v15, v3, v14
	v_cndmask_b32_e32 v3, v3, v15, vcc
	v_add_u32_e32 v15, 1, v6
	v_cmp_ge_u32_e32 vcc, v3, v14
	s_nop 1
	v_cndmask_b32_e32 v3, v6, v15, vcc
	v_xor_b32_e32 v3, v3, v18
	v_sub_u32_e32 v3, v3, v18
	v_cmp_ne_u32_e32 vcc, v3, v12
	v_mov_b32_e32 v12, v3
	s_nop 0
	v_addc_co_u32_e32 v7, vcc, 0, v7, vcc
	s_andn2_b64 exec, exec, s[2:3]
	s_cbranch_execnz .LBB0_10
; %bb.11:
	s_or_b64 exec, exec, s[2:3]
.LBB0_12:
	s_or_b64 exec, exec, s[12:13]
.LBB0_13:
	s_or_b64 exec, exec, s[8:9]
	s_load_dword s0, s[0:1], 0x18
	v_lshl_add_u64 v[0:1], v[0:1], 2, s[4:5]
	s_waitcnt lgkmcnt(0)
	v_mov_b32_e32 v2, s0
	global_store_dword v10, v2, s[4:5]
	global_store_dword v[0:1], v7, off offset:4
.LBB0_14:
	s_endpgm
	.section	.rodata,"a",@progbits
	.p2align	6, 0x0
	.amdhsa_kernel _ZN9rocsparseL24csr2gebsr_nnz_kernel_bm1ILj256EEEvi21rocsparse_index_base_PKiS3_S1_Pii
		.amdhsa_group_segment_fixed_size 0
		.amdhsa_private_segment_fixed_size 0
		.amdhsa_kernarg_size 44
		.amdhsa_user_sgpr_count 2
		.amdhsa_user_sgpr_dispatch_ptr 0
		.amdhsa_user_sgpr_queue_ptr 0
		.amdhsa_user_sgpr_kernarg_segment_ptr 1
		.amdhsa_user_sgpr_dispatch_id 0
		.amdhsa_user_sgpr_kernarg_preload_length 0
		.amdhsa_user_sgpr_kernarg_preload_offset 0
		.amdhsa_user_sgpr_private_segment_size 0
		.amdhsa_uses_dynamic_stack 0
		.amdhsa_enable_private_segment 0
		.amdhsa_system_sgpr_workgroup_id_x 1
		.amdhsa_system_sgpr_workgroup_id_y 0
		.amdhsa_system_sgpr_workgroup_id_z 0
		.amdhsa_system_sgpr_workgroup_info 0
		.amdhsa_system_vgpr_workitem_id 0
		.amdhsa_next_free_vgpr 24
		.amdhsa_next_free_sgpr 19
		.amdhsa_accum_offset 24
		.amdhsa_reserve_vcc 1
		.amdhsa_float_round_mode_32 0
		.amdhsa_float_round_mode_16_64 0
		.amdhsa_float_denorm_mode_32 3
		.amdhsa_float_denorm_mode_16_64 3
		.amdhsa_dx10_clamp 1
		.amdhsa_ieee_mode 1
		.amdhsa_fp16_overflow 0
		.amdhsa_tg_split 0
		.amdhsa_exception_fp_ieee_invalid_op 0
		.amdhsa_exception_fp_denorm_src 0
		.amdhsa_exception_fp_ieee_div_zero 0
		.amdhsa_exception_fp_ieee_overflow 0
		.amdhsa_exception_fp_ieee_underflow 0
		.amdhsa_exception_fp_ieee_inexact 0
		.amdhsa_exception_int_div_zero 0
	.end_amdhsa_kernel
	.section	.text._ZN9rocsparseL24csr2gebsr_nnz_kernel_bm1ILj256EEEvi21rocsparse_index_base_PKiS3_S1_Pii,"axG",@progbits,_ZN9rocsparseL24csr2gebsr_nnz_kernel_bm1ILj256EEEvi21rocsparse_index_base_PKiS3_S1_Pii,comdat
.Lfunc_end0:
	.size	_ZN9rocsparseL24csr2gebsr_nnz_kernel_bm1ILj256EEEvi21rocsparse_index_base_PKiS3_S1_Pii, .Lfunc_end0-_ZN9rocsparseL24csr2gebsr_nnz_kernel_bm1ILj256EEEvi21rocsparse_index_base_PKiS3_S1_Pii
                                        ; -- End function
	.section	.AMDGPU.csdata,"",@progbits
; Kernel info:
; codeLenInByte = 856
; NumSgprs: 25
; NumVgprs: 24
; NumAgprs: 0
; TotalNumVgprs: 24
; ScratchSize: 0
; MemoryBound: 0
; FloatMode: 240
; IeeeMode: 1
; LDSByteSize: 0 bytes/workgroup (compile time only)
; SGPRBlocks: 3
; VGPRBlocks: 2
; NumSGPRsForWavesPerEU: 25
; NumVGPRsForWavesPerEU: 24
; AccumOffset: 24
; Occupancy: 8
; WaveLimiterHint : 0
; COMPUTE_PGM_RSRC2:SCRATCH_EN: 0
; COMPUTE_PGM_RSRC2:USER_SGPR: 2
; COMPUTE_PGM_RSRC2:TRAP_HANDLER: 0
; COMPUTE_PGM_RSRC2:TGID_X_EN: 1
; COMPUTE_PGM_RSRC2:TGID_Y_EN: 0
; COMPUTE_PGM_RSRC2:TGID_Z_EN: 0
; COMPUTE_PGM_RSRC2:TIDIG_COMP_CNT: 0
; COMPUTE_PGM_RSRC3_GFX90A:ACCUM_OFFSET: 5
; COMPUTE_PGM_RSRC3_GFX90A:TG_SPLIT: 0
	.section	.text._ZN9rocsparseL38csr2gebsr_nnz_compute_nnz_total_kernelILj1EEEviPKiPi,"axG",@progbits,_ZN9rocsparseL38csr2gebsr_nnz_compute_nnz_total_kernelILj1EEEviPKiPi,comdat
	.globl	_ZN9rocsparseL38csr2gebsr_nnz_compute_nnz_total_kernelILj1EEEviPKiPi ; -- Begin function _ZN9rocsparseL38csr2gebsr_nnz_compute_nnz_total_kernelILj1EEEviPKiPi
	.p2align	8
	.type	_ZN9rocsparseL38csr2gebsr_nnz_compute_nnz_total_kernelILj1EEEviPKiPi,@function
_ZN9rocsparseL38csr2gebsr_nnz_compute_nnz_total_kernelILj1EEEviPKiPi: ; @_ZN9rocsparseL38csr2gebsr_nnz_compute_nnz_total_kernelILj1EEEviPKiPi
; %bb.0:
	s_sub_i32 s2, 0, s2
	s_cmp_lg_u32 s2, 0
	s_cbranch_scc1 .LBB1_2
; %bb.1:
	s_load_dword s2, s[0:1], 0x0
	s_load_dwordx4 s[4:7], s[0:1], 0x8
	v_mov_b32_e32 v0, 0
	s_waitcnt lgkmcnt(0)
	s_ashr_i32 s3, s2, 31
	s_lshl_b64 s[0:1], s[2:3], 2
	s_add_u32 s0, s4, s0
	s_addc_u32 s1, s5, s1
	s_load_dword s2, s[0:1], 0x0
	s_load_dword s3, s[4:5], 0x0
	s_waitcnt lgkmcnt(0)
	s_sub_i32 s0, s2, s3
	v_mov_b32_e32 v1, s0
	global_store_dword v0, v1, s[6:7]
.LBB1_2:
	s_endpgm
	.section	.rodata,"a",@progbits
	.p2align	6, 0x0
	.amdhsa_kernel _ZN9rocsparseL38csr2gebsr_nnz_compute_nnz_total_kernelILj1EEEviPKiPi
		.amdhsa_group_segment_fixed_size 0
		.amdhsa_private_segment_fixed_size 0
		.amdhsa_kernarg_size 24
		.amdhsa_user_sgpr_count 2
		.amdhsa_user_sgpr_dispatch_ptr 0
		.amdhsa_user_sgpr_queue_ptr 0
		.amdhsa_user_sgpr_kernarg_segment_ptr 1
		.amdhsa_user_sgpr_dispatch_id 0
		.amdhsa_user_sgpr_kernarg_preload_length 0
		.amdhsa_user_sgpr_kernarg_preload_offset 0
		.amdhsa_user_sgpr_private_segment_size 0
		.amdhsa_uses_dynamic_stack 0
		.amdhsa_enable_private_segment 0
		.amdhsa_system_sgpr_workgroup_id_x 1
		.amdhsa_system_sgpr_workgroup_id_y 0
		.amdhsa_system_sgpr_workgroup_id_z 0
		.amdhsa_system_sgpr_workgroup_info 0
		.amdhsa_system_vgpr_workitem_id 0
		.amdhsa_next_free_vgpr 2
		.amdhsa_next_free_sgpr 8
		.amdhsa_accum_offset 4
		.amdhsa_reserve_vcc 0
		.amdhsa_float_round_mode_32 0
		.amdhsa_float_round_mode_16_64 0
		.amdhsa_float_denorm_mode_32 3
		.amdhsa_float_denorm_mode_16_64 3
		.amdhsa_dx10_clamp 1
		.amdhsa_ieee_mode 1
		.amdhsa_fp16_overflow 0
		.amdhsa_tg_split 0
		.amdhsa_exception_fp_ieee_invalid_op 0
		.amdhsa_exception_fp_denorm_src 0
		.amdhsa_exception_fp_ieee_div_zero 0
		.amdhsa_exception_fp_ieee_overflow 0
		.amdhsa_exception_fp_ieee_underflow 0
		.amdhsa_exception_fp_ieee_inexact 0
		.amdhsa_exception_int_div_zero 0
	.end_amdhsa_kernel
	.section	.text._ZN9rocsparseL38csr2gebsr_nnz_compute_nnz_total_kernelILj1EEEviPKiPi,"axG",@progbits,_ZN9rocsparseL38csr2gebsr_nnz_compute_nnz_total_kernelILj1EEEviPKiPi,comdat
.Lfunc_end1:
	.size	_ZN9rocsparseL38csr2gebsr_nnz_compute_nnz_total_kernelILj1EEEviPKiPi, .Lfunc_end1-_ZN9rocsparseL38csr2gebsr_nnz_compute_nnz_total_kernelILj1EEEviPKiPi
                                        ; -- End function
	.section	.AMDGPU.csdata,"",@progbits
; Kernel info:
; codeLenInByte = 92
; NumSgprs: 14
; NumVgprs: 2
; NumAgprs: 0
; TotalNumVgprs: 2
; ScratchSize: 0
; MemoryBound: 0
; FloatMode: 240
; IeeeMode: 1
; LDSByteSize: 0 bytes/workgroup (compile time only)
; SGPRBlocks: 1
; VGPRBlocks: 0
; NumSGPRsForWavesPerEU: 14
; NumVGPRsForWavesPerEU: 2
; AccumOffset: 4
; Occupancy: 8
; WaveLimiterHint : 0
; COMPUTE_PGM_RSRC2:SCRATCH_EN: 0
; COMPUTE_PGM_RSRC2:USER_SGPR: 2
; COMPUTE_PGM_RSRC2:TRAP_HANDLER: 0
; COMPUTE_PGM_RSRC2:TGID_X_EN: 1
; COMPUTE_PGM_RSRC2:TGID_Y_EN: 0
; COMPUTE_PGM_RSRC2:TGID_Z_EN: 0
; COMPUTE_PGM_RSRC2:TIDIG_COMP_CNT: 0
; COMPUTE_PGM_RSRC3_GFX90A:ACCUM_OFFSET: 0
; COMPUTE_PGM_RSRC3_GFX90A:TG_SPLIT: 0
	.section	.text._ZN9rocsparseL48csr2gebsr_nnz_wavefront_per_row_multipass_kernelILj256ELj2ELi4EEEviiiiii21rocsparse_index_base_PKiS3_S1_Pi,"axG",@progbits,_ZN9rocsparseL48csr2gebsr_nnz_wavefront_per_row_multipass_kernelILj256ELj2ELi4EEEviiiiii21rocsparse_index_base_PKiS3_S1_Pi,comdat
	.globl	_ZN9rocsparseL48csr2gebsr_nnz_wavefront_per_row_multipass_kernelILj256ELj2ELi4EEEviiiiii21rocsparse_index_base_PKiS3_S1_Pi ; -- Begin function _ZN9rocsparseL48csr2gebsr_nnz_wavefront_per_row_multipass_kernelILj256ELj2ELi4EEEviiiiii21rocsparse_index_base_PKiS3_S1_Pi
	.p2align	8
	.type	_ZN9rocsparseL48csr2gebsr_nnz_wavefront_per_row_multipass_kernelILj256ELj2ELi4EEEviiiiii21rocsparse_index_base_PKiS3_S1_Pi,@function
_ZN9rocsparseL48csr2gebsr_nnz_wavefront_per_row_multipass_kernelILj256ELj2ELi4EEEviiiiii21rocsparse_index_base_PKiS3_S1_Pi: ; @_ZN9rocsparseL48csr2gebsr_nnz_wavefront_per_row_multipass_kernelILj256ELj2ELi4EEEviiiiii21rocsparse_index_base_PKiS3_S1_Pi
; %bb.0:
	s_load_dword s6, s[0:1], 0x0
	s_load_dwordx4 s[8:11], s[0:1], 0x8
	s_load_dword s16, s[0:1], 0x18
	s_load_dwordx2 s[4:5], s[0:1], 0x20
	v_lshrrev_b32_e32 v3, 2, v0
	v_bfe_u32 v8, v0, 1, 1
	v_lshl_or_b32 v2, s2, 6, v3
	s_waitcnt lgkmcnt(0)
	v_mad_u64_u32 v[4:5], s[2:3], v2, s10, v[8:9]
	v_cmp_gt_i32_e32 vcc, s6, v4
	v_cmp_gt_i32_e64 s[2:3], s10, v8
	v_and_b32_e32 v6, 0xfc, v0
	v_mov_b32_e32 v7, 0
	s_and_b64 s[2:3], s[2:3], vcc
	v_mov_b32_e32 v1, 0
	ds_write_b32 v6, v7
	s_waitcnt lgkmcnt(0)
	s_barrier
	s_and_saveexec_b64 s[6:7], s[2:3]
	s_cbranch_execz .LBB2_2
; %bb.1:
	v_ashrrev_i32_e32 v5, 31, v4
	v_lshl_add_u64 v[8:9], v[4:5], 2, s[4:5]
	global_load_dword v1, v[8:9], off
	s_waitcnt vmcnt(0)
	v_subrev_u32_e32 v1, s16, v1
.LBB2_2:
	s_or_b64 exec, exec, s[6:7]
	s_and_saveexec_b64 s[6:7], s[2:3]
	s_cbranch_execz .LBB2_4
; %bb.3:
	v_ashrrev_i32_e32 v5, 31, v4
	v_lshl_add_u64 v[4:5], v[4:5], 2, s[4:5]
	global_load_dword v4, v[4:5], off offset:4
	s_waitcnt vmcnt(0)
	v_subrev_u32_e32 v7, s16, v4
.LBB2_4:
	s_or_b64 exec, exec, s[6:7]
	v_and_b32_e32 v4, 3, v0
	s_cmp_lt_i32 s9, 1
	v_cmp_eq_u32_e32 vcc, 0, v4
	s_cbranch_scc1 .LBB2_18
; %bb.5:
	s_abs_i32 s17, s11
	v_cvt_f32_u32_e32 v9, s17
	v_and_b32_e32 v5, 1, v0
	v_mbcnt_lo_u32_b32 v0, -1, 0
	s_load_dwordx2 s[6:7], s[0:1], 0x28
	v_rcp_iflag_f32_e32 v10, v9
	v_mbcnt_hi_u32_b32 v0, -1, v0
	v_lshlrev_b32_e32 v0, 2, v0
	s_sub_i32 s2, 0, s17
	v_mul_f32_e32 v10, 0x4f7ffffe, v10
	v_cvt_u32_f32_e32 v11, v10
	v_or_b32_e32 v9, 4, v0
	v_or_b32_e32 v10, 12, v0
	v_mov_b32_e32 v8, 0
	v_mul_lo_u32 v0, s2, v11
	v_mul_hi_u32 v0, v11, v0
	s_ashr_i32 s18, s11, 31
	v_add_u32_e32 v11, v11, v0
	s_mov_b64 s[10:11], 0
	v_mov_b32_e32 v12, 1
	v_mov_b32_e32 v14, 0
	s_branch .LBB2_7
.LBB2_6:                                ;   in Loop: Header=BB2_7 Depth=1
	s_or_b64 exec, exec, s[2:3]
	v_mov_b32_dpp v0, v13 row_shr:1 row_mask:0xf bank_mask:0xf
	v_min_i32_e32 v0, v0, v13
	s_waitcnt lgkmcnt(0)
	s_nop 0
	v_mov_b32_dpp v13, v0 row_shr:2 row_mask:0xf bank_mask:0xf
	v_min_i32_e32 v0, v13, v0
	ds_bpermute_b32 v14, v10, v0
	s_waitcnt lgkmcnt(0)
	v_cmp_le_i32_e64 s[2:3], s9, v14
	s_or_b64 s[10:11], s[2:3], s[10:11]
	s_andn2_b64 exec, exec, s[10:11]
	s_cbranch_execz .LBB2_17
.LBB2_7:                                ; =>This Loop Header: Depth=1
                                        ;     Child Loop BB2_10 Depth 2
	v_add_u32_e32 v0, v1, v5
	v_cmp_lt_i32_e64 s[2:3], v0, v7
	v_mov_b32_e32 v13, s9
	v_mov_b32_e32 v15, v7
	ds_write_b8 v3, v8 offset:256
	s_waitcnt lgkmcnt(0)
	s_and_saveexec_b64 s[12:13], s[2:3]
	s_cbranch_execz .LBB2_15
; %bb.8:                                ;   in Loop: Header=BB2_7 Depth=1
	s_mov_b64 s[14:15], 0
	v_mov_b32_e32 v13, s9
	v_mov_b32_e32 v15, v7
	s_branch .LBB2_10
.LBB2_9:                                ;   in Loop: Header=BB2_10 Depth=2
	s_or_b64 exec, exec, s[4:5]
	v_add_u32_e32 v0, 2, v0
	v_cmp_ge_i32_e64 s[4:5], v0, v7
	s_xor_b64 s[2:3], s[2:3], -1
	s_or_b64 s[2:3], s[2:3], s[4:5]
	s_and_b64 s[2:3], exec, s[2:3]
	s_or_b64 s[14:15], s[2:3], s[14:15]
	s_andn2_b64 exec, exec, s[14:15]
	s_cbranch_execz .LBB2_14
.LBB2_10:                               ;   Parent Loop BB2_7 Depth=1
                                        ; =>  This Inner Loop Header: Depth=2
	v_ashrrev_i32_e32 v1, 31, v0
	v_lshl_add_u64 v[16:17], v[0:1], 2, s[6:7]
	global_load_dword v1, v[16:17], off
	s_waitcnt vmcnt(0)
	v_subrev_u32_e32 v1, s16, v1
	v_sub_u32_e32 v17, 0, v1
	v_ashrrev_i32_e32 v16, 31, v1
	v_max_i32_e32 v1, v1, v17
	v_mul_hi_u32 v17, v1, v11
	v_mul_lo_u32 v18, v17, s17
	v_sub_u32_e32 v1, v1, v18
	v_add_u32_e32 v19, 1, v17
	v_cmp_le_u32_e64 s[2:3], s17, v1
	v_subrev_u32_e32 v18, s17, v1
	v_xor_b32_e32 v16, s18, v16
	v_cndmask_b32_e64 v17, v17, v19, s[2:3]
	v_cndmask_b32_e64 v1, v1, v18, s[2:3]
	v_add_u32_e32 v18, 1, v17
	v_cmp_le_u32_e64 s[2:3], s17, v1
	s_nop 1
	v_cndmask_b32_e64 v1, v17, v18, s[2:3]
	v_xor_b32_e32 v1, v1, v16
	v_sub_u32_e32 v16, v1, v16
	v_cmp_eq_u32_e64 s[2:3], v16, v14
	v_cmp_ne_u32_e64 s[4:5], v16, v14
	v_mov_b32_e32 v1, v15
	s_and_saveexec_b64 s[20:21], s[4:5]
	s_xor_b64 s[4:5], exec, s[20:21]
; %bb.11:                               ;   in Loop: Header=BB2_10 Depth=2
	v_min_i32_e32 v13, v16, v13
                                        ; implicit-def: $vgpr1
; %bb.12:                               ;   in Loop: Header=BB2_10 Depth=2
	s_or_saveexec_b64 s[4:5], s[4:5]
	v_mov_b32_e32 v15, v0
	s_xor_b64 exec, exec, s[4:5]
	s_cbranch_execz .LBB2_9
; %bb.13:                               ;   in Loop: Header=BB2_10 Depth=2
	v_mov_b32_e32 v15, v1
	ds_write_b8 v3, v12 offset:256
	s_branch .LBB2_9
.LBB2_14:                               ;   in Loop: Header=BB2_7 Depth=1
	s_or_b64 exec, exec, s[14:15]
.LBB2_15:                               ;   in Loop: Header=BB2_7 Depth=1
	s_or_b64 exec, exec, s[12:13]
	s_waitcnt lgkmcnt(0)
	ds_read_u8 v0, v3 offset:256
	v_mov_b32_dpp v1, v15 row_shr:1 row_mask:0xf bank_mask:0xf
	v_min_i32_e32 v1, v1, v15
	ds_bpermute_b32 v1, v9, v1
	s_waitcnt lgkmcnt(1)
	v_and_b32_e32 v0, 1, v0
	v_cmp_eq_u32_e64 s[2:3], 1, v0
	s_and_b64 s[4:5], vcc, s[2:3]
	s_and_saveexec_b64 s[2:3], s[4:5]
	s_cbranch_execz .LBB2_6
; %bb.16:                               ;   in Loop: Header=BB2_7 Depth=1
	ds_read_b32 v0, v6
	s_waitcnt lgkmcnt(0)
	v_add_u32_e32 v0, 1, v0
	ds_write_b32 v6, v0
	s_branch .LBB2_6
.LBB2_17:
	s_or_b64 exec, exec, s[10:11]
.LBB2_18:
	v_cmp_eq_u32_e32 vcc, 0, v4
	s_and_saveexec_b64 s[2:3], vcc
	s_cbranch_execz .LBB2_21
; %bb.19:
	s_load_dword s4, s[0:1], 0x30
	s_load_dwordx2 s[2:3], s[0:1], 0x38
	v_mov_b32_e32 v3, 0
	v_cmp_gt_u32_e32 vcc, s8, v2
	s_waitcnt lgkmcnt(0)
	v_mov_b32_e32 v0, s4
	global_store_dword v3, v0, s[2:3]
	s_and_b64 exec, exec, vcc
	s_cbranch_execz .LBB2_21
; %bb.20:
	ds_read_b32 v4, v6
	v_lshl_add_u64 v[0:1], v[2:3], 2, s[2:3]
	s_waitcnt lgkmcnt(0)
	global_store_dword v[0:1], v4, off offset:4
.LBB2_21:
	s_endpgm
	.section	.rodata,"a",@progbits
	.p2align	6, 0x0
	.amdhsa_kernel _ZN9rocsparseL48csr2gebsr_nnz_wavefront_per_row_multipass_kernelILj256ELj2ELi4EEEviiiiii21rocsparse_index_base_PKiS3_S1_Pi
		.amdhsa_group_segment_fixed_size 320
		.amdhsa_private_segment_fixed_size 0
		.amdhsa_kernarg_size 64
		.amdhsa_user_sgpr_count 2
		.amdhsa_user_sgpr_dispatch_ptr 0
		.amdhsa_user_sgpr_queue_ptr 0
		.amdhsa_user_sgpr_kernarg_segment_ptr 1
		.amdhsa_user_sgpr_dispatch_id 0
		.amdhsa_user_sgpr_kernarg_preload_length 0
		.amdhsa_user_sgpr_kernarg_preload_offset 0
		.amdhsa_user_sgpr_private_segment_size 0
		.amdhsa_uses_dynamic_stack 0
		.amdhsa_enable_private_segment 0
		.amdhsa_system_sgpr_workgroup_id_x 1
		.amdhsa_system_sgpr_workgroup_id_y 0
		.amdhsa_system_sgpr_workgroup_id_z 0
		.amdhsa_system_sgpr_workgroup_info 0
		.amdhsa_system_vgpr_workitem_id 0
		.amdhsa_next_free_vgpr 20
		.amdhsa_next_free_sgpr 22
		.amdhsa_accum_offset 20
		.amdhsa_reserve_vcc 1
		.amdhsa_float_round_mode_32 0
		.amdhsa_float_round_mode_16_64 0
		.amdhsa_float_denorm_mode_32 3
		.amdhsa_float_denorm_mode_16_64 3
		.amdhsa_dx10_clamp 1
		.amdhsa_ieee_mode 1
		.amdhsa_fp16_overflow 0
		.amdhsa_tg_split 0
		.amdhsa_exception_fp_ieee_invalid_op 0
		.amdhsa_exception_fp_denorm_src 0
		.amdhsa_exception_fp_ieee_div_zero 0
		.amdhsa_exception_fp_ieee_overflow 0
		.amdhsa_exception_fp_ieee_underflow 0
		.amdhsa_exception_fp_ieee_inexact 0
		.amdhsa_exception_int_div_zero 0
	.end_amdhsa_kernel
	.section	.text._ZN9rocsparseL48csr2gebsr_nnz_wavefront_per_row_multipass_kernelILj256ELj2ELi4EEEviiiiii21rocsparse_index_base_PKiS3_S1_Pi,"axG",@progbits,_ZN9rocsparseL48csr2gebsr_nnz_wavefront_per_row_multipass_kernelILj256ELj2ELi4EEEviiiiii21rocsparse_index_base_PKiS3_S1_Pi,comdat
.Lfunc_end2:
	.size	_ZN9rocsparseL48csr2gebsr_nnz_wavefront_per_row_multipass_kernelILj256ELj2ELi4EEEviiiiii21rocsparse_index_base_PKiS3_S1_Pi, .Lfunc_end2-_ZN9rocsparseL48csr2gebsr_nnz_wavefront_per_row_multipass_kernelILj256ELj2ELi4EEEviiiiii21rocsparse_index_base_PKiS3_S1_Pi
                                        ; -- End function
	.section	.AMDGPU.csdata,"",@progbits
; Kernel info:
; codeLenInByte = 868
; NumSgprs: 28
; NumVgprs: 20
; NumAgprs: 0
; TotalNumVgprs: 20
; ScratchSize: 0
; MemoryBound: 0
; FloatMode: 240
; IeeeMode: 1
; LDSByteSize: 320 bytes/workgroup (compile time only)
; SGPRBlocks: 3
; VGPRBlocks: 2
; NumSGPRsForWavesPerEU: 28
; NumVGPRsForWavesPerEU: 20
; AccumOffset: 20
; Occupancy: 8
; WaveLimiterHint : 0
; COMPUTE_PGM_RSRC2:SCRATCH_EN: 0
; COMPUTE_PGM_RSRC2:USER_SGPR: 2
; COMPUTE_PGM_RSRC2:TRAP_HANDLER: 0
; COMPUTE_PGM_RSRC2:TGID_X_EN: 1
; COMPUTE_PGM_RSRC2:TGID_Y_EN: 0
; COMPUTE_PGM_RSRC2:TGID_Z_EN: 0
; COMPUTE_PGM_RSRC2:TIDIG_COMP_CNT: 0
; COMPUTE_PGM_RSRC3_GFX90A:ACCUM_OFFSET: 4
; COMPUTE_PGM_RSRC3_GFX90A:TG_SPLIT: 0
	.section	.text._ZN9rocsparseL48csr2gebsr_nnz_wavefront_per_row_multipass_kernelILj256ELj2ELi8EEEviiiiii21rocsparse_index_base_PKiS3_S1_Pi,"axG",@progbits,_ZN9rocsparseL48csr2gebsr_nnz_wavefront_per_row_multipass_kernelILj256ELj2ELi8EEEviiiiii21rocsparse_index_base_PKiS3_S1_Pi,comdat
	.globl	_ZN9rocsparseL48csr2gebsr_nnz_wavefront_per_row_multipass_kernelILj256ELj2ELi8EEEviiiiii21rocsparse_index_base_PKiS3_S1_Pi ; -- Begin function _ZN9rocsparseL48csr2gebsr_nnz_wavefront_per_row_multipass_kernelILj256ELj2ELi8EEEviiiiii21rocsparse_index_base_PKiS3_S1_Pi
	.p2align	8
	.type	_ZN9rocsparseL48csr2gebsr_nnz_wavefront_per_row_multipass_kernelILj256ELj2ELi8EEEviiiiii21rocsparse_index_base_PKiS3_S1_Pi,@function
_ZN9rocsparseL48csr2gebsr_nnz_wavefront_per_row_multipass_kernelILj256ELj2ELi8EEEviiiiii21rocsparse_index_base_PKiS3_S1_Pi: ; @_ZN9rocsparseL48csr2gebsr_nnz_wavefront_per_row_multipass_kernelILj256ELj2ELi8EEEviiiiii21rocsparse_index_base_PKiS3_S1_Pi
; %bb.0:
	s_load_dword s6, s[0:1], 0x0
	s_load_dwordx4 s[8:11], s[0:1], 0x8
	s_load_dword s16, s[0:1], 0x18
	s_load_dwordx2 s[4:5], s[0:1], 0x20
	v_lshrrev_b32_e32 v3, 3, v0
	v_bfe_u32 v8, v0, 2, 1
	v_lshl_or_b32 v2, s2, 5, v3
	s_waitcnt lgkmcnt(0)
	v_mad_u64_u32 v[4:5], s[2:3], v2, s10, v[8:9]
	v_cmp_gt_i32_e32 vcc, s6, v4
	v_cmp_gt_i32_e64 s[2:3], s10, v8
	v_lshlrev_b32_e32 v6, 2, v3
	v_mov_b32_e32 v7, 0
	s_and_b64 s[2:3], s[2:3], vcc
	v_mov_b32_e32 v1, 0
	ds_write_b32 v6, v7
	s_waitcnt lgkmcnt(0)
	s_barrier
	s_and_saveexec_b64 s[6:7], s[2:3]
	s_cbranch_execz .LBB3_2
; %bb.1:
	v_ashrrev_i32_e32 v5, 31, v4
	v_lshl_add_u64 v[8:9], v[4:5], 2, s[4:5]
	global_load_dword v1, v[8:9], off
	s_waitcnt vmcnt(0)
	v_subrev_u32_e32 v1, s16, v1
.LBB3_2:
	s_or_b64 exec, exec, s[6:7]
	s_and_saveexec_b64 s[6:7], s[2:3]
	s_cbranch_execz .LBB3_4
; %bb.3:
	v_ashrrev_i32_e32 v5, 31, v4
	v_lshl_add_u64 v[4:5], v[4:5], 2, s[4:5]
	global_load_dword v4, v[4:5], off offset:4
	s_waitcnt vmcnt(0)
	v_subrev_u32_e32 v7, s16, v4
.LBB3_4:
	s_or_b64 exec, exec, s[6:7]
	v_and_b32_e32 v4, 7, v0
	s_cmp_lt_i32 s9, 1
	v_cmp_eq_u32_e32 vcc, 0, v4
	s_cbranch_scc1 .LBB3_18
; %bb.5:
	s_abs_i32 s17, s11
	v_cvt_f32_u32_e32 v9, s17
	v_and_b32_e32 v5, 3, v0
	v_mbcnt_lo_u32_b32 v0, -1, 0
	s_load_dwordx2 s[6:7], s[0:1], 0x28
	v_rcp_iflag_f32_e32 v10, v9
	v_mbcnt_hi_u32_b32 v0, -1, v0
	v_lshlrev_b32_e32 v0, 2, v0
	s_sub_i32 s2, 0, s17
	v_mul_f32_e32 v10, 0x4f7ffffe, v10
	v_cvt_u32_f32_e32 v11, v10
	v_or_b32_e32 v9, 12, v0
	v_or_b32_e32 v10, 28, v0
	v_mov_b32_e32 v8, 0
	v_mul_lo_u32 v0, s2, v11
	v_mul_hi_u32 v0, v11, v0
	s_ashr_i32 s18, s11, 31
	v_add_u32_e32 v11, v11, v0
	s_mov_b64 s[10:11], 0
	v_mov_b32_e32 v12, 1
	v_mov_b32_e32 v14, 0
	s_branch .LBB3_7
.LBB3_6:                                ;   in Loop: Header=BB3_7 Depth=1
	s_or_b64 exec, exec, s[2:3]
	v_mov_b32_dpp v0, v13 row_shr:1 row_mask:0xf bank_mask:0xf
	v_min_i32_e32 v0, v0, v13
	s_waitcnt lgkmcnt(0)
	s_nop 0
	v_mov_b32_dpp v13, v0 row_shr:2 row_mask:0xf bank_mask:0xf
	v_min_i32_e32 v0, v13, v0
	s_nop 1
	v_mov_b32_dpp v13, v0 row_shr:4 row_mask:0xf bank_mask:0xe
	v_min_i32_e32 v0, v13, v0
	ds_bpermute_b32 v14, v10, v0
	s_waitcnt lgkmcnt(0)
	v_cmp_le_i32_e64 s[2:3], s9, v14
	s_or_b64 s[10:11], s[2:3], s[10:11]
	s_andn2_b64 exec, exec, s[10:11]
	s_cbranch_execz .LBB3_17
.LBB3_7:                                ; =>This Loop Header: Depth=1
                                        ;     Child Loop BB3_10 Depth 2
	v_add_u32_e32 v0, v1, v5
	v_cmp_lt_i32_e64 s[2:3], v0, v7
	v_mov_b32_e32 v13, s9
	v_mov_b32_e32 v15, v7
	ds_write_b8 v3, v8 offset:128
	s_waitcnt lgkmcnt(0)
	s_and_saveexec_b64 s[12:13], s[2:3]
	s_cbranch_execz .LBB3_15
; %bb.8:                                ;   in Loop: Header=BB3_7 Depth=1
	s_mov_b64 s[14:15], 0
	v_mov_b32_e32 v13, s9
	v_mov_b32_e32 v15, v7
	s_branch .LBB3_10
.LBB3_9:                                ;   in Loop: Header=BB3_10 Depth=2
	s_or_b64 exec, exec, s[4:5]
	v_add_u32_e32 v0, 4, v0
	v_cmp_ge_i32_e64 s[4:5], v0, v7
	s_xor_b64 s[2:3], s[2:3], -1
	s_or_b64 s[2:3], s[2:3], s[4:5]
	s_and_b64 s[2:3], exec, s[2:3]
	s_or_b64 s[14:15], s[2:3], s[14:15]
	s_andn2_b64 exec, exec, s[14:15]
	s_cbranch_execz .LBB3_14
.LBB3_10:                               ;   Parent Loop BB3_7 Depth=1
                                        ; =>  This Inner Loop Header: Depth=2
	v_ashrrev_i32_e32 v1, 31, v0
	v_lshl_add_u64 v[16:17], v[0:1], 2, s[6:7]
	global_load_dword v1, v[16:17], off
	s_waitcnt vmcnt(0)
	v_subrev_u32_e32 v1, s16, v1
	v_sub_u32_e32 v17, 0, v1
	v_ashrrev_i32_e32 v16, 31, v1
	v_max_i32_e32 v1, v1, v17
	v_mul_hi_u32 v17, v1, v11
	v_mul_lo_u32 v18, v17, s17
	v_sub_u32_e32 v1, v1, v18
	v_add_u32_e32 v19, 1, v17
	v_cmp_le_u32_e64 s[2:3], s17, v1
	v_subrev_u32_e32 v18, s17, v1
	v_xor_b32_e32 v16, s18, v16
	v_cndmask_b32_e64 v17, v17, v19, s[2:3]
	v_cndmask_b32_e64 v1, v1, v18, s[2:3]
	v_add_u32_e32 v18, 1, v17
	v_cmp_le_u32_e64 s[2:3], s17, v1
	s_nop 1
	v_cndmask_b32_e64 v1, v17, v18, s[2:3]
	v_xor_b32_e32 v1, v1, v16
	v_sub_u32_e32 v16, v1, v16
	v_cmp_eq_u32_e64 s[2:3], v16, v14
	v_cmp_ne_u32_e64 s[4:5], v16, v14
	v_mov_b32_e32 v1, v15
	s_and_saveexec_b64 s[20:21], s[4:5]
	s_xor_b64 s[4:5], exec, s[20:21]
; %bb.11:                               ;   in Loop: Header=BB3_10 Depth=2
	v_min_i32_e32 v13, v16, v13
                                        ; implicit-def: $vgpr1
; %bb.12:                               ;   in Loop: Header=BB3_10 Depth=2
	s_or_saveexec_b64 s[4:5], s[4:5]
	v_mov_b32_e32 v15, v0
	s_xor_b64 exec, exec, s[4:5]
	s_cbranch_execz .LBB3_9
; %bb.13:                               ;   in Loop: Header=BB3_10 Depth=2
	v_mov_b32_e32 v15, v1
	ds_write_b8 v3, v12 offset:128
	s_branch .LBB3_9
.LBB3_14:                               ;   in Loop: Header=BB3_7 Depth=1
	s_or_b64 exec, exec, s[14:15]
.LBB3_15:                               ;   in Loop: Header=BB3_7 Depth=1
	s_or_b64 exec, exec, s[12:13]
	v_mov_b32_dpp v0, v15 row_shr:1 row_mask:0xf bank_mask:0xf
	s_waitcnt lgkmcnt(0)
	v_min_i32_e32 v0, v0, v15
	ds_read_u8 v14, v3 offset:128
	s_nop 0
	v_mov_b32_dpp v1, v0 row_shr:2 row_mask:0xf bank_mask:0xf
	v_min_i32_e32 v0, v1, v0
	ds_bpermute_b32 v1, v9, v0
	s_waitcnt lgkmcnt(1)
	v_and_b32_e32 v0, 1, v14
	v_cmp_eq_u32_e64 s[2:3], 1, v0
	s_and_b64 s[4:5], vcc, s[2:3]
	s_and_saveexec_b64 s[2:3], s[4:5]
	s_cbranch_execz .LBB3_6
; %bb.16:                               ;   in Loop: Header=BB3_7 Depth=1
	ds_read_b32 v0, v6
	s_waitcnt lgkmcnt(0)
	v_add_u32_e32 v0, 1, v0
	ds_write_b32 v6, v0
	s_branch .LBB3_6
.LBB3_17:
	s_or_b64 exec, exec, s[10:11]
.LBB3_18:
	v_cmp_eq_u32_e32 vcc, 0, v4
	s_and_saveexec_b64 s[2:3], vcc
	s_cbranch_execz .LBB3_21
; %bb.19:
	s_load_dword s4, s[0:1], 0x30
	s_load_dwordx2 s[2:3], s[0:1], 0x38
	v_mov_b32_e32 v3, 0
	v_cmp_gt_u32_e32 vcc, s8, v2
	s_waitcnt lgkmcnt(0)
	v_mov_b32_e32 v0, s4
	global_store_dword v3, v0, s[2:3]
	s_and_b64 exec, exec, vcc
	s_cbranch_execz .LBB3_21
; %bb.20:
	ds_read_b32 v4, v6
	v_lshl_add_u64 v[0:1], v[2:3], 2, s[2:3]
	s_waitcnt lgkmcnt(0)
	global_store_dword v[0:1], v4, off offset:4
.LBB3_21:
	s_endpgm
	.section	.rodata,"a",@progbits
	.p2align	6, 0x0
	.amdhsa_kernel _ZN9rocsparseL48csr2gebsr_nnz_wavefront_per_row_multipass_kernelILj256ELj2ELi8EEEviiiiii21rocsparse_index_base_PKiS3_S1_Pi
		.amdhsa_group_segment_fixed_size 160
		.amdhsa_private_segment_fixed_size 0
		.amdhsa_kernarg_size 64
		.amdhsa_user_sgpr_count 2
		.amdhsa_user_sgpr_dispatch_ptr 0
		.amdhsa_user_sgpr_queue_ptr 0
		.amdhsa_user_sgpr_kernarg_segment_ptr 1
		.amdhsa_user_sgpr_dispatch_id 0
		.amdhsa_user_sgpr_kernarg_preload_length 0
		.amdhsa_user_sgpr_kernarg_preload_offset 0
		.amdhsa_user_sgpr_private_segment_size 0
		.amdhsa_uses_dynamic_stack 0
		.amdhsa_enable_private_segment 0
		.amdhsa_system_sgpr_workgroup_id_x 1
		.amdhsa_system_sgpr_workgroup_id_y 0
		.amdhsa_system_sgpr_workgroup_id_z 0
		.amdhsa_system_sgpr_workgroup_info 0
		.amdhsa_system_vgpr_workitem_id 0
		.amdhsa_next_free_vgpr 20
		.amdhsa_next_free_sgpr 22
		.amdhsa_accum_offset 20
		.amdhsa_reserve_vcc 1
		.amdhsa_float_round_mode_32 0
		.amdhsa_float_round_mode_16_64 0
		.amdhsa_float_denorm_mode_32 3
		.amdhsa_float_denorm_mode_16_64 3
		.amdhsa_dx10_clamp 1
		.amdhsa_ieee_mode 1
		.amdhsa_fp16_overflow 0
		.amdhsa_tg_split 0
		.amdhsa_exception_fp_ieee_invalid_op 0
		.amdhsa_exception_fp_denorm_src 0
		.amdhsa_exception_fp_ieee_div_zero 0
		.amdhsa_exception_fp_ieee_overflow 0
		.amdhsa_exception_fp_ieee_underflow 0
		.amdhsa_exception_fp_ieee_inexact 0
		.amdhsa_exception_int_div_zero 0
	.end_amdhsa_kernel
	.section	.text._ZN9rocsparseL48csr2gebsr_nnz_wavefront_per_row_multipass_kernelILj256ELj2ELi8EEEviiiiii21rocsparse_index_base_PKiS3_S1_Pi,"axG",@progbits,_ZN9rocsparseL48csr2gebsr_nnz_wavefront_per_row_multipass_kernelILj256ELj2ELi8EEEviiiiii21rocsparse_index_base_PKiS3_S1_Pi,comdat
.Lfunc_end3:
	.size	_ZN9rocsparseL48csr2gebsr_nnz_wavefront_per_row_multipass_kernelILj256ELj2ELi8EEEviiiiii21rocsparse_index_base_PKiS3_S1_Pi, .Lfunc_end3-_ZN9rocsparseL48csr2gebsr_nnz_wavefront_per_row_multipass_kernelILj256ELj2ELi8EEEviiiiii21rocsparse_index_base_PKiS3_S1_Pi
                                        ; -- End function
	.section	.AMDGPU.csdata,"",@progbits
; Kernel info:
; codeLenInByte = 896
; NumSgprs: 28
; NumVgprs: 20
; NumAgprs: 0
; TotalNumVgprs: 20
; ScratchSize: 0
; MemoryBound: 0
; FloatMode: 240
; IeeeMode: 1
; LDSByteSize: 160 bytes/workgroup (compile time only)
; SGPRBlocks: 3
; VGPRBlocks: 2
; NumSGPRsForWavesPerEU: 28
; NumVGPRsForWavesPerEU: 20
; AccumOffset: 20
; Occupancy: 8
; WaveLimiterHint : 0
; COMPUTE_PGM_RSRC2:SCRATCH_EN: 0
; COMPUTE_PGM_RSRC2:USER_SGPR: 2
; COMPUTE_PGM_RSRC2:TRAP_HANDLER: 0
; COMPUTE_PGM_RSRC2:TGID_X_EN: 1
; COMPUTE_PGM_RSRC2:TGID_Y_EN: 0
; COMPUTE_PGM_RSRC2:TGID_Z_EN: 0
; COMPUTE_PGM_RSRC2:TIDIG_COMP_CNT: 0
; COMPUTE_PGM_RSRC3_GFX90A:ACCUM_OFFSET: 4
; COMPUTE_PGM_RSRC3_GFX90A:TG_SPLIT: 0
	.section	.text._ZN9rocsparseL48csr2gebsr_nnz_wavefront_per_row_multipass_kernelILj256ELj2ELi16EEEviiiiii21rocsparse_index_base_PKiS3_S1_Pi,"axG",@progbits,_ZN9rocsparseL48csr2gebsr_nnz_wavefront_per_row_multipass_kernelILj256ELj2ELi16EEEviiiiii21rocsparse_index_base_PKiS3_S1_Pi,comdat
	.globl	_ZN9rocsparseL48csr2gebsr_nnz_wavefront_per_row_multipass_kernelILj256ELj2ELi16EEEviiiiii21rocsparse_index_base_PKiS3_S1_Pi ; -- Begin function _ZN9rocsparseL48csr2gebsr_nnz_wavefront_per_row_multipass_kernelILj256ELj2ELi16EEEviiiiii21rocsparse_index_base_PKiS3_S1_Pi
	.p2align	8
	.type	_ZN9rocsparseL48csr2gebsr_nnz_wavefront_per_row_multipass_kernelILj256ELj2ELi16EEEviiiiii21rocsparse_index_base_PKiS3_S1_Pi,@function
_ZN9rocsparseL48csr2gebsr_nnz_wavefront_per_row_multipass_kernelILj256ELj2ELi16EEEviiiiii21rocsparse_index_base_PKiS3_S1_Pi: ; @_ZN9rocsparseL48csr2gebsr_nnz_wavefront_per_row_multipass_kernelILj256ELj2ELi16EEEviiiiii21rocsparse_index_base_PKiS3_S1_Pi
; %bb.0:
	s_load_dword s6, s[0:1], 0x0
	s_load_dwordx4 s[8:11], s[0:1], 0x8
	s_load_dword s16, s[0:1], 0x18
	s_load_dwordx2 s[4:5], s[0:1], 0x20
	v_lshrrev_b32_e32 v3, 4, v0
	v_bfe_u32 v8, v0, 3, 1
	v_lshl_or_b32 v2, s2, 4, v3
	s_waitcnt lgkmcnt(0)
	v_mad_u64_u32 v[4:5], s[2:3], v2, s10, v[8:9]
	v_cmp_gt_i32_e32 vcc, s6, v4
	v_cmp_gt_i32_e64 s[2:3], s10, v8
	v_lshlrev_b32_e32 v6, 2, v3
	v_mov_b32_e32 v7, 0
	s_and_b64 s[2:3], s[2:3], vcc
	v_mov_b32_e32 v1, 0
	ds_write_b32 v6, v7
	s_waitcnt lgkmcnt(0)
	s_barrier
	s_and_saveexec_b64 s[6:7], s[2:3]
	s_cbranch_execz .LBB4_2
; %bb.1:
	v_ashrrev_i32_e32 v5, 31, v4
	v_lshl_add_u64 v[8:9], v[4:5], 2, s[4:5]
	global_load_dword v1, v[8:9], off
	s_waitcnt vmcnt(0)
	v_subrev_u32_e32 v1, s16, v1
.LBB4_2:
	s_or_b64 exec, exec, s[6:7]
	s_and_saveexec_b64 s[6:7], s[2:3]
	s_cbranch_execz .LBB4_4
; %bb.3:
	v_ashrrev_i32_e32 v5, 31, v4
	v_lshl_add_u64 v[4:5], v[4:5], 2, s[4:5]
	global_load_dword v4, v[4:5], off offset:4
	s_waitcnt vmcnt(0)
	v_subrev_u32_e32 v7, s16, v4
.LBB4_4:
	s_or_b64 exec, exec, s[6:7]
	v_and_b32_e32 v4, 15, v0
	s_cmp_lt_i32 s9, 1
	v_cmp_eq_u32_e32 vcc, 0, v4
	s_cbranch_scc1 .LBB4_18
; %bb.5:
	s_abs_i32 s17, s11
	v_cvt_f32_u32_e32 v9, s17
	v_and_b32_e32 v5, 7, v0
	v_mbcnt_lo_u32_b32 v0, -1, 0
	s_load_dwordx2 s[6:7], s[0:1], 0x28
	v_rcp_iflag_f32_e32 v10, v9
	v_mbcnt_hi_u32_b32 v0, -1, v0
	v_lshlrev_b32_e32 v0, 2, v0
	s_sub_i32 s2, 0, s17
	v_mul_f32_e32 v10, 0x4f7ffffe, v10
	v_cvt_u32_f32_e32 v11, v10
	v_or_b32_e32 v9, 28, v0
	v_or_b32_e32 v10, 60, v0
	v_mov_b32_e32 v8, 0
	v_mul_lo_u32 v0, s2, v11
	v_mul_hi_u32 v0, v11, v0
	s_ashr_i32 s18, s11, 31
	v_add_u32_e32 v11, v11, v0
	s_mov_b64 s[10:11], 0
	v_mov_b32_e32 v12, 1
	v_mov_b32_e32 v14, 0
	s_branch .LBB4_7
.LBB4_6:                                ;   in Loop: Header=BB4_7 Depth=1
	s_or_b64 exec, exec, s[2:3]
	v_mov_b32_dpp v0, v13 row_shr:1 row_mask:0xf bank_mask:0xf
	v_min_i32_e32 v0, v0, v13
	s_waitcnt lgkmcnt(0)
	s_nop 0
	v_mov_b32_dpp v13, v0 row_shr:2 row_mask:0xf bank_mask:0xf
	v_min_i32_e32 v0, v13, v0
	s_nop 1
	v_mov_b32_dpp v13, v0 row_shr:4 row_mask:0xf bank_mask:0xe
	v_min_i32_e32 v0, v13, v0
	;; [unrolled: 3-line block ×3, first 2 shown]
	ds_bpermute_b32 v14, v10, v0
	s_waitcnt lgkmcnt(0)
	v_cmp_le_i32_e64 s[2:3], s9, v14
	s_or_b64 s[10:11], s[2:3], s[10:11]
	s_andn2_b64 exec, exec, s[10:11]
	s_cbranch_execz .LBB4_17
.LBB4_7:                                ; =>This Loop Header: Depth=1
                                        ;     Child Loop BB4_10 Depth 2
	v_add_u32_e32 v0, v1, v5
	v_cmp_lt_i32_e64 s[2:3], v0, v7
	v_mov_b32_e32 v13, s9
	v_mov_b32_e32 v15, v7
	ds_write_b8 v3, v8 offset:64
	s_waitcnt lgkmcnt(0)
	s_and_saveexec_b64 s[12:13], s[2:3]
	s_cbranch_execz .LBB4_15
; %bb.8:                                ;   in Loop: Header=BB4_7 Depth=1
	s_mov_b64 s[14:15], 0
	v_mov_b32_e32 v13, s9
	v_mov_b32_e32 v15, v7
	s_branch .LBB4_10
.LBB4_9:                                ;   in Loop: Header=BB4_10 Depth=2
	s_or_b64 exec, exec, s[4:5]
	v_add_u32_e32 v0, 8, v0
	v_cmp_ge_i32_e64 s[4:5], v0, v7
	s_xor_b64 s[2:3], s[2:3], -1
	s_or_b64 s[2:3], s[2:3], s[4:5]
	s_and_b64 s[2:3], exec, s[2:3]
	s_or_b64 s[14:15], s[2:3], s[14:15]
	s_andn2_b64 exec, exec, s[14:15]
	s_cbranch_execz .LBB4_14
.LBB4_10:                               ;   Parent Loop BB4_7 Depth=1
                                        ; =>  This Inner Loop Header: Depth=2
	v_ashrrev_i32_e32 v1, 31, v0
	v_lshl_add_u64 v[16:17], v[0:1], 2, s[6:7]
	global_load_dword v1, v[16:17], off
	s_waitcnt vmcnt(0)
	v_subrev_u32_e32 v1, s16, v1
	v_sub_u32_e32 v17, 0, v1
	v_ashrrev_i32_e32 v16, 31, v1
	v_max_i32_e32 v1, v1, v17
	v_mul_hi_u32 v17, v1, v11
	v_mul_lo_u32 v18, v17, s17
	v_sub_u32_e32 v1, v1, v18
	v_add_u32_e32 v19, 1, v17
	v_cmp_le_u32_e64 s[2:3], s17, v1
	v_subrev_u32_e32 v18, s17, v1
	v_xor_b32_e32 v16, s18, v16
	v_cndmask_b32_e64 v17, v17, v19, s[2:3]
	v_cndmask_b32_e64 v1, v1, v18, s[2:3]
	v_add_u32_e32 v18, 1, v17
	v_cmp_le_u32_e64 s[2:3], s17, v1
	s_nop 1
	v_cndmask_b32_e64 v1, v17, v18, s[2:3]
	v_xor_b32_e32 v1, v1, v16
	v_sub_u32_e32 v16, v1, v16
	v_cmp_eq_u32_e64 s[2:3], v16, v14
	v_cmp_ne_u32_e64 s[4:5], v16, v14
	v_mov_b32_e32 v1, v15
	s_and_saveexec_b64 s[20:21], s[4:5]
	s_xor_b64 s[4:5], exec, s[20:21]
; %bb.11:                               ;   in Loop: Header=BB4_10 Depth=2
	v_min_i32_e32 v13, v16, v13
                                        ; implicit-def: $vgpr1
; %bb.12:                               ;   in Loop: Header=BB4_10 Depth=2
	s_or_saveexec_b64 s[4:5], s[4:5]
	v_mov_b32_e32 v15, v0
	s_xor_b64 exec, exec, s[4:5]
	s_cbranch_execz .LBB4_9
; %bb.13:                               ;   in Loop: Header=BB4_10 Depth=2
	v_mov_b32_e32 v15, v1
	ds_write_b8 v3, v12 offset:64
	s_branch .LBB4_9
.LBB4_14:                               ;   in Loop: Header=BB4_7 Depth=1
	s_or_b64 exec, exec, s[14:15]
.LBB4_15:                               ;   in Loop: Header=BB4_7 Depth=1
	s_or_b64 exec, exec, s[12:13]
	v_mov_b32_dpp v0, v15 row_shr:1 row_mask:0xf bank_mask:0xf
	v_min_i32_e32 v0, v0, v15
	s_waitcnt lgkmcnt(0)
	ds_read_u8 v14, v3 offset:64
	v_mov_b32_dpp v1, v0 row_shr:2 row_mask:0xf bank_mask:0xf
	v_min_i32_e32 v0, v1, v0
	s_nop 1
	v_mov_b32_dpp v1, v0 row_shr:4 row_mask:0xf bank_mask:0xe
	v_min_i32_e32 v0, v1, v0
	ds_bpermute_b32 v1, v9, v0
	s_waitcnt lgkmcnt(1)
	v_and_b32_e32 v0, 1, v14
	v_cmp_eq_u32_e64 s[2:3], 1, v0
	s_and_b64 s[4:5], vcc, s[2:3]
	s_and_saveexec_b64 s[2:3], s[4:5]
	s_cbranch_execz .LBB4_6
; %bb.16:                               ;   in Loop: Header=BB4_7 Depth=1
	ds_read_b32 v0, v6
	s_waitcnt lgkmcnt(0)
	v_add_u32_e32 v0, 1, v0
	ds_write_b32 v6, v0
	s_branch .LBB4_6
.LBB4_17:
	s_or_b64 exec, exec, s[10:11]
.LBB4_18:
	v_cmp_eq_u32_e32 vcc, 0, v4
	s_and_saveexec_b64 s[2:3], vcc
	s_cbranch_execz .LBB4_21
; %bb.19:
	s_load_dword s4, s[0:1], 0x30
	s_load_dwordx2 s[2:3], s[0:1], 0x38
	v_mov_b32_e32 v3, 0
	v_cmp_gt_u32_e32 vcc, s8, v2
	s_waitcnt lgkmcnt(0)
	v_mov_b32_e32 v0, s4
	global_store_dword v3, v0, s[2:3]
	s_and_b64 exec, exec, vcc
	s_cbranch_execz .LBB4_21
; %bb.20:
	ds_read_b32 v4, v6
	v_lshl_add_u64 v[0:1], v[2:3], 2, s[2:3]
	s_waitcnt lgkmcnt(0)
	global_store_dword v[0:1], v4, off offset:4
.LBB4_21:
	s_endpgm
	.section	.rodata,"a",@progbits
	.p2align	6, 0x0
	.amdhsa_kernel _ZN9rocsparseL48csr2gebsr_nnz_wavefront_per_row_multipass_kernelILj256ELj2ELi16EEEviiiiii21rocsparse_index_base_PKiS3_S1_Pi
		.amdhsa_group_segment_fixed_size 80
		.amdhsa_private_segment_fixed_size 0
		.amdhsa_kernarg_size 64
		.amdhsa_user_sgpr_count 2
		.amdhsa_user_sgpr_dispatch_ptr 0
		.amdhsa_user_sgpr_queue_ptr 0
		.amdhsa_user_sgpr_kernarg_segment_ptr 1
		.amdhsa_user_sgpr_dispatch_id 0
		.amdhsa_user_sgpr_kernarg_preload_length 0
		.amdhsa_user_sgpr_kernarg_preload_offset 0
		.amdhsa_user_sgpr_private_segment_size 0
		.amdhsa_uses_dynamic_stack 0
		.amdhsa_enable_private_segment 0
		.amdhsa_system_sgpr_workgroup_id_x 1
		.amdhsa_system_sgpr_workgroup_id_y 0
		.amdhsa_system_sgpr_workgroup_id_z 0
		.amdhsa_system_sgpr_workgroup_info 0
		.amdhsa_system_vgpr_workitem_id 0
		.amdhsa_next_free_vgpr 20
		.amdhsa_next_free_sgpr 22
		.amdhsa_accum_offset 20
		.amdhsa_reserve_vcc 1
		.amdhsa_float_round_mode_32 0
		.amdhsa_float_round_mode_16_64 0
		.amdhsa_float_denorm_mode_32 3
		.amdhsa_float_denorm_mode_16_64 3
		.amdhsa_dx10_clamp 1
		.amdhsa_ieee_mode 1
		.amdhsa_fp16_overflow 0
		.amdhsa_tg_split 0
		.amdhsa_exception_fp_ieee_invalid_op 0
		.amdhsa_exception_fp_denorm_src 0
		.amdhsa_exception_fp_ieee_div_zero 0
		.amdhsa_exception_fp_ieee_overflow 0
		.amdhsa_exception_fp_ieee_underflow 0
		.amdhsa_exception_fp_ieee_inexact 0
		.amdhsa_exception_int_div_zero 0
	.end_amdhsa_kernel
	.section	.text._ZN9rocsparseL48csr2gebsr_nnz_wavefront_per_row_multipass_kernelILj256ELj2ELi16EEEviiiiii21rocsparse_index_base_PKiS3_S1_Pi,"axG",@progbits,_ZN9rocsparseL48csr2gebsr_nnz_wavefront_per_row_multipass_kernelILj256ELj2ELi16EEEviiiiii21rocsparse_index_base_PKiS3_S1_Pi,comdat
.Lfunc_end4:
	.size	_ZN9rocsparseL48csr2gebsr_nnz_wavefront_per_row_multipass_kernelILj256ELj2ELi16EEEviiiiii21rocsparse_index_base_PKiS3_S1_Pi, .Lfunc_end4-_ZN9rocsparseL48csr2gebsr_nnz_wavefront_per_row_multipass_kernelILj256ELj2ELi16EEEviiiiii21rocsparse_index_base_PKiS3_S1_Pi
                                        ; -- End function
	.section	.AMDGPU.csdata,"",@progbits
; Kernel info:
; codeLenInByte = 924
; NumSgprs: 28
; NumVgprs: 20
; NumAgprs: 0
; TotalNumVgprs: 20
; ScratchSize: 0
; MemoryBound: 0
; FloatMode: 240
; IeeeMode: 1
; LDSByteSize: 80 bytes/workgroup (compile time only)
; SGPRBlocks: 3
; VGPRBlocks: 2
; NumSGPRsForWavesPerEU: 28
; NumVGPRsForWavesPerEU: 20
; AccumOffset: 20
; Occupancy: 8
; WaveLimiterHint : 0
; COMPUTE_PGM_RSRC2:SCRATCH_EN: 0
; COMPUTE_PGM_RSRC2:USER_SGPR: 2
; COMPUTE_PGM_RSRC2:TRAP_HANDLER: 0
; COMPUTE_PGM_RSRC2:TGID_X_EN: 1
; COMPUTE_PGM_RSRC2:TGID_Y_EN: 0
; COMPUTE_PGM_RSRC2:TGID_Z_EN: 0
; COMPUTE_PGM_RSRC2:TIDIG_COMP_CNT: 0
; COMPUTE_PGM_RSRC3_GFX90A:ACCUM_OFFSET: 4
; COMPUTE_PGM_RSRC3_GFX90A:TG_SPLIT: 0
	.section	.text._ZN9rocsparseL48csr2gebsr_nnz_wavefront_per_row_multipass_kernelILj256ELj2ELi32EEEviiiiii21rocsparse_index_base_PKiS3_S1_Pi,"axG",@progbits,_ZN9rocsparseL48csr2gebsr_nnz_wavefront_per_row_multipass_kernelILj256ELj2ELi32EEEviiiiii21rocsparse_index_base_PKiS3_S1_Pi,comdat
	.globl	_ZN9rocsparseL48csr2gebsr_nnz_wavefront_per_row_multipass_kernelILj256ELj2ELi32EEEviiiiii21rocsparse_index_base_PKiS3_S1_Pi ; -- Begin function _ZN9rocsparseL48csr2gebsr_nnz_wavefront_per_row_multipass_kernelILj256ELj2ELi32EEEviiiiii21rocsparse_index_base_PKiS3_S1_Pi
	.p2align	8
	.type	_ZN9rocsparseL48csr2gebsr_nnz_wavefront_per_row_multipass_kernelILj256ELj2ELi32EEEviiiiii21rocsparse_index_base_PKiS3_S1_Pi,@function
_ZN9rocsparseL48csr2gebsr_nnz_wavefront_per_row_multipass_kernelILj256ELj2ELi32EEEviiiiii21rocsparse_index_base_PKiS3_S1_Pi: ; @_ZN9rocsparseL48csr2gebsr_nnz_wavefront_per_row_multipass_kernelILj256ELj2ELi32EEEviiiiii21rocsparse_index_base_PKiS3_S1_Pi
; %bb.0:
	s_load_dword s6, s[0:1], 0x0
	s_load_dwordx4 s[8:11], s[0:1], 0x8
	s_load_dword s16, s[0:1], 0x18
	s_load_dwordx2 s[4:5], s[0:1], 0x20
	v_lshrrev_b32_e32 v3, 5, v0
	v_bfe_u32 v8, v0, 4, 1
	v_lshl_or_b32 v2, s2, 3, v3
	s_waitcnt lgkmcnt(0)
	v_mad_u64_u32 v[4:5], s[2:3], v2, s10, v[8:9]
	v_cmp_gt_i32_e32 vcc, s6, v4
	v_cmp_gt_i32_e64 s[2:3], s10, v8
	v_lshlrev_b32_e32 v6, 2, v3
	v_mov_b32_e32 v7, 0
	s_and_b64 s[2:3], s[2:3], vcc
	v_mov_b32_e32 v1, 0
	ds_write_b32 v6, v7
	s_waitcnt lgkmcnt(0)
	s_barrier
	s_and_saveexec_b64 s[6:7], s[2:3]
	s_cbranch_execz .LBB5_2
; %bb.1:
	v_ashrrev_i32_e32 v5, 31, v4
	v_lshl_add_u64 v[8:9], v[4:5], 2, s[4:5]
	global_load_dword v1, v[8:9], off
	s_waitcnt vmcnt(0)
	v_subrev_u32_e32 v1, s16, v1
.LBB5_2:
	s_or_b64 exec, exec, s[6:7]
	s_and_saveexec_b64 s[6:7], s[2:3]
	s_cbranch_execz .LBB5_4
; %bb.3:
	v_ashrrev_i32_e32 v5, 31, v4
	v_lshl_add_u64 v[4:5], v[4:5], 2, s[4:5]
	global_load_dword v4, v[4:5], off offset:4
	s_waitcnt vmcnt(0)
	v_subrev_u32_e32 v7, s16, v4
.LBB5_4:
	s_or_b64 exec, exec, s[6:7]
	v_and_b32_e32 v4, 31, v0
	s_cmp_lt_i32 s9, 1
	v_cmp_eq_u32_e32 vcc, 0, v4
	s_cbranch_scc1 .LBB5_18
; %bb.5:
	s_abs_i32 s17, s11
	v_cvt_f32_u32_e32 v9, s17
	v_and_b32_e32 v5, 15, v0
	v_mbcnt_lo_u32_b32 v0, -1, 0
	s_load_dwordx2 s[6:7], s[0:1], 0x28
	v_rcp_iflag_f32_e32 v10, v9
	v_mbcnt_hi_u32_b32 v0, -1, v0
	v_lshlrev_b32_e32 v0, 2, v0
	s_sub_i32 s2, 0, s17
	v_mul_f32_e32 v10, 0x4f7ffffe, v10
	v_cvt_u32_f32_e32 v11, v10
	v_or_b32_e32 v9, 60, v0
	v_or_b32_e32 v10, 0x7c, v0
	v_mov_b32_e32 v8, 0
	v_mul_lo_u32 v0, s2, v11
	v_mul_hi_u32 v0, v11, v0
	s_ashr_i32 s18, s11, 31
	v_add_u32_e32 v11, v11, v0
	s_mov_b64 s[10:11], 0
	v_mov_b32_e32 v12, 1
	v_mov_b32_e32 v14, 0
	s_branch .LBB5_7
.LBB5_6:                                ;   in Loop: Header=BB5_7 Depth=1
	s_or_b64 exec, exec, s[2:3]
	v_mov_b32_dpp v0, v13 row_shr:1 row_mask:0xf bank_mask:0xf
	v_min_i32_e32 v0, v0, v13
	s_waitcnt lgkmcnt(0)
	s_nop 0
	v_mov_b32_dpp v13, v0 row_shr:2 row_mask:0xf bank_mask:0xf
	v_min_i32_e32 v0, v13, v0
	s_nop 1
	v_mov_b32_dpp v13, v0 row_shr:4 row_mask:0xf bank_mask:0xe
	v_min_i32_e32 v0, v13, v0
	;; [unrolled: 3-line block ×3, first 2 shown]
	s_nop 1
	v_mov_b32_dpp v13, v0 row_bcast:15 row_mask:0xa bank_mask:0xf
	v_min_i32_e32 v0, v13, v0
	ds_bpermute_b32 v14, v10, v0
	s_waitcnt lgkmcnt(0)
	v_cmp_le_i32_e64 s[2:3], s9, v14
	s_or_b64 s[10:11], s[2:3], s[10:11]
	s_andn2_b64 exec, exec, s[10:11]
	s_cbranch_execz .LBB5_17
.LBB5_7:                                ; =>This Loop Header: Depth=1
                                        ;     Child Loop BB5_10 Depth 2
	v_add_u32_e32 v0, v1, v5
	v_cmp_lt_i32_e64 s[2:3], v0, v7
	v_mov_b32_e32 v13, s9
	v_mov_b32_e32 v15, v7
	ds_write_b8 v3, v8 offset:32
	s_waitcnt lgkmcnt(0)
	s_and_saveexec_b64 s[12:13], s[2:3]
	s_cbranch_execz .LBB5_15
; %bb.8:                                ;   in Loop: Header=BB5_7 Depth=1
	s_mov_b64 s[14:15], 0
	v_mov_b32_e32 v13, s9
	v_mov_b32_e32 v15, v7
	s_branch .LBB5_10
.LBB5_9:                                ;   in Loop: Header=BB5_10 Depth=2
	s_or_b64 exec, exec, s[4:5]
	v_add_u32_e32 v0, 16, v0
	v_cmp_ge_i32_e64 s[4:5], v0, v7
	s_xor_b64 s[2:3], s[2:3], -1
	s_or_b64 s[2:3], s[2:3], s[4:5]
	s_and_b64 s[2:3], exec, s[2:3]
	s_or_b64 s[14:15], s[2:3], s[14:15]
	s_andn2_b64 exec, exec, s[14:15]
	s_cbranch_execz .LBB5_14
.LBB5_10:                               ;   Parent Loop BB5_7 Depth=1
                                        ; =>  This Inner Loop Header: Depth=2
	v_ashrrev_i32_e32 v1, 31, v0
	v_lshl_add_u64 v[16:17], v[0:1], 2, s[6:7]
	global_load_dword v1, v[16:17], off
	s_waitcnt vmcnt(0)
	v_subrev_u32_e32 v1, s16, v1
	v_sub_u32_e32 v17, 0, v1
	v_ashrrev_i32_e32 v16, 31, v1
	v_max_i32_e32 v1, v1, v17
	v_mul_hi_u32 v17, v1, v11
	v_mul_lo_u32 v18, v17, s17
	v_sub_u32_e32 v1, v1, v18
	v_add_u32_e32 v19, 1, v17
	v_cmp_le_u32_e64 s[2:3], s17, v1
	v_subrev_u32_e32 v18, s17, v1
	v_xor_b32_e32 v16, s18, v16
	v_cndmask_b32_e64 v17, v17, v19, s[2:3]
	v_cndmask_b32_e64 v1, v1, v18, s[2:3]
	v_add_u32_e32 v18, 1, v17
	v_cmp_le_u32_e64 s[2:3], s17, v1
	s_nop 1
	v_cndmask_b32_e64 v1, v17, v18, s[2:3]
	v_xor_b32_e32 v1, v1, v16
	v_sub_u32_e32 v16, v1, v16
	v_cmp_eq_u32_e64 s[2:3], v16, v14
	v_cmp_ne_u32_e64 s[4:5], v16, v14
	v_mov_b32_e32 v1, v15
	s_and_saveexec_b64 s[20:21], s[4:5]
	s_xor_b64 s[4:5], exec, s[20:21]
; %bb.11:                               ;   in Loop: Header=BB5_10 Depth=2
	v_min_i32_e32 v13, v16, v13
                                        ; implicit-def: $vgpr1
; %bb.12:                               ;   in Loop: Header=BB5_10 Depth=2
	s_or_saveexec_b64 s[4:5], s[4:5]
	v_mov_b32_e32 v15, v0
	s_xor_b64 exec, exec, s[4:5]
	s_cbranch_execz .LBB5_9
; %bb.13:                               ;   in Loop: Header=BB5_10 Depth=2
	v_mov_b32_e32 v15, v1
	ds_write_b8 v3, v12 offset:32
	s_branch .LBB5_9
.LBB5_14:                               ;   in Loop: Header=BB5_7 Depth=1
	s_or_b64 exec, exec, s[14:15]
.LBB5_15:                               ;   in Loop: Header=BB5_7 Depth=1
	s_or_b64 exec, exec, s[12:13]
	v_mov_b32_dpp v0, v15 row_shr:1 row_mask:0xf bank_mask:0xf
	v_min_i32_e32 v0, v0, v15
	s_waitcnt lgkmcnt(0)
	ds_read_u8 v14, v3 offset:32
	v_mov_b32_dpp v1, v0 row_shr:2 row_mask:0xf bank_mask:0xf
	v_min_i32_e32 v0, v1, v0
	s_nop 1
	v_mov_b32_dpp v1, v0 row_shr:4 row_mask:0xf bank_mask:0xe
	v_min_i32_e32 v0, v1, v0
	s_nop 1
	v_mov_b32_dpp v1, v0 row_shr:8 row_mask:0xf bank_mask:0xc
	v_min_i32_e32 v0, v1, v0
	ds_bpermute_b32 v1, v9, v0
	s_waitcnt lgkmcnt(1)
	v_and_b32_e32 v0, 1, v14
	v_cmp_eq_u32_e64 s[2:3], 1, v0
	s_and_b64 s[4:5], vcc, s[2:3]
	s_and_saveexec_b64 s[2:3], s[4:5]
	s_cbranch_execz .LBB5_6
; %bb.16:                               ;   in Loop: Header=BB5_7 Depth=1
	ds_read_b32 v0, v6
	s_waitcnt lgkmcnt(0)
	v_add_u32_e32 v0, 1, v0
	ds_write_b32 v6, v0
	s_branch .LBB5_6
.LBB5_17:
	s_or_b64 exec, exec, s[10:11]
.LBB5_18:
	v_cmp_eq_u32_e32 vcc, 0, v4
	s_and_saveexec_b64 s[2:3], vcc
	s_cbranch_execz .LBB5_21
; %bb.19:
	s_load_dword s4, s[0:1], 0x30
	s_load_dwordx2 s[2:3], s[0:1], 0x38
	v_mov_b32_e32 v3, 0
	v_cmp_gt_u32_e32 vcc, s8, v2
	s_waitcnt lgkmcnt(0)
	v_mov_b32_e32 v0, s4
	global_store_dword v3, v0, s[2:3]
	s_and_b64 exec, exec, vcc
	s_cbranch_execz .LBB5_21
; %bb.20:
	ds_read_b32 v4, v6
	v_lshl_add_u64 v[0:1], v[2:3], 2, s[2:3]
	s_waitcnt lgkmcnt(0)
	global_store_dword v[0:1], v4, off offset:4
.LBB5_21:
	s_endpgm
	.section	.rodata,"a",@progbits
	.p2align	6, 0x0
	.amdhsa_kernel _ZN9rocsparseL48csr2gebsr_nnz_wavefront_per_row_multipass_kernelILj256ELj2ELi32EEEviiiiii21rocsparse_index_base_PKiS3_S1_Pi
		.amdhsa_group_segment_fixed_size 40
		.amdhsa_private_segment_fixed_size 0
		.amdhsa_kernarg_size 64
		.amdhsa_user_sgpr_count 2
		.amdhsa_user_sgpr_dispatch_ptr 0
		.amdhsa_user_sgpr_queue_ptr 0
		.amdhsa_user_sgpr_kernarg_segment_ptr 1
		.amdhsa_user_sgpr_dispatch_id 0
		.amdhsa_user_sgpr_kernarg_preload_length 0
		.amdhsa_user_sgpr_kernarg_preload_offset 0
		.amdhsa_user_sgpr_private_segment_size 0
		.amdhsa_uses_dynamic_stack 0
		.amdhsa_enable_private_segment 0
		.amdhsa_system_sgpr_workgroup_id_x 1
		.amdhsa_system_sgpr_workgroup_id_y 0
		.amdhsa_system_sgpr_workgroup_id_z 0
		.amdhsa_system_sgpr_workgroup_info 0
		.amdhsa_system_vgpr_workitem_id 0
		.amdhsa_next_free_vgpr 20
		.amdhsa_next_free_sgpr 22
		.amdhsa_accum_offset 20
		.amdhsa_reserve_vcc 1
		.amdhsa_float_round_mode_32 0
		.amdhsa_float_round_mode_16_64 0
		.amdhsa_float_denorm_mode_32 3
		.amdhsa_float_denorm_mode_16_64 3
		.amdhsa_dx10_clamp 1
		.amdhsa_ieee_mode 1
		.amdhsa_fp16_overflow 0
		.amdhsa_tg_split 0
		.amdhsa_exception_fp_ieee_invalid_op 0
		.amdhsa_exception_fp_denorm_src 0
		.amdhsa_exception_fp_ieee_div_zero 0
		.amdhsa_exception_fp_ieee_overflow 0
		.amdhsa_exception_fp_ieee_underflow 0
		.amdhsa_exception_fp_ieee_inexact 0
		.amdhsa_exception_int_div_zero 0
	.end_amdhsa_kernel
	.section	.text._ZN9rocsparseL48csr2gebsr_nnz_wavefront_per_row_multipass_kernelILj256ELj2ELi32EEEviiiiii21rocsparse_index_base_PKiS3_S1_Pi,"axG",@progbits,_ZN9rocsparseL48csr2gebsr_nnz_wavefront_per_row_multipass_kernelILj256ELj2ELi32EEEviiiiii21rocsparse_index_base_PKiS3_S1_Pi,comdat
.Lfunc_end5:
	.size	_ZN9rocsparseL48csr2gebsr_nnz_wavefront_per_row_multipass_kernelILj256ELj2ELi32EEEviiiiii21rocsparse_index_base_PKiS3_S1_Pi, .Lfunc_end5-_ZN9rocsparseL48csr2gebsr_nnz_wavefront_per_row_multipass_kernelILj256ELj2ELi32EEEviiiiii21rocsparse_index_base_PKiS3_S1_Pi
                                        ; -- End function
	.section	.AMDGPU.csdata,"",@progbits
; Kernel info:
; codeLenInByte = 960
; NumSgprs: 28
; NumVgprs: 20
; NumAgprs: 0
; TotalNumVgprs: 20
; ScratchSize: 0
; MemoryBound: 0
; FloatMode: 240
; IeeeMode: 1
; LDSByteSize: 40 bytes/workgroup (compile time only)
; SGPRBlocks: 3
; VGPRBlocks: 2
; NumSGPRsForWavesPerEU: 28
; NumVGPRsForWavesPerEU: 20
; AccumOffset: 20
; Occupancy: 8
; WaveLimiterHint : 0
; COMPUTE_PGM_RSRC2:SCRATCH_EN: 0
; COMPUTE_PGM_RSRC2:USER_SGPR: 2
; COMPUTE_PGM_RSRC2:TRAP_HANDLER: 0
; COMPUTE_PGM_RSRC2:TGID_X_EN: 1
; COMPUTE_PGM_RSRC2:TGID_Y_EN: 0
; COMPUTE_PGM_RSRC2:TGID_Z_EN: 0
; COMPUTE_PGM_RSRC2:TIDIG_COMP_CNT: 0
; COMPUTE_PGM_RSRC3_GFX90A:ACCUM_OFFSET: 4
; COMPUTE_PGM_RSRC3_GFX90A:TG_SPLIT: 0
	.section	.text._ZN9rocsparseL48csr2gebsr_nnz_wavefront_per_row_multipass_kernelILj256ELj2ELi64EEEviiiiii21rocsparse_index_base_PKiS3_S1_Pi,"axG",@progbits,_ZN9rocsparseL48csr2gebsr_nnz_wavefront_per_row_multipass_kernelILj256ELj2ELi64EEEviiiiii21rocsparse_index_base_PKiS3_S1_Pi,comdat
	.globl	_ZN9rocsparseL48csr2gebsr_nnz_wavefront_per_row_multipass_kernelILj256ELj2ELi64EEEviiiiii21rocsparse_index_base_PKiS3_S1_Pi ; -- Begin function _ZN9rocsparseL48csr2gebsr_nnz_wavefront_per_row_multipass_kernelILj256ELj2ELi64EEEviiiiii21rocsparse_index_base_PKiS3_S1_Pi
	.p2align	8
	.type	_ZN9rocsparseL48csr2gebsr_nnz_wavefront_per_row_multipass_kernelILj256ELj2ELi64EEEviiiiii21rocsparse_index_base_PKiS3_S1_Pi,@function
_ZN9rocsparseL48csr2gebsr_nnz_wavefront_per_row_multipass_kernelILj256ELj2ELi64EEEviiiiii21rocsparse_index_base_PKiS3_S1_Pi: ; @_ZN9rocsparseL48csr2gebsr_nnz_wavefront_per_row_multipass_kernelILj256ELj2ELi64EEEviiiiii21rocsparse_index_base_PKiS3_S1_Pi
; %bb.0:
	s_load_dword s6, s[0:1], 0x0
	s_load_dwordx4 s[8:11], s[0:1], 0x8
	s_load_dword s16, s[0:1], 0x18
	s_load_dwordx2 s[4:5], s[0:1], 0x20
	v_lshrrev_b32_e32 v3, 6, v0
	v_bfe_u32 v8, v0, 5, 1
	v_lshl_or_b32 v2, s2, 2, v3
	s_waitcnt lgkmcnt(0)
	v_mad_u64_u32 v[4:5], s[2:3], v2, s10, v[8:9]
	v_cmp_gt_i32_e32 vcc, s6, v4
	v_cmp_gt_i32_e64 s[2:3], s10, v8
	v_lshlrev_b32_e32 v6, 2, v3
	v_mov_b32_e32 v7, 0
	s_and_b64 s[2:3], s[2:3], vcc
	v_mov_b32_e32 v1, 0
	ds_write_b32 v6, v7
	s_waitcnt lgkmcnt(0)
	s_barrier
	s_and_saveexec_b64 s[6:7], s[2:3]
	s_cbranch_execz .LBB6_2
; %bb.1:
	v_ashrrev_i32_e32 v5, 31, v4
	v_lshl_add_u64 v[8:9], v[4:5], 2, s[4:5]
	global_load_dword v1, v[8:9], off
	s_waitcnt vmcnt(0)
	v_subrev_u32_e32 v1, s16, v1
.LBB6_2:
	s_or_b64 exec, exec, s[6:7]
	s_and_saveexec_b64 s[6:7], s[2:3]
	s_cbranch_execz .LBB6_4
; %bb.3:
	v_ashrrev_i32_e32 v5, 31, v4
	v_lshl_add_u64 v[4:5], v[4:5], 2, s[4:5]
	global_load_dword v4, v[4:5], off offset:4
	s_waitcnt vmcnt(0)
	v_subrev_u32_e32 v7, s16, v4
.LBB6_4:
	s_or_b64 exec, exec, s[6:7]
	v_and_b32_e32 v4, 63, v0
	s_cmp_lt_i32 s9, 1
	v_cmp_eq_u32_e32 vcc, 0, v4
	s_cbranch_scc1 .LBB6_18
; %bb.5:
	s_abs_i32 s17, s11
	v_cvt_f32_u32_e32 v9, s17
	v_and_b32_e32 v5, 31, v0
	v_mbcnt_lo_u32_b32 v0, -1, 0
	s_load_dwordx2 s[6:7], s[0:1], 0x28
	v_rcp_iflag_f32_e32 v10, v9
	v_mbcnt_hi_u32_b32 v0, -1, v0
	v_lshlrev_b32_e32 v0, 2, v0
	s_sub_i32 s2, 0, s17
	v_mul_f32_e32 v10, 0x4f7ffffe, v10
	v_cvt_u32_f32_e32 v11, v10
	v_or_b32_e32 v9, 0x7c, v0
	v_or_b32_e32 v10, 0xfc, v0
	v_mov_b32_e32 v8, 0
	v_mul_lo_u32 v0, s2, v11
	v_mul_hi_u32 v0, v11, v0
	s_ashr_i32 s18, s11, 31
	v_add_u32_e32 v11, v11, v0
	s_mov_b64 s[10:11], 0
	v_mov_b32_e32 v12, 1
	v_mov_b32_e32 v14, 0
	s_branch .LBB6_7
.LBB6_6:                                ;   in Loop: Header=BB6_7 Depth=1
	s_or_b64 exec, exec, s[2:3]
	v_mov_b32_dpp v0, v13 row_shr:1 row_mask:0xf bank_mask:0xf
	v_min_i32_e32 v0, v0, v13
	s_waitcnt lgkmcnt(0)
	s_nop 0
	v_mov_b32_dpp v13, v0 row_shr:2 row_mask:0xf bank_mask:0xf
	v_min_i32_e32 v0, v13, v0
	s_nop 1
	v_mov_b32_dpp v13, v0 row_shr:4 row_mask:0xf bank_mask:0xe
	v_min_i32_e32 v0, v13, v0
	;; [unrolled: 3-line block ×3, first 2 shown]
	s_nop 1
	v_mov_b32_dpp v13, v0 row_bcast:15 row_mask:0xa bank_mask:0xf
	v_min_i32_e32 v0, v13, v0
	s_nop 1
	v_mov_b32_dpp v13, v0 row_bcast:31 row_mask:0xc bank_mask:0xf
	v_min_i32_e32 v0, v13, v0
	ds_bpermute_b32 v14, v10, v0
	s_waitcnt lgkmcnt(0)
	v_cmp_le_i32_e64 s[2:3], s9, v14
	s_or_b64 s[10:11], s[2:3], s[10:11]
	s_andn2_b64 exec, exec, s[10:11]
	s_cbranch_execz .LBB6_17
.LBB6_7:                                ; =>This Loop Header: Depth=1
                                        ;     Child Loop BB6_10 Depth 2
	v_add_u32_e32 v0, v1, v5
	v_cmp_lt_i32_e64 s[2:3], v0, v7
	v_mov_b32_e32 v13, s9
	v_mov_b32_e32 v15, v7
	ds_write_b8 v3, v8 offset:16
	s_waitcnt lgkmcnt(0)
	s_and_saveexec_b64 s[12:13], s[2:3]
	s_cbranch_execz .LBB6_15
; %bb.8:                                ;   in Loop: Header=BB6_7 Depth=1
	s_mov_b64 s[14:15], 0
	v_mov_b32_e32 v13, s9
	v_mov_b32_e32 v15, v7
	s_branch .LBB6_10
.LBB6_9:                                ;   in Loop: Header=BB6_10 Depth=2
	s_or_b64 exec, exec, s[4:5]
	v_add_u32_e32 v0, 32, v0
	v_cmp_ge_i32_e64 s[4:5], v0, v7
	s_xor_b64 s[2:3], s[2:3], -1
	s_or_b64 s[2:3], s[2:3], s[4:5]
	s_and_b64 s[2:3], exec, s[2:3]
	s_or_b64 s[14:15], s[2:3], s[14:15]
	s_andn2_b64 exec, exec, s[14:15]
	s_cbranch_execz .LBB6_14
.LBB6_10:                               ;   Parent Loop BB6_7 Depth=1
                                        ; =>  This Inner Loop Header: Depth=2
	v_ashrrev_i32_e32 v1, 31, v0
	v_lshl_add_u64 v[16:17], v[0:1], 2, s[6:7]
	global_load_dword v1, v[16:17], off
	s_waitcnt vmcnt(0)
	v_subrev_u32_e32 v1, s16, v1
	v_sub_u32_e32 v17, 0, v1
	v_ashrrev_i32_e32 v16, 31, v1
	v_max_i32_e32 v1, v1, v17
	v_mul_hi_u32 v17, v1, v11
	v_mul_lo_u32 v18, v17, s17
	v_sub_u32_e32 v1, v1, v18
	v_add_u32_e32 v19, 1, v17
	v_cmp_le_u32_e64 s[2:3], s17, v1
	v_subrev_u32_e32 v18, s17, v1
	v_xor_b32_e32 v16, s18, v16
	v_cndmask_b32_e64 v17, v17, v19, s[2:3]
	v_cndmask_b32_e64 v1, v1, v18, s[2:3]
	v_add_u32_e32 v18, 1, v17
	v_cmp_le_u32_e64 s[2:3], s17, v1
	s_nop 1
	v_cndmask_b32_e64 v1, v17, v18, s[2:3]
	v_xor_b32_e32 v1, v1, v16
	v_sub_u32_e32 v16, v1, v16
	v_cmp_eq_u32_e64 s[2:3], v16, v14
	v_cmp_ne_u32_e64 s[4:5], v16, v14
	v_mov_b32_e32 v1, v15
	s_and_saveexec_b64 s[20:21], s[4:5]
	s_xor_b64 s[4:5], exec, s[20:21]
; %bb.11:                               ;   in Loop: Header=BB6_10 Depth=2
	v_min_i32_e32 v13, v16, v13
                                        ; implicit-def: $vgpr1
; %bb.12:                               ;   in Loop: Header=BB6_10 Depth=2
	s_or_saveexec_b64 s[4:5], s[4:5]
	v_mov_b32_e32 v15, v0
	s_xor_b64 exec, exec, s[4:5]
	s_cbranch_execz .LBB6_9
; %bb.13:                               ;   in Loop: Header=BB6_10 Depth=2
	v_mov_b32_e32 v15, v1
	ds_write_b8 v3, v12 offset:16
	s_branch .LBB6_9
.LBB6_14:                               ;   in Loop: Header=BB6_7 Depth=1
	s_or_b64 exec, exec, s[14:15]
.LBB6_15:                               ;   in Loop: Header=BB6_7 Depth=1
	s_or_b64 exec, exec, s[12:13]
	v_mov_b32_dpp v0, v15 row_shr:1 row_mask:0xf bank_mask:0xf
	v_min_i32_e32 v0, v0, v15
	s_waitcnt lgkmcnt(0)
	ds_read_u8 v14, v3 offset:16
	v_mov_b32_dpp v1, v0 row_shr:2 row_mask:0xf bank_mask:0xf
	v_min_i32_e32 v0, v1, v0
	s_nop 1
	v_mov_b32_dpp v1, v0 row_shr:4 row_mask:0xf bank_mask:0xe
	v_min_i32_e32 v0, v1, v0
	s_nop 1
	;; [unrolled: 3-line block ×3, first 2 shown]
	v_mov_b32_dpp v1, v0 row_bcast:15 row_mask:0xa bank_mask:0xf
	v_min_i32_e32 v0, v1, v0
	ds_bpermute_b32 v1, v9, v0
	s_waitcnt lgkmcnt(1)
	v_and_b32_e32 v0, 1, v14
	v_cmp_eq_u32_e64 s[2:3], 1, v0
	s_and_b64 s[4:5], vcc, s[2:3]
	s_and_saveexec_b64 s[2:3], s[4:5]
	s_cbranch_execz .LBB6_6
; %bb.16:                               ;   in Loop: Header=BB6_7 Depth=1
	ds_read_b32 v0, v6
	s_waitcnt lgkmcnt(0)
	v_add_u32_e32 v0, 1, v0
	ds_write_b32 v6, v0
	s_branch .LBB6_6
.LBB6_17:
	s_or_b64 exec, exec, s[10:11]
.LBB6_18:
	v_cmp_eq_u32_e32 vcc, 0, v4
	s_and_saveexec_b64 s[2:3], vcc
	s_cbranch_execz .LBB6_21
; %bb.19:
	s_load_dword s4, s[0:1], 0x30
	s_load_dwordx2 s[2:3], s[0:1], 0x38
	v_mov_b32_e32 v3, 0
	v_cmp_gt_u32_e32 vcc, s8, v2
	s_waitcnt lgkmcnt(0)
	v_mov_b32_e32 v0, s4
	global_store_dword v3, v0, s[2:3]
	s_and_b64 exec, exec, vcc
	s_cbranch_execz .LBB6_21
; %bb.20:
	ds_read_b32 v4, v6
	v_lshl_add_u64 v[0:1], v[2:3], 2, s[2:3]
	s_waitcnt lgkmcnt(0)
	global_store_dword v[0:1], v4, off offset:4
.LBB6_21:
	s_endpgm
	.section	.rodata,"a",@progbits
	.p2align	6, 0x0
	.amdhsa_kernel _ZN9rocsparseL48csr2gebsr_nnz_wavefront_per_row_multipass_kernelILj256ELj2ELi64EEEviiiiii21rocsparse_index_base_PKiS3_S1_Pi
		.amdhsa_group_segment_fixed_size 20
		.amdhsa_private_segment_fixed_size 0
		.amdhsa_kernarg_size 64
		.amdhsa_user_sgpr_count 2
		.amdhsa_user_sgpr_dispatch_ptr 0
		.amdhsa_user_sgpr_queue_ptr 0
		.amdhsa_user_sgpr_kernarg_segment_ptr 1
		.amdhsa_user_sgpr_dispatch_id 0
		.amdhsa_user_sgpr_kernarg_preload_length 0
		.amdhsa_user_sgpr_kernarg_preload_offset 0
		.amdhsa_user_sgpr_private_segment_size 0
		.amdhsa_uses_dynamic_stack 0
		.amdhsa_enable_private_segment 0
		.amdhsa_system_sgpr_workgroup_id_x 1
		.amdhsa_system_sgpr_workgroup_id_y 0
		.amdhsa_system_sgpr_workgroup_id_z 0
		.amdhsa_system_sgpr_workgroup_info 0
		.amdhsa_system_vgpr_workitem_id 0
		.amdhsa_next_free_vgpr 20
		.amdhsa_next_free_sgpr 22
		.amdhsa_accum_offset 20
		.amdhsa_reserve_vcc 1
		.amdhsa_float_round_mode_32 0
		.amdhsa_float_round_mode_16_64 0
		.amdhsa_float_denorm_mode_32 3
		.amdhsa_float_denorm_mode_16_64 3
		.amdhsa_dx10_clamp 1
		.amdhsa_ieee_mode 1
		.amdhsa_fp16_overflow 0
		.amdhsa_tg_split 0
		.amdhsa_exception_fp_ieee_invalid_op 0
		.amdhsa_exception_fp_denorm_src 0
		.amdhsa_exception_fp_ieee_div_zero 0
		.amdhsa_exception_fp_ieee_overflow 0
		.amdhsa_exception_fp_ieee_underflow 0
		.amdhsa_exception_fp_ieee_inexact 0
		.amdhsa_exception_int_div_zero 0
	.end_amdhsa_kernel
	.section	.text._ZN9rocsparseL48csr2gebsr_nnz_wavefront_per_row_multipass_kernelILj256ELj2ELi64EEEviiiiii21rocsparse_index_base_PKiS3_S1_Pi,"axG",@progbits,_ZN9rocsparseL48csr2gebsr_nnz_wavefront_per_row_multipass_kernelILj256ELj2ELi64EEEviiiiii21rocsparse_index_base_PKiS3_S1_Pi,comdat
.Lfunc_end6:
	.size	_ZN9rocsparseL48csr2gebsr_nnz_wavefront_per_row_multipass_kernelILj256ELj2ELi64EEEviiiiii21rocsparse_index_base_PKiS3_S1_Pi, .Lfunc_end6-_ZN9rocsparseL48csr2gebsr_nnz_wavefront_per_row_multipass_kernelILj256ELj2ELi64EEEviiiiii21rocsparse_index_base_PKiS3_S1_Pi
                                        ; -- End function
	.section	.AMDGPU.csdata,"",@progbits
; Kernel info:
; codeLenInByte = 996
; NumSgprs: 28
; NumVgprs: 20
; NumAgprs: 0
; TotalNumVgprs: 20
; ScratchSize: 0
; MemoryBound: 0
; FloatMode: 240
; IeeeMode: 1
; LDSByteSize: 20 bytes/workgroup (compile time only)
; SGPRBlocks: 3
; VGPRBlocks: 2
; NumSGPRsForWavesPerEU: 28
; NumVGPRsForWavesPerEU: 20
; AccumOffset: 20
; Occupancy: 8
; WaveLimiterHint : 0
; COMPUTE_PGM_RSRC2:SCRATCH_EN: 0
; COMPUTE_PGM_RSRC2:USER_SGPR: 2
; COMPUTE_PGM_RSRC2:TRAP_HANDLER: 0
; COMPUTE_PGM_RSRC2:TGID_X_EN: 1
; COMPUTE_PGM_RSRC2:TGID_Y_EN: 0
; COMPUTE_PGM_RSRC2:TGID_Z_EN: 0
; COMPUTE_PGM_RSRC2:TIDIG_COMP_CNT: 0
; COMPUTE_PGM_RSRC3_GFX90A:ACCUM_OFFSET: 4
; COMPUTE_PGM_RSRC3_GFX90A:TG_SPLIT: 0
	.section	.text._ZN9rocsparseL48csr2gebsr_nnz_wavefront_per_row_multipass_kernelILj256ELj4ELi8EEEviiiiii21rocsparse_index_base_PKiS3_S1_Pi,"axG",@progbits,_ZN9rocsparseL48csr2gebsr_nnz_wavefront_per_row_multipass_kernelILj256ELj4ELi8EEEviiiiii21rocsparse_index_base_PKiS3_S1_Pi,comdat
	.globl	_ZN9rocsparseL48csr2gebsr_nnz_wavefront_per_row_multipass_kernelILj256ELj4ELi8EEEviiiiii21rocsparse_index_base_PKiS3_S1_Pi ; -- Begin function _ZN9rocsparseL48csr2gebsr_nnz_wavefront_per_row_multipass_kernelILj256ELj4ELi8EEEviiiiii21rocsparse_index_base_PKiS3_S1_Pi
	.p2align	8
	.type	_ZN9rocsparseL48csr2gebsr_nnz_wavefront_per_row_multipass_kernelILj256ELj4ELi8EEEviiiiii21rocsparse_index_base_PKiS3_S1_Pi,@function
_ZN9rocsparseL48csr2gebsr_nnz_wavefront_per_row_multipass_kernelILj256ELj4ELi8EEEviiiiii21rocsparse_index_base_PKiS3_S1_Pi: ; @_ZN9rocsparseL48csr2gebsr_nnz_wavefront_per_row_multipass_kernelILj256ELj4ELi8EEEviiiiii21rocsparse_index_base_PKiS3_S1_Pi
; %bb.0:
	s_load_dword s6, s[0:1], 0x0
	s_load_dwordx4 s[8:11], s[0:1], 0x8
	s_load_dword s16, s[0:1], 0x18
	s_load_dwordx2 s[4:5], s[0:1], 0x20
	v_lshrrev_b32_e32 v3, 3, v0
	v_bfe_u32 v8, v0, 1, 2
	v_lshl_or_b32 v2, s2, 5, v3
	s_waitcnt lgkmcnt(0)
	v_mad_u64_u32 v[4:5], s[2:3], v2, s10, v[8:9]
	v_cmp_gt_i32_e32 vcc, s6, v4
	v_cmp_gt_i32_e64 s[2:3], s10, v8
	v_lshlrev_b32_e32 v6, 2, v3
	v_mov_b32_e32 v7, 0
	s_and_b64 s[2:3], s[2:3], vcc
	v_mov_b32_e32 v1, 0
	ds_write_b32 v6, v7
	s_waitcnt lgkmcnt(0)
	s_barrier
	s_and_saveexec_b64 s[6:7], s[2:3]
	s_cbranch_execz .LBB7_2
; %bb.1:
	v_ashrrev_i32_e32 v5, 31, v4
	v_lshl_add_u64 v[8:9], v[4:5], 2, s[4:5]
	global_load_dword v1, v[8:9], off
	s_waitcnt vmcnt(0)
	v_subrev_u32_e32 v1, s16, v1
.LBB7_2:
	s_or_b64 exec, exec, s[6:7]
	s_and_saveexec_b64 s[6:7], s[2:3]
	s_cbranch_execz .LBB7_4
; %bb.3:
	v_ashrrev_i32_e32 v5, 31, v4
	v_lshl_add_u64 v[4:5], v[4:5], 2, s[4:5]
	global_load_dword v4, v[4:5], off offset:4
	s_waitcnt vmcnt(0)
	v_subrev_u32_e32 v7, s16, v4
.LBB7_4:
	s_or_b64 exec, exec, s[6:7]
	v_and_b32_e32 v4, 7, v0
	s_cmp_lt_i32 s9, 1
	v_cmp_eq_u32_e32 vcc, 0, v4
	s_cbranch_scc1 .LBB7_18
; %bb.5:
	s_abs_i32 s17, s11
	v_cvt_f32_u32_e32 v9, s17
	v_and_b32_e32 v5, 1, v0
	v_mbcnt_lo_u32_b32 v0, -1, 0
	s_load_dwordx2 s[6:7], s[0:1], 0x28
	v_rcp_iflag_f32_e32 v10, v9
	v_mbcnt_hi_u32_b32 v0, -1, v0
	v_lshlrev_b32_e32 v0, 2, v0
	s_sub_i32 s2, 0, s17
	v_mul_f32_e32 v10, 0x4f7ffffe, v10
	v_cvt_u32_f32_e32 v11, v10
	v_or_b32_e32 v9, 4, v0
	v_or_b32_e32 v10, 28, v0
	v_mov_b32_e32 v8, 0
	v_mul_lo_u32 v0, s2, v11
	v_mul_hi_u32 v0, v11, v0
	s_ashr_i32 s18, s11, 31
	v_add_u32_e32 v11, v11, v0
	s_mov_b64 s[10:11], 0
	v_mov_b32_e32 v12, 1
	v_mov_b32_e32 v14, 0
	s_branch .LBB7_7
.LBB7_6:                                ;   in Loop: Header=BB7_7 Depth=1
	s_or_b64 exec, exec, s[2:3]
	v_mov_b32_dpp v0, v13 row_shr:1 row_mask:0xf bank_mask:0xf
	v_min_i32_e32 v0, v0, v13
	s_waitcnt lgkmcnt(0)
	s_nop 0
	v_mov_b32_dpp v13, v0 row_shr:2 row_mask:0xf bank_mask:0xf
	v_min_i32_e32 v0, v13, v0
	s_nop 1
	v_mov_b32_dpp v13, v0 row_shr:4 row_mask:0xf bank_mask:0xe
	v_min_i32_e32 v0, v13, v0
	ds_bpermute_b32 v14, v10, v0
	s_waitcnt lgkmcnt(0)
	v_cmp_le_i32_e64 s[2:3], s9, v14
	s_or_b64 s[10:11], s[2:3], s[10:11]
	s_andn2_b64 exec, exec, s[10:11]
	s_cbranch_execz .LBB7_17
.LBB7_7:                                ; =>This Loop Header: Depth=1
                                        ;     Child Loop BB7_10 Depth 2
	v_add_u32_e32 v0, v1, v5
	v_cmp_lt_i32_e64 s[2:3], v0, v7
	v_mov_b32_e32 v13, s9
	v_mov_b32_e32 v15, v7
	ds_write_b8 v3, v8 offset:128
	s_waitcnt lgkmcnt(0)
	s_and_saveexec_b64 s[12:13], s[2:3]
	s_cbranch_execz .LBB7_15
; %bb.8:                                ;   in Loop: Header=BB7_7 Depth=1
	s_mov_b64 s[14:15], 0
	v_mov_b32_e32 v13, s9
	v_mov_b32_e32 v15, v7
	s_branch .LBB7_10
.LBB7_9:                                ;   in Loop: Header=BB7_10 Depth=2
	s_or_b64 exec, exec, s[4:5]
	v_add_u32_e32 v0, 2, v0
	v_cmp_ge_i32_e64 s[4:5], v0, v7
	s_xor_b64 s[2:3], s[2:3], -1
	s_or_b64 s[2:3], s[2:3], s[4:5]
	s_and_b64 s[2:3], exec, s[2:3]
	s_or_b64 s[14:15], s[2:3], s[14:15]
	s_andn2_b64 exec, exec, s[14:15]
	s_cbranch_execz .LBB7_14
.LBB7_10:                               ;   Parent Loop BB7_7 Depth=1
                                        ; =>  This Inner Loop Header: Depth=2
	v_ashrrev_i32_e32 v1, 31, v0
	v_lshl_add_u64 v[16:17], v[0:1], 2, s[6:7]
	global_load_dword v1, v[16:17], off
	s_waitcnt vmcnt(0)
	v_subrev_u32_e32 v1, s16, v1
	v_sub_u32_e32 v17, 0, v1
	v_ashrrev_i32_e32 v16, 31, v1
	v_max_i32_e32 v1, v1, v17
	v_mul_hi_u32 v17, v1, v11
	v_mul_lo_u32 v18, v17, s17
	v_sub_u32_e32 v1, v1, v18
	v_add_u32_e32 v19, 1, v17
	v_cmp_le_u32_e64 s[2:3], s17, v1
	v_subrev_u32_e32 v18, s17, v1
	v_xor_b32_e32 v16, s18, v16
	v_cndmask_b32_e64 v17, v17, v19, s[2:3]
	v_cndmask_b32_e64 v1, v1, v18, s[2:3]
	v_add_u32_e32 v18, 1, v17
	v_cmp_le_u32_e64 s[2:3], s17, v1
	s_nop 1
	v_cndmask_b32_e64 v1, v17, v18, s[2:3]
	v_xor_b32_e32 v1, v1, v16
	v_sub_u32_e32 v16, v1, v16
	v_cmp_eq_u32_e64 s[2:3], v16, v14
	v_cmp_ne_u32_e64 s[4:5], v16, v14
	v_mov_b32_e32 v1, v15
	s_and_saveexec_b64 s[20:21], s[4:5]
	s_xor_b64 s[4:5], exec, s[20:21]
; %bb.11:                               ;   in Loop: Header=BB7_10 Depth=2
	v_min_i32_e32 v13, v16, v13
                                        ; implicit-def: $vgpr1
; %bb.12:                               ;   in Loop: Header=BB7_10 Depth=2
	s_or_saveexec_b64 s[4:5], s[4:5]
	v_mov_b32_e32 v15, v0
	s_xor_b64 exec, exec, s[4:5]
	s_cbranch_execz .LBB7_9
; %bb.13:                               ;   in Loop: Header=BB7_10 Depth=2
	v_mov_b32_e32 v15, v1
	ds_write_b8 v3, v12 offset:128
	s_branch .LBB7_9
.LBB7_14:                               ;   in Loop: Header=BB7_7 Depth=1
	s_or_b64 exec, exec, s[14:15]
.LBB7_15:                               ;   in Loop: Header=BB7_7 Depth=1
	s_or_b64 exec, exec, s[12:13]
	s_waitcnt lgkmcnt(0)
	ds_read_u8 v0, v3 offset:128
	v_mov_b32_dpp v1, v15 row_shr:1 row_mask:0xf bank_mask:0xf
	v_min_i32_e32 v1, v1, v15
	ds_bpermute_b32 v1, v9, v1
	s_waitcnt lgkmcnt(1)
	v_and_b32_e32 v0, 1, v0
	v_cmp_eq_u32_e64 s[2:3], 1, v0
	s_and_b64 s[4:5], vcc, s[2:3]
	s_and_saveexec_b64 s[2:3], s[4:5]
	s_cbranch_execz .LBB7_6
; %bb.16:                               ;   in Loop: Header=BB7_7 Depth=1
	ds_read_b32 v0, v6
	s_waitcnt lgkmcnt(0)
	v_add_u32_e32 v0, 1, v0
	ds_write_b32 v6, v0
	s_branch .LBB7_6
.LBB7_17:
	s_or_b64 exec, exec, s[10:11]
.LBB7_18:
	v_cmp_eq_u32_e32 vcc, 0, v4
	s_and_saveexec_b64 s[2:3], vcc
	s_cbranch_execz .LBB7_21
; %bb.19:
	s_load_dword s4, s[0:1], 0x30
	s_load_dwordx2 s[2:3], s[0:1], 0x38
	v_mov_b32_e32 v3, 0
	v_cmp_gt_u32_e32 vcc, s8, v2
	s_waitcnt lgkmcnt(0)
	v_mov_b32_e32 v0, s4
	global_store_dword v3, v0, s[2:3]
	s_and_b64 exec, exec, vcc
	s_cbranch_execz .LBB7_21
; %bb.20:
	ds_read_b32 v4, v6
	v_lshl_add_u64 v[0:1], v[2:3], 2, s[2:3]
	s_waitcnt lgkmcnt(0)
	global_store_dword v[0:1], v4, off offset:4
.LBB7_21:
	s_endpgm
	.section	.rodata,"a",@progbits
	.p2align	6, 0x0
	.amdhsa_kernel _ZN9rocsparseL48csr2gebsr_nnz_wavefront_per_row_multipass_kernelILj256ELj4ELi8EEEviiiiii21rocsparse_index_base_PKiS3_S1_Pi
		.amdhsa_group_segment_fixed_size 160
		.amdhsa_private_segment_fixed_size 0
		.amdhsa_kernarg_size 64
		.amdhsa_user_sgpr_count 2
		.amdhsa_user_sgpr_dispatch_ptr 0
		.amdhsa_user_sgpr_queue_ptr 0
		.amdhsa_user_sgpr_kernarg_segment_ptr 1
		.amdhsa_user_sgpr_dispatch_id 0
		.amdhsa_user_sgpr_kernarg_preload_length 0
		.amdhsa_user_sgpr_kernarg_preload_offset 0
		.amdhsa_user_sgpr_private_segment_size 0
		.amdhsa_uses_dynamic_stack 0
		.amdhsa_enable_private_segment 0
		.amdhsa_system_sgpr_workgroup_id_x 1
		.amdhsa_system_sgpr_workgroup_id_y 0
		.amdhsa_system_sgpr_workgroup_id_z 0
		.amdhsa_system_sgpr_workgroup_info 0
		.amdhsa_system_vgpr_workitem_id 0
		.amdhsa_next_free_vgpr 20
		.amdhsa_next_free_sgpr 22
		.amdhsa_accum_offset 20
		.amdhsa_reserve_vcc 1
		.amdhsa_float_round_mode_32 0
		.amdhsa_float_round_mode_16_64 0
		.amdhsa_float_denorm_mode_32 3
		.amdhsa_float_denorm_mode_16_64 3
		.amdhsa_dx10_clamp 1
		.amdhsa_ieee_mode 1
		.amdhsa_fp16_overflow 0
		.amdhsa_tg_split 0
		.amdhsa_exception_fp_ieee_invalid_op 0
		.amdhsa_exception_fp_denorm_src 0
		.amdhsa_exception_fp_ieee_div_zero 0
		.amdhsa_exception_fp_ieee_overflow 0
		.amdhsa_exception_fp_ieee_underflow 0
		.amdhsa_exception_fp_ieee_inexact 0
		.amdhsa_exception_int_div_zero 0
	.end_amdhsa_kernel
	.section	.text._ZN9rocsparseL48csr2gebsr_nnz_wavefront_per_row_multipass_kernelILj256ELj4ELi8EEEviiiiii21rocsparse_index_base_PKiS3_S1_Pi,"axG",@progbits,_ZN9rocsparseL48csr2gebsr_nnz_wavefront_per_row_multipass_kernelILj256ELj4ELi8EEEviiiiii21rocsparse_index_base_PKiS3_S1_Pi,comdat
.Lfunc_end7:
	.size	_ZN9rocsparseL48csr2gebsr_nnz_wavefront_per_row_multipass_kernelILj256ELj4ELi8EEEviiiiii21rocsparse_index_base_PKiS3_S1_Pi, .Lfunc_end7-_ZN9rocsparseL48csr2gebsr_nnz_wavefront_per_row_multipass_kernelILj256ELj4ELi8EEEviiiiii21rocsparse_index_base_PKiS3_S1_Pi
                                        ; -- End function
	.section	.AMDGPU.csdata,"",@progbits
; Kernel info:
; codeLenInByte = 880
; NumSgprs: 28
; NumVgprs: 20
; NumAgprs: 0
; TotalNumVgprs: 20
; ScratchSize: 0
; MemoryBound: 0
; FloatMode: 240
; IeeeMode: 1
; LDSByteSize: 160 bytes/workgroup (compile time only)
; SGPRBlocks: 3
; VGPRBlocks: 2
; NumSGPRsForWavesPerEU: 28
; NumVGPRsForWavesPerEU: 20
; AccumOffset: 20
; Occupancy: 8
; WaveLimiterHint : 0
; COMPUTE_PGM_RSRC2:SCRATCH_EN: 0
; COMPUTE_PGM_RSRC2:USER_SGPR: 2
; COMPUTE_PGM_RSRC2:TRAP_HANDLER: 0
; COMPUTE_PGM_RSRC2:TGID_X_EN: 1
; COMPUTE_PGM_RSRC2:TGID_Y_EN: 0
; COMPUTE_PGM_RSRC2:TGID_Z_EN: 0
; COMPUTE_PGM_RSRC2:TIDIG_COMP_CNT: 0
; COMPUTE_PGM_RSRC3_GFX90A:ACCUM_OFFSET: 4
; COMPUTE_PGM_RSRC3_GFX90A:TG_SPLIT: 0
	.section	.text._ZN9rocsparseL48csr2gebsr_nnz_wavefront_per_row_multipass_kernelILj256ELj4ELi16EEEviiiiii21rocsparse_index_base_PKiS3_S1_Pi,"axG",@progbits,_ZN9rocsparseL48csr2gebsr_nnz_wavefront_per_row_multipass_kernelILj256ELj4ELi16EEEviiiiii21rocsparse_index_base_PKiS3_S1_Pi,comdat
	.globl	_ZN9rocsparseL48csr2gebsr_nnz_wavefront_per_row_multipass_kernelILj256ELj4ELi16EEEviiiiii21rocsparse_index_base_PKiS3_S1_Pi ; -- Begin function _ZN9rocsparseL48csr2gebsr_nnz_wavefront_per_row_multipass_kernelILj256ELj4ELi16EEEviiiiii21rocsparse_index_base_PKiS3_S1_Pi
	.p2align	8
	.type	_ZN9rocsparseL48csr2gebsr_nnz_wavefront_per_row_multipass_kernelILj256ELj4ELi16EEEviiiiii21rocsparse_index_base_PKiS3_S1_Pi,@function
_ZN9rocsparseL48csr2gebsr_nnz_wavefront_per_row_multipass_kernelILj256ELj4ELi16EEEviiiiii21rocsparse_index_base_PKiS3_S1_Pi: ; @_ZN9rocsparseL48csr2gebsr_nnz_wavefront_per_row_multipass_kernelILj256ELj4ELi16EEEviiiiii21rocsparse_index_base_PKiS3_S1_Pi
; %bb.0:
	s_load_dword s6, s[0:1], 0x0
	s_load_dwordx4 s[8:11], s[0:1], 0x8
	s_load_dword s16, s[0:1], 0x18
	s_load_dwordx2 s[4:5], s[0:1], 0x20
	v_lshrrev_b32_e32 v3, 4, v0
	v_bfe_u32 v8, v0, 2, 2
	v_lshl_or_b32 v2, s2, 4, v3
	s_waitcnt lgkmcnt(0)
	v_mad_u64_u32 v[4:5], s[2:3], v2, s10, v[8:9]
	v_cmp_gt_i32_e32 vcc, s6, v4
	v_cmp_gt_i32_e64 s[2:3], s10, v8
	v_lshlrev_b32_e32 v6, 2, v3
	v_mov_b32_e32 v7, 0
	s_and_b64 s[2:3], s[2:3], vcc
	v_mov_b32_e32 v1, 0
	ds_write_b32 v6, v7
	s_waitcnt lgkmcnt(0)
	s_barrier
	s_and_saveexec_b64 s[6:7], s[2:3]
	s_cbranch_execz .LBB8_2
; %bb.1:
	v_ashrrev_i32_e32 v5, 31, v4
	v_lshl_add_u64 v[8:9], v[4:5], 2, s[4:5]
	global_load_dword v1, v[8:9], off
	s_waitcnt vmcnt(0)
	v_subrev_u32_e32 v1, s16, v1
.LBB8_2:
	s_or_b64 exec, exec, s[6:7]
	s_and_saveexec_b64 s[6:7], s[2:3]
	s_cbranch_execz .LBB8_4
; %bb.3:
	v_ashrrev_i32_e32 v5, 31, v4
	v_lshl_add_u64 v[4:5], v[4:5], 2, s[4:5]
	global_load_dword v4, v[4:5], off offset:4
	s_waitcnt vmcnt(0)
	v_subrev_u32_e32 v7, s16, v4
.LBB8_4:
	s_or_b64 exec, exec, s[6:7]
	v_and_b32_e32 v4, 15, v0
	s_cmp_lt_i32 s9, 1
	v_cmp_eq_u32_e32 vcc, 0, v4
	s_cbranch_scc1 .LBB8_18
; %bb.5:
	s_abs_i32 s17, s11
	v_cvt_f32_u32_e32 v9, s17
	v_and_b32_e32 v5, 3, v0
	v_mbcnt_lo_u32_b32 v0, -1, 0
	s_load_dwordx2 s[6:7], s[0:1], 0x28
	v_rcp_iflag_f32_e32 v10, v9
	v_mbcnt_hi_u32_b32 v0, -1, v0
	v_lshlrev_b32_e32 v0, 2, v0
	s_sub_i32 s2, 0, s17
	v_mul_f32_e32 v10, 0x4f7ffffe, v10
	v_cvt_u32_f32_e32 v11, v10
	v_or_b32_e32 v9, 12, v0
	v_or_b32_e32 v10, 60, v0
	v_mov_b32_e32 v8, 0
	v_mul_lo_u32 v0, s2, v11
	v_mul_hi_u32 v0, v11, v0
	s_ashr_i32 s18, s11, 31
	v_add_u32_e32 v11, v11, v0
	s_mov_b64 s[10:11], 0
	v_mov_b32_e32 v12, 1
	v_mov_b32_e32 v14, 0
	s_branch .LBB8_7
.LBB8_6:                                ;   in Loop: Header=BB8_7 Depth=1
	s_or_b64 exec, exec, s[2:3]
	v_mov_b32_dpp v0, v13 row_shr:1 row_mask:0xf bank_mask:0xf
	v_min_i32_e32 v0, v0, v13
	s_waitcnt lgkmcnt(0)
	s_nop 0
	v_mov_b32_dpp v13, v0 row_shr:2 row_mask:0xf bank_mask:0xf
	v_min_i32_e32 v0, v13, v0
	s_nop 1
	v_mov_b32_dpp v13, v0 row_shr:4 row_mask:0xf bank_mask:0xe
	v_min_i32_e32 v0, v13, v0
	;; [unrolled: 3-line block ×3, first 2 shown]
	ds_bpermute_b32 v14, v10, v0
	s_waitcnt lgkmcnt(0)
	v_cmp_le_i32_e64 s[2:3], s9, v14
	s_or_b64 s[10:11], s[2:3], s[10:11]
	s_andn2_b64 exec, exec, s[10:11]
	s_cbranch_execz .LBB8_17
.LBB8_7:                                ; =>This Loop Header: Depth=1
                                        ;     Child Loop BB8_10 Depth 2
	v_add_u32_e32 v0, v1, v5
	v_cmp_lt_i32_e64 s[2:3], v0, v7
	v_mov_b32_e32 v13, s9
	v_mov_b32_e32 v15, v7
	ds_write_b8 v3, v8 offset:64
	s_waitcnt lgkmcnt(0)
	s_and_saveexec_b64 s[12:13], s[2:3]
	s_cbranch_execz .LBB8_15
; %bb.8:                                ;   in Loop: Header=BB8_7 Depth=1
	s_mov_b64 s[14:15], 0
	v_mov_b32_e32 v13, s9
	v_mov_b32_e32 v15, v7
	s_branch .LBB8_10
.LBB8_9:                                ;   in Loop: Header=BB8_10 Depth=2
	s_or_b64 exec, exec, s[4:5]
	v_add_u32_e32 v0, 4, v0
	v_cmp_ge_i32_e64 s[4:5], v0, v7
	s_xor_b64 s[2:3], s[2:3], -1
	s_or_b64 s[2:3], s[2:3], s[4:5]
	s_and_b64 s[2:3], exec, s[2:3]
	s_or_b64 s[14:15], s[2:3], s[14:15]
	s_andn2_b64 exec, exec, s[14:15]
	s_cbranch_execz .LBB8_14
.LBB8_10:                               ;   Parent Loop BB8_7 Depth=1
                                        ; =>  This Inner Loop Header: Depth=2
	v_ashrrev_i32_e32 v1, 31, v0
	v_lshl_add_u64 v[16:17], v[0:1], 2, s[6:7]
	global_load_dword v1, v[16:17], off
	s_waitcnt vmcnt(0)
	v_subrev_u32_e32 v1, s16, v1
	v_sub_u32_e32 v17, 0, v1
	v_ashrrev_i32_e32 v16, 31, v1
	v_max_i32_e32 v1, v1, v17
	v_mul_hi_u32 v17, v1, v11
	v_mul_lo_u32 v18, v17, s17
	v_sub_u32_e32 v1, v1, v18
	v_add_u32_e32 v19, 1, v17
	v_cmp_le_u32_e64 s[2:3], s17, v1
	v_subrev_u32_e32 v18, s17, v1
	v_xor_b32_e32 v16, s18, v16
	v_cndmask_b32_e64 v17, v17, v19, s[2:3]
	v_cndmask_b32_e64 v1, v1, v18, s[2:3]
	v_add_u32_e32 v18, 1, v17
	v_cmp_le_u32_e64 s[2:3], s17, v1
	s_nop 1
	v_cndmask_b32_e64 v1, v17, v18, s[2:3]
	v_xor_b32_e32 v1, v1, v16
	v_sub_u32_e32 v16, v1, v16
	v_cmp_eq_u32_e64 s[2:3], v16, v14
	v_cmp_ne_u32_e64 s[4:5], v16, v14
	v_mov_b32_e32 v1, v15
	s_and_saveexec_b64 s[20:21], s[4:5]
	s_xor_b64 s[4:5], exec, s[20:21]
; %bb.11:                               ;   in Loop: Header=BB8_10 Depth=2
	v_min_i32_e32 v13, v16, v13
                                        ; implicit-def: $vgpr1
; %bb.12:                               ;   in Loop: Header=BB8_10 Depth=2
	s_or_saveexec_b64 s[4:5], s[4:5]
	v_mov_b32_e32 v15, v0
	s_xor_b64 exec, exec, s[4:5]
	s_cbranch_execz .LBB8_9
; %bb.13:                               ;   in Loop: Header=BB8_10 Depth=2
	v_mov_b32_e32 v15, v1
	ds_write_b8 v3, v12 offset:64
	s_branch .LBB8_9
.LBB8_14:                               ;   in Loop: Header=BB8_7 Depth=1
	s_or_b64 exec, exec, s[14:15]
.LBB8_15:                               ;   in Loop: Header=BB8_7 Depth=1
	s_or_b64 exec, exec, s[12:13]
	v_mov_b32_dpp v0, v15 row_shr:1 row_mask:0xf bank_mask:0xf
	s_waitcnt lgkmcnt(0)
	v_min_i32_e32 v0, v0, v15
	ds_read_u8 v14, v3 offset:64
	s_nop 0
	v_mov_b32_dpp v1, v0 row_shr:2 row_mask:0xf bank_mask:0xf
	v_min_i32_e32 v0, v1, v0
	ds_bpermute_b32 v1, v9, v0
	s_waitcnt lgkmcnt(1)
	v_and_b32_e32 v0, 1, v14
	v_cmp_eq_u32_e64 s[2:3], 1, v0
	s_and_b64 s[4:5], vcc, s[2:3]
	s_and_saveexec_b64 s[2:3], s[4:5]
	s_cbranch_execz .LBB8_6
; %bb.16:                               ;   in Loop: Header=BB8_7 Depth=1
	ds_read_b32 v0, v6
	s_waitcnt lgkmcnt(0)
	v_add_u32_e32 v0, 1, v0
	ds_write_b32 v6, v0
	s_branch .LBB8_6
.LBB8_17:
	s_or_b64 exec, exec, s[10:11]
.LBB8_18:
	v_cmp_eq_u32_e32 vcc, 0, v4
	s_and_saveexec_b64 s[2:3], vcc
	s_cbranch_execz .LBB8_21
; %bb.19:
	s_load_dword s4, s[0:1], 0x30
	s_load_dwordx2 s[2:3], s[0:1], 0x38
	v_mov_b32_e32 v3, 0
	v_cmp_gt_u32_e32 vcc, s8, v2
	s_waitcnt lgkmcnt(0)
	v_mov_b32_e32 v0, s4
	global_store_dword v3, v0, s[2:3]
	s_and_b64 exec, exec, vcc
	s_cbranch_execz .LBB8_21
; %bb.20:
	ds_read_b32 v4, v6
	v_lshl_add_u64 v[0:1], v[2:3], 2, s[2:3]
	s_waitcnt lgkmcnt(0)
	global_store_dword v[0:1], v4, off offset:4
.LBB8_21:
	s_endpgm
	.section	.rodata,"a",@progbits
	.p2align	6, 0x0
	.amdhsa_kernel _ZN9rocsparseL48csr2gebsr_nnz_wavefront_per_row_multipass_kernelILj256ELj4ELi16EEEviiiiii21rocsparse_index_base_PKiS3_S1_Pi
		.amdhsa_group_segment_fixed_size 80
		.amdhsa_private_segment_fixed_size 0
		.amdhsa_kernarg_size 64
		.amdhsa_user_sgpr_count 2
		.amdhsa_user_sgpr_dispatch_ptr 0
		.amdhsa_user_sgpr_queue_ptr 0
		.amdhsa_user_sgpr_kernarg_segment_ptr 1
		.amdhsa_user_sgpr_dispatch_id 0
		.amdhsa_user_sgpr_kernarg_preload_length 0
		.amdhsa_user_sgpr_kernarg_preload_offset 0
		.amdhsa_user_sgpr_private_segment_size 0
		.amdhsa_uses_dynamic_stack 0
		.amdhsa_enable_private_segment 0
		.amdhsa_system_sgpr_workgroup_id_x 1
		.amdhsa_system_sgpr_workgroup_id_y 0
		.amdhsa_system_sgpr_workgroup_id_z 0
		.amdhsa_system_sgpr_workgroup_info 0
		.amdhsa_system_vgpr_workitem_id 0
		.amdhsa_next_free_vgpr 20
		.amdhsa_next_free_sgpr 22
		.amdhsa_accum_offset 20
		.amdhsa_reserve_vcc 1
		.amdhsa_float_round_mode_32 0
		.amdhsa_float_round_mode_16_64 0
		.amdhsa_float_denorm_mode_32 3
		.amdhsa_float_denorm_mode_16_64 3
		.amdhsa_dx10_clamp 1
		.amdhsa_ieee_mode 1
		.amdhsa_fp16_overflow 0
		.amdhsa_tg_split 0
		.amdhsa_exception_fp_ieee_invalid_op 0
		.amdhsa_exception_fp_denorm_src 0
		.amdhsa_exception_fp_ieee_div_zero 0
		.amdhsa_exception_fp_ieee_overflow 0
		.amdhsa_exception_fp_ieee_underflow 0
		.amdhsa_exception_fp_ieee_inexact 0
		.amdhsa_exception_int_div_zero 0
	.end_amdhsa_kernel
	.section	.text._ZN9rocsparseL48csr2gebsr_nnz_wavefront_per_row_multipass_kernelILj256ELj4ELi16EEEviiiiii21rocsparse_index_base_PKiS3_S1_Pi,"axG",@progbits,_ZN9rocsparseL48csr2gebsr_nnz_wavefront_per_row_multipass_kernelILj256ELj4ELi16EEEviiiiii21rocsparse_index_base_PKiS3_S1_Pi,comdat
.Lfunc_end8:
	.size	_ZN9rocsparseL48csr2gebsr_nnz_wavefront_per_row_multipass_kernelILj256ELj4ELi16EEEviiiiii21rocsparse_index_base_PKiS3_S1_Pi, .Lfunc_end8-_ZN9rocsparseL48csr2gebsr_nnz_wavefront_per_row_multipass_kernelILj256ELj4ELi16EEEviiiiii21rocsparse_index_base_PKiS3_S1_Pi
                                        ; -- End function
	.section	.AMDGPU.csdata,"",@progbits
; Kernel info:
; codeLenInByte = 912
; NumSgprs: 28
; NumVgprs: 20
; NumAgprs: 0
; TotalNumVgprs: 20
; ScratchSize: 0
; MemoryBound: 0
; FloatMode: 240
; IeeeMode: 1
; LDSByteSize: 80 bytes/workgroup (compile time only)
; SGPRBlocks: 3
; VGPRBlocks: 2
; NumSGPRsForWavesPerEU: 28
; NumVGPRsForWavesPerEU: 20
; AccumOffset: 20
; Occupancy: 8
; WaveLimiterHint : 0
; COMPUTE_PGM_RSRC2:SCRATCH_EN: 0
; COMPUTE_PGM_RSRC2:USER_SGPR: 2
; COMPUTE_PGM_RSRC2:TRAP_HANDLER: 0
; COMPUTE_PGM_RSRC2:TGID_X_EN: 1
; COMPUTE_PGM_RSRC2:TGID_Y_EN: 0
; COMPUTE_PGM_RSRC2:TGID_Z_EN: 0
; COMPUTE_PGM_RSRC2:TIDIG_COMP_CNT: 0
; COMPUTE_PGM_RSRC3_GFX90A:ACCUM_OFFSET: 4
; COMPUTE_PGM_RSRC3_GFX90A:TG_SPLIT: 0
	.section	.text._ZN9rocsparseL48csr2gebsr_nnz_wavefront_per_row_multipass_kernelILj256ELj4ELi32EEEviiiiii21rocsparse_index_base_PKiS3_S1_Pi,"axG",@progbits,_ZN9rocsparseL48csr2gebsr_nnz_wavefront_per_row_multipass_kernelILj256ELj4ELi32EEEviiiiii21rocsparse_index_base_PKiS3_S1_Pi,comdat
	.globl	_ZN9rocsparseL48csr2gebsr_nnz_wavefront_per_row_multipass_kernelILj256ELj4ELi32EEEviiiiii21rocsparse_index_base_PKiS3_S1_Pi ; -- Begin function _ZN9rocsparseL48csr2gebsr_nnz_wavefront_per_row_multipass_kernelILj256ELj4ELi32EEEviiiiii21rocsparse_index_base_PKiS3_S1_Pi
	.p2align	8
	.type	_ZN9rocsparseL48csr2gebsr_nnz_wavefront_per_row_multipass_kernelILj256ELj4ELi32EEEviiiiii21rocsparse_index_base_PKiS3_S1_Pi,@function
_ZN9rocsparseL48csr2gebsr_nnz_wavefront_per_row_multipass_kernelILj256ELj4ELi32EEEviiiiii21rocsparse_index_base_PKiS3_S1_Pi: ; @_ZN9rocsparseL48csr2gebsr_nnz_wavefront_per_row_multipass_kernelILj256ELj4ELi32EEEviiiiii21rocsparse_index_base_PKiS3_S1_Pi
; %bb.0:
	s_load_dword s6, s[0:1], 0x0
	s_load_dwordx4 s[8:11], s[0:1], 0x8
	s_load_dword s16, s[0:1], 0x18
	s_load_dwordx2 s[4:5], s[0:1], 0x20
	v_lshrrev_b32_e32 v3, 5, v0
	v_bfe_u32 v8, v0, 3, 2
	v_lshl_or_b32 v2, s2, 3, v3
	s_waitcnt lgkmcnt(0)
	v_mad_u64_u32 v[4:5], s[2:3], v2, s10, v[8:9]
	v_cmp_gt_i32_e32 vcc, s6, v4
	v_cmp_gt_i32_e64 s[2:3], s10, v8
	v_lshlrev_b32_e32 v6, 2, v3
	v_mov_b32_e32 v7, 0
	s_and_b64 s[2:3], s[2:3], vcc
	v_mov_b32_e32 v1, 0
	ds_write_b32 v6, v7
	s_waitcnt lgkmcnt(0)
	s_barrier
	s_and_saveexec_b64 s[6:7], s[2:3]
	s_cbranch_execz .LBB9_2
; %bb.1:
	v_ashrrev_i32_e32 v5, 31, v4
	v_lshl_add_u64 v[8:9], v[4:5], 2, s[4:5]
	global_load_dword v1, v[8:9], off
	s_waitcnt vmcnt(0)
	v_subrev_u32_e32 v1, s16, v1
.LBB9_2:
	s_or_b64 exec, exec, s[6:7]
	s_and_saveexec_b64 s[6:7], s[2:3]
	s_cbranch_execz .LBB9_4
; %bb.3:
	v_ashrrev_i32_e32 v5, 31, v4
	v_lshl_add_u64 v[4:5], v[4:5], 2, s[4:5]
	global_load_dword v4, v[4:5], off offset:4
	s_waitcnt vmcnt(0)
	v_subrev_u32_e32 v7, s16, v4
.LBB9_4:
	s_or_b64 exec, exec, s[6:7]
	v_and_b32_e32 v4, 31, v0
	s_cmp_lt_i32 s9, 1
	v_cmp_eq_u32_e32 vcc, 0, v4
	s_cbranch_scc1 .LBB9_18
; %bb.5:
	s_abs_i32 s17, s11
	v_cvt_f32_u32_e32 v9, s17
	v_and_b32_e32 v5, 7, v0
	v_mbcnt_lo_u32_b32 v0, -1, 0
	s_load_dwordx2 s[6:7], s[0:1], 0x28
	v_rcp_iflag_f32_e32 v10, v9
	v_mbcnt_hi_u32_b32 v0, -1, v0
	v_lshlrev_b32_e32 v0, 2, v0
	s_sub_i32 s2, 0, s17
	v_mul_f32_e32 v10, 0x4f7ffffe, v10
	v_cvt_u32_f32_e32 v11, v10
	v_or_b32_e32 v9, 28, v0
	v_or_b32_e32 v10, 0x7c, v0
	v_mov_b32_e32 v8, 0
	v_mul_lo_u32 v0, s2, v11
	v_mul_hi_u32 v0, v11, v0
	s_ashr_i32 s18, s11, 31
	v_add_u32_e32 v11, v11, v0
	s_mov_b64 s[10:11], 0
	v_mov_b32_e32 v12, 1
	v_mov_b32_e32 v14, 0
	s_branch .LBB9_7
.LBB9_6:                                ;   in Loop: Header=BB9_7 Depth=1
	s_or_b64 exec, exec, s[2:3]
	v_mov_b32_dpp v0, v13 row_shr:1 row_mask:0xf bank_mask:0xf
	v_min_i32_e32 v0, v0, v13
	s_waitcnt lgkmcnt(0)
	s_nop 0
	v_mov_b32_dpp v13, v0 row_shr:2 row_mask:0xf bank_mask:0xf
	v_min_i32_e32 v0, v13, v0
	s_nop 1
	v_mov_b32_dpp v13, v0 row_shr:4 row_mask:0xf bank_mask:0xe
	v_min_i32_e32 v0, v13, v0
	s_nop 1
	v_mov_b32_dpp v13, v0 row_shr:8 row_mask:0xf bank_mask:0xc
	v_min_i32_e32 v0, v13, v0
	s_nop 1
	v_mov_b32_dpp v13, v0 row_bcast:15 row_mask:0xa bank_mask:0xf
	v_min_i32_e32 v0, v13, v0
	ds_bpermute_b32 v14, v10, v0
	s_waitcnt lgkmcnt(0)
	v_cmp_le_i32_e64 s[2:3], s9, v14
	s_or_b64 s[10:11], s[2:3], s[10:11]
	s_andn2_b64 exec, exec, s[10:11]
	s_cbranch_execz .LBB9_17
.LBB9_7:                                ; =>This Loop Header: Depth=1
                                        ;     Child Loop BB9_10 Depth 2
	v_add_u32_e32 v0, v1, v5
	v_cmp_lt_i32_e64 s[2:3], v0, v7
	v_mov_b32_e32 v13, s9
	v_mov_b32_e32 v15, v7
	ds_write_b8 v3, v8 offset:32
	s_waitcnt lgkmcnt(0)
	s_and_saveexec_b64 s[12:13], s[2:3]
	s_cbranch_execz .LBB9_15
; %bb.8:                                ;   in Loop: Header=BB9_7 Depth=1
	s_mov_b64 s[14:15], 0
	v_mov_b32_e32 v13, s9
	v_mov_b32_e32 v15, v7
	s_branch .LBB9_10
.LBB9_9:                                ;   in Loop: Header=BB9_10 Depth=2
	s_or_b64 exec, exec, s[4:5]
	v_add_u32_e32 v0, 8, v0
	v_cmp_ge_i32_e64 s[4:5], v0, v7
	s_xor_b64 s[2:3], s[2:3], -1
	s_or_b64 s[2:3], s[2:3], s[4:5]
	s_and_b64 s[2:3], exec, s[2:3]
	s_or_b64 s[14:15], s[2:3], s[14:15]
	s_andn2_b64 exec, exec, s[14:15]
	s_cbranch_execz .LBB9_14
.LBB9_10:                               ;   Parent Loop BB9_7 Depth=1
                                        ; =>  This Inner Loop Header: Depth=2
	v_ashrrev_i32_e32 v1, 31, v0
	v_lshl_add_u64 v[16:17], v[0:1], 2, s[6:7]
	global_load_dword v1, v[16:17], off
	s_waitcnt vmcnt(0)
	v_subrev_u32_e32 v1, s16, v1
	v_sub_u32_e32 v17, 0, v1
	v_ashrrev_i32_e32 v16, 31, v1
	v_max_i32_e32 v1, v1, v17
	v_mul_hi_u32 v17, v1, v11
	v_mul_lo_u32 v18, v17, s17
	v_sub_u32_e32 v1, v1, v18
	v_add_u32_e32 v19, 1, v17
	v_cmp_le_u32_e64 s[2:3], s17, v1
	v_subrev_u32_e32 v18, s17, v1
	v_xor_b32_e32 v16, s18, v16
	v_cndmask_b32_e64 v17, v17, v19, s[2:3]
	v_cndmask_b32_e64 v1, v1, v18, s[2:3]
	v_add_u32_e32 v18, 1, v17
	v_cmp_le_u32_e64 s[2:3], s17, v1
	s_nop 1
	v_cndmask_b32_e64 v1, v17, v18, s[2:3]
	v_xor_b32_e32 v1, v1, v16
	v_sub_u32_e32 v16, v1, v16
	v_cmp_eq_u32_e64 s[2:3], v16, v14
	v_cmp_ne_u32_e64 s[4:5], v16, v14
	v_mov_b32_e32 v1, v15
	s_and_saveexec_b64 s[20:21], s[4:5]
	s_xor_b64 s[4:5], exec, s[20:21]
; %bb.11:                               ;   in Loop: Header=BB9_10 Depth=2
	v_min_i32_e32 v13, v16, v13
                                        ; implicit-def: $vgpr1
; %bb.12:                               ;   in Loop: Header=BB9_10 Depth=2
	s_or_saveexec_b64 s[4:5], s[4:5]
	v_mov_b32_e32 v15, v0
	s_xor_b64 exec, exec, s[4:5]
	s_cbranch_execz .LBB9_9
; %bb.13:                               ;   in Loop: Header=BB9_10 Depth=2
	v_mov_b32_e32 v15, v1
	ds_write_b8 v3, v12 offset:32
	s_branch .LBB9_9
.LBB9_14:                               ;   in Loop: Header=BB9_7 Depth=1
	s_or_b64 exec, exec, s[14:15]
.LBB9_15:                               ;   in Loop: Header=BB9_7 Depth=1
	s_or_b64 exec, exec, s[12:13]
	v_mov_b32_dpp v0, v15 row_shr:1 row_mask:0xf bank_mask:0xf
	v_min_i32_e32 v0, v0, v15
	s_waitcnt lgkmcnt(0)
	ds_read_u8 v14, v3 offset:32
	v_mov_b32_dpp v1, v0 row_shr:2 row_mask:0xf bank_mask:0xf
	v_min_i32_e32 v0, v1, v0
	s_nop 1
	v_mov_b32_dpp v1, v0 row_shr:4 row_mask:0xf bank_mask:0xe
	v_min_i32_e32 v0, v1, v0
	ds_bpermute_b32 v1, v9, v0
	s_waitcnt lgkmcnt(1)
	v_and_b32_e32 v0, 1, v14
	v_cmp_eq_u32_e64 s[2:3], 1, v0
	s_and_b64 s[4:5], vcc, s[2:3]
	s_and_saveexec_b64 s[2:3], s[4:5]
	s_cbranch_execz .LBB9_6
; %bb.16:                               ;   in Loop: Header=BB9_7 Depth=1
	ds_read_b32 v0, v6
	s_waitcnt lgkmcnt(0)
	v_add_u32_e32 v0, 1, v0
	ds_write_b32 v6, v0
	s_branch .LBB9_6
.LBB9_17:
	s_or_b64 exec, exec, s[10:11]
.LBB9_18:
	v_cmp_eq_u32_e32 vcc, 0, v4
	s_and_saveexec_b64 s[2:3], vcc
	s_cbranch_execz .LBB9_21
; %bb.19:
	s_load_dword s4, s[0:1], 0x30
	s_load_dwordx2 s[2:3], s[0:1], 0x38
	v_mov_b32_e32 v3, 0
	v_cmp_gt_u32_e32 vcc, s8, v2
	s_waitcnt lgkmcnt(0)
	v_mov_b32_e32 v0, s4
	global_store_dword v3, v0, s[2:3]
	s_and_b64 exec, exec, vcc
	s_cbranch_execz .LBB9_21
; %bb.20:
	ds_read_b32 v4, v6
	v_lshl_add_u64 v[0:1], v[2:3], 2, s[2:3]
	s_waitcnt lgkmcnt(0)
	global_store_dword v[0:1], v4, off offset:4
.LBB9_21:
	s_endpgm
	.section	.rodata,"a",@progbits
	.p2align	6, 0x0
	.amdhsa_kernel _ZN9rocsparseL48csr2gebsr_nnz_wavefront_per_row_multipass_kernelILj256ELj4ELi32EEEviiiiii21rocsparse_index_base_PKiS3_S1_Pi
		.amdhsa_group_segment_fixed_size 40
		.amdhsa_private_segment_fixed_size 0
		.amdhsa_kernarg_size 64
		.amdhsa_user_sgpr_count 2
		.amdhsa_user_sgpr_dispatch_ptr 0
		.amdhsa_user_sgpr_queue_ptr 0
		.amdhsa_user_sgpr_kernarg_segment_ptr 1
		.amdhsa_user_sgpr_dispatch_id 0
		.amdhsa_user_sgpr_kernarg_preload_length 0
		.amdhsa_user_sgpr_kernarg_preload_offset 0
		.amdhsa_user_sgpr_private_segment_size 0
		.amdhsa_uses_dynamic_stack 0
		.amdhsa_enable_private_segment 0
		.amdhsa_system_sgpr_workgroup_id_x 1
		.amdhsa_system_sgpr_workgroup_id_y 0
		.amdhsa_system_sgpr_workgroup_id_z 0
		.amdhsa_system_sgpr_workgroup_info 0
		.amdhsa_system_vgpr_workitem_id 0
		.amdhsa_next_free_vgpr 20
		.amdhsa_next_free_sgpr 22
		.amdhsa_accum_offset 20
		.amdhsa_reserve_vcc 1
		.amdhsa_float_round_mode_32 0
		.amdhsa_float_round_mode_16_64 0
		.amdhsa_float_denorm_mode_32 3
		.amdhsa_float_denorm_mode_16_64 3
		.amdhsa_dx10_clamp 1
		.amdhsa_ieee_mode 1
		.amdhsa_fp16_overflow 0
		.amdhsa_tg_split 0
		.amdhsa_exception_fp_ieee_invalid_op 0
		.amdhsa_exception_fp_denorm_src 0
		.amdhsa_exception_fp_ieee_div_zero 0
		.amdhsa_exception_fp_ieee_overflow 0
		.amdhsa_exception_fp_ieee_underflow 0
		.amdhsa_exception_fp_ieee_inexact 0
		.amdhsa_exception_int_div_zero 0
	.end_amdhsa_kernel
	.section	.text._ZN9rocsparseL48csr2gebsr_nnz_wavefront_per_row_multipass_kernelILj256ELj4ELi32EEEviiiiii21rocsparse_index_base_PKiS3_S1_Pi,"axG",@progbits,_ZN9rocsparseL48csr2gebsr_nnz_wavefront_per_row_multipass_kernelILj256ELj4ELi32EEEviiiiii21rocsparse_index_base_PKiS3_S1_Pi,comdat
.Lfunc_end9:
	.size	_ZN9rocsparseL48csr2gebsr_nnz_wavefront_per_row_multipass_kernelILj256ELj4ELi32EEEviiiiii21rocsparse_index_base_PKiS3_S1_Pi, .Lfunc_end9-_ZN9rocsparseL48csr2gebsr_nnz_wavefront_per_row_multipass_kernelILj256ELj4ELi32EEEviiiiii21rocsparse_index_base_PKiS3_S1_Pi
                                        ; -- End function
	.section	.AMDGPU.csdata,"",@progbits
; Kernel info:
; codeLenInByte = 944
; NumSgprs: 28
; NumVgprs: 20
; NumAgprs: 0
; TotalNumVgprs: 20
; ScratchSize: 0
; MemoryBound: 0
; FloatMode: 240
; IeeeMode: 1
; LDSByteSize: 40 bytes/workgroup (compile time only)
; SGPRBlocks: 3
; VGPRBlocks: 2
; NumSGPRsForWavesPerEU: 28
; NumVGPRsForWavesPerEU: 20
; AccumOffset: 20
; Occupancy: 8
; WaveLimiterHint : 0
; COMPUTE_PGM_RSRC2:SCRATCH_EN: 0
; COMPUTE_PGM_RSRC2:USER_SGPR: 2
; COMPUTE_PGM_RSRC2:TRAP_HANDLER: 0
; COMPUTE_PGM_RSRC2:TGID_X_EN: 1
; COMPUTE_PGM_RSRC2:TGID_Y_EN: 0
; COMPUTE_PGM_RSRC2:TGID_Z_EN: 0
; COMPUTE_PGM_RSRC2:TIDIG_COMP_CNT: 0
; COMPUTE_PGM_RSRC3_GFX90A:ACCUM_OFFSET: 4
; COMPUTE_PGM_RSRC3_GFX90A:TG_SPLIT: 0
	.section	.text._ZN9rocsparseL48csr2gebsr_nnz_wavefront_per_row_multipass_kernelILj256ELj4ELi64EEEviiiiii21rocsparse_index_base_PKiS3_S1_Pi,"axG",@progbits,_ZN9rocsparseL48csr2gebsr_nnz_wavefront_per_row_multipass_kernelILj256ELj4ELi64EEEviiiiii21rocsparse_index_base_PKiS3_S1_Pi,comdat
	.globl	_ZN9rocsparseL48csr2gebsr_nnz_wavefront_per_row_multipass_kernelILj256ELj4ELi64EEEviiiiii21rocsparse_index_base_PKiS3_S1_Pi ; -- Begin function _ZN9rocsparseL48csr2gebsr_nnz_wavefront_per_row_multipass_kernelILj256ELj4ELi64EEEviiiiii21rocsparse_index_base_PKiS3_S1_Pi
	.p2align	8
	.type	_ZN9rocsparseL48csr2gebsr_nnz_wavefront_per_row_multipass_kernelILj256ELj4ELi64EEEviiiiii21rocsparse_index_base_PKiS3_S1_Pi,@function
_ZN9rocsparseL48csr2gebsr_nnz_wavefront_per_row_multipass_kernelILj256ELj4ELi64EEEviiiiii21rocsparse_index_base_PKiS3_S1_Pi: ; @_ZN9rocsparseL48csr2gebsr_nnz_wavefront_per_row_multipass_kernelILj256ELj4ELi64EEEviiiiii21rocsparse_index_base_PKiS3_S1_Pi
; %bb.0:
	s_load_dword s6, s[0:1], 0x0
	s_load_dwordx4 s[8:11], s[0:1], 0x8
	s_load_dword s16, s[0:1], 0x18
	s_load_dwordx2 s[4:5], s[0:1], 0x20
	v_lshrrev_b32_e32 v3, 6, v0
	v_bfe_u32 v8, v0, 4, 2
	v_lshl_or_b32 v2, s2, 2, v3
	s_waitcnt lgkmcnt(0)
	v_mad_u64_u32 v[4:5], s[2:3], v2, s10, v[8:9]
	v_cmp_gt_i32_e32 vcc, s6, v4
	v_cmp_gt_i32_e64 s[2:3], s10, v8
	v_lshlrev_b32_e32 v6, 2, v3
	v_mov_b32_e32 v7, 0
	s_and_b64 s[2:3], s[2:3], vcc
	v_mov_b32_e32 v1, 0
	ds_write_b32 v6, v7
	s_waitcnt lgkmcnt(0)
	s_barrier
	s_and_saveexec_b64 s[6:7], s[2:3]
	s_cbranch_execz .LBB10_2
; %bb.1:
	v_ashrrev_i32_e32 v5, 31, v4
	v_lshl_add_u64 v[8:9], v[4:5], 2, s[4:5]
	global_load_dword v1, v[8:9], off
	s_waitcnt vmcnt(0)
	v_subrev_u32_e32 v1, s16, v1
.LBB10_2:
	s_or_b64 exec, exec, s[6:7]
	s_and_saveexec_b64 s[6:7], s[2:3]
	s_cbranch_execz .LBB10_4
; %bb.3:
	v_ashrrev_i32_e32 v5, 31, v4
	v_lshl_add_u64 v[4:5], v[4:5], 2, s[4:5]
	global_load_dword v4, v[4:5], off offset:4
	s_waitcnt vmcnt(0)
	v_subrev_u32_e32 v7, s16, v4
.LBB10_4:
	s_or_b64 exec, exec, s[6:7]
	v_and_b32_e32 v4, 63, v0
	s_cmp_lt_i32 s9, 1
	v_cmp_eq_u32_e32 vcc, 0, v4
	s_cbranch_scc1 .LBB10_18
; %bb.5:
	s_abs_i32 s17, s11
	v_cvt_f32_u32_e32 v9, s17
	v_and_b32_e32 v5, 15, v0
	v_mbcnt_lo_u32_b32 v0, -1, 0
	s_load_dwordx2 s[6:7], s[0:1], 0x28
	v_rcp_iflag_f32_e32 v10, v9
	v_mbcnt_hi_u32_b32 v0, -1, v0
	v_lshlrev_b32_e32 v0, 2, v0
	s_sub_i32 s2, 0, s17
	v_mul_f32_e32 v10, 0x4f7ffffe, v10
	v_cvt_u32_f32_e32 v11, v10
	v_or_b32_e32 v9, 60, v0
	v_or_b32_e32 v10, 0xfc, v0
	v_mov_b32_e32 v8, 0
	v_mul_lo_u32 v0, s2, v11
	v_mul_hi_u32 v0, v11, v0
	s_ashr_i32 s18, s11, 31
	v_add_u32_e32 v11, v11, v0
	s_mov_b64 s[10:11], 0
	v_mov_b32_e32 v12, 1
	v_mov_b32_e32 v14, 0
	s_branch .LBB10_7
.LBB10_6:                               ;   in Loop: Header=BB10_7 Depth=1
	s_or_b64 exec, exec, s[2:3]
	v_mov_b32_dpp v0, v13 row_shr:1 row_mask:0xf bank_mask:0xf
	v_min_i32_e32 v0, v0, v13
	s_waitcnt lgkmcnt(0)
	s_nop 0
	v_mov_b32_dpp v13, v0 row_shr:2 row_mask:0xf bank_mask:0xf
	v_min_i32_e32 v0, v13, v0
	s_nop 1
	v_mov_b32_dpp v13, v0 row_shr:4 row_mask:0xf bank_mask:0xe
	v_min_i32_e32 v0, v13, v0
	;; [unrolled: 3-line block ×3, first 2 shown]
	s_nop 1
	v_mov_b32_dpp v13, v0 row_bcast:15 row_mask:0xa bank_mask:0xf
	v_min_i32_e32 v0, v13, v0
	s_nop 1
	v_mov_b32_dpp v13, v0 row_bcast:31 row_mask:0xc bank_mask:0xf
	v_min_i32_e32 v0, v13, v0
	ds_bpermute_b32 v14, v10, v0
	s_waitcnt lgkmcnt(0)
	v_cmp_le_i32_e64 s[2:3], s9, v14
	s_or_b64 s[10:11], s[2:3], s[10:11]
	s_andn2_b64 exec, exec, s[10:11]
	s_cbranch_execz .LBB10_17
.LBB10_7:                               ; =>This Loop Header: Depth=1
                                        ;     Child Loop BB10_10 Depth 2
	v_add_u32_e32 v0, v1, v5
	v_cmp_lt_i32_e64 s[2:3], v0, v7
	v_mov_b32_e32 v13, s9
	v_mov_b32_e32 v15, v7
	ds_write_b8 v3, v8 offset:16
	s_waitcnt lgkmcnt(0)
	s_and_saveexec_b64 s[12:13], s[2:3]
	s_cbranch_execz .LBB10_15
; %bb.8:                                ;   in Loop: Header=BB10_7 Depth=1
	s_mov_b64 s[14:15], 0
	v_mov_b32_e32 v13, s9
	v_mov_b32_e32 v15, v7
	s_branch .LBB10_10
.LBB10_9:                               ;   in Loop: Header=BB10_10 Depth=2
	s_or_b64 exec, exec, s[4:5]
	v_add_u32_e32 v0, 16, v0
	v_cmp_ge_i32_e64 s[4:5], v0, v7
	s_xor_b64 s[2:3], s[2:3], -1
	s_or_b64 s[2:3], s[2:3], s[4:5]
	s_and_b64 s[2:3], exec, s[2:3]
	s_or_b64 s[14:15], s[2:3], s[14:15]
	s_andn2_b64 exec, exec, s[14:15]
	s_cbranch_execz .LBB10_14
.LBB10_10:                              ;   Parent Loop BB10_7 Depth=1
                                        ; =>  This Inner Loop Header: Depth=2
	v_ashrrev_i32_e32 v1, 31, v0
	v_lshl_add_u64 v[16:17], v[0:1], 2, s[6:7]
	global_load_dword v1, v[16:17], off
	s_waitcnt vmcnt(0)
	v_subrev_u32_e32 v1, s16, v1
	v_sub_u32_e32 v17, 0, v1
	v_ashrrev_i32_e32 v16, 31, v1
	v_max_i32_e32 v1, v1, v17
	v_mul_hi_u32 v17, v1, v11
	v_mul_lo_u32 v18, v17, s17
	v_sub_u32_e32 v1, v1, v18
	v_add_u32_e32 v19, 1, v17
	v_cmp_le_u32_e64 s[2:3], s17, v1
	v_subrev_u32_e32 v18, s17, v1
	v_xor_b32_e32 v16, s18, v16
	v_cndmask_b32_e64 v17, v17, v19, s[2:3]
	v_cndmask_b32_e64 v1, v1, v18, s[2:3]
	v_add_u32_e32 v18, 1, v17
	v_cmp_le_u32_e64 s[2:3], s17, v1
	s_nop 1
	v_cndmask_b32_e64 v1, v17, v18, s[2:3]
	v_xor_b32_e32 v1, v1, v16
	v_sub_u32_e32 v16, v1, v16
	v_cmp_eq_u32_e64 s[2:3], v16, v14
	v_cmp_ne_u32_e64 s[4:5], v16, v14
	v_mov_b32_e32 v1, v15
	s_and_saveexec_b64 s[20:21], s[4:5]
	s_xor_b64 s[4:5], exec, s[20:21]
; %bb.11:                               ;   in Loop: Header=BB10_10 Depth=2
	v_min_i32_e32 v13, v16, v13
                                        ; implicit-def: $vgpr1
; %bb.12:                               ;   in Loop: Header=BB10_10 Depth=2
	s_or_saveexec_b64 s[4:5], s[4:5]
	v_mov_b32_e32 v15, v0
	s_xor_b64 exec, exec, s[4:5]
	s_cbranch_execz .LBB10_9
; %bb.13:                               ;   in Loop: Header=BB10_10 Depth=2
	v_mov_b32_e32 v15, v1
	ds_write_b8 v3, v12 offset:16
	s_branch .LBB10_9
.LBB10_14:                              ;   in Loop: Header=BB10_7 Depth=1
	s_or_b64 exec, exec, s[14:15]
.LBB10_15:                              ;   in Loop: Header=BB10_7 Depth=1
	s_or_b64 exec, exec, s[12:13]
	v_mov_b32_dpp v0, v15 row_shr:1 row_mask:0xf bank_mask:0xf
	v_min_i32_e32 v0, v0, v15
	s_waitcnt lgkmcnt(0)
	ds_read_u8 v14, v3 offset:16
	v_mov_b32_dpp v1, v0 row_shr:2 row_mask:0xf bank_mask:0xf
	v_min_i32_e32 v0, v1, v0
	s_nop 1
	v_mov_b32_dpp v1, v0 row_shr:4 row_mask:0xf bank_mask:0xe
	v_min_i32_e32 v0, v1, v0
	s_nop 1
	v_mov_b32_dpp v1, v0 row_shr:8 row_mask:0xf bank_mask:0xc
	v_min_i32_e32 v0, v1, v0
	ds_bpermute_b32 v1, v9, v0
	s_waitcnt lgkmcnt(1)
	v_and_b32_e32 v0, 1, v14
	v_cmp_eq_u32_e64 s[2:3], 1, v0
	s_and_b64 s[4:5], vcc, s[2:3]
	s_and_saveexec_b64 s[2:3], s[4:5]
	s_cbranch_execz .LBB10_6
; %bb.16:                               ;   in Loop: Header=BB10_7 Depth=1
	ds_read_b32 v0, v6
	s_waitcnt lgkmcnt(0)
	v_add_u32_e32 v0, 1, v0
	ds_write_b32 v6, v0
	s_branch .LBB10_6
.LBB10_17:
	s_or_b64 exec, exec, s[10:11]
.LBB10_18:
	v_cmp_eq_u32_e32 vcc, 0, v4
	s_and_saveexec_b64 s[2:3], vcc
	s_cbranch_execz .LBB10_21
; %bb.19:
	s_load_dword s4, s[0:1], 0x30
	s_load_dwordx2 s[2:3], s[0:1], 0x38
	v_mov_b32_e32 v3, 0
	v_cmp_gt_u32_e32 vcc, s8, v2
	s_waitcnt lgkmcnt(0)
	v_mov_b32_e32 v0, s4
	global_store_dword v3, v0, s[2:3]
	s_and_b64 exec, exec, vcc
	s_cbranch_execz .LBB10_21
; %bb.20:
	ds_read_b32 v4, v6
	v_lshl_add_u64 v[0:1], v[2:3], 2, s[2:3]
	s_waitcnt lgkmcnt(0)
	global_store_dword v[0:1], v4, off offset:4
.LBB10_21:
	s_endpgm
	.section	.rodata,"a",@progbits
	.p2align	6, 0x0
	.amdhsa_kernel _ZN9rocsparseL48csr2gebsr_nnz_wavefront_per_row_multipass_kernelILj256ELj4ELi64EEEviiiiii21rocsparse_index_base_PKiS3_S1_Pi
		.amdhsa_group_segment_fixed_size 20
		.amdhsa_private_segment_fixed_size 0
		.amdhsa_kernarg_size 64
		.amdhsa_user_sgpr_count 2
		.amdhsa_user_sgpr_dispatch_ptr 0
		.amdhsa_user_sgpr_queue_ptr 0
		.amdhsa_user_sgpr_kernarg_segment_ptr 1
		.amdhsa_user_sgpr_dispatch_id 0
		.amdhsa_user_sgpr_kernarg_preload_length 0
		.amdhsa_user_sgpr_kernarg_preload_offset 0
		.amdhsa_user_sgpr_private_segment_size 0
		.amdhsa_uses_dynamic_stack 0
		.amdhsa_enable_private_segment 0
		.amdhsa_system_sgpr_workgroup_id_x 1
		.amdhsa_system_sgpr_workgroup_id_y 0
		.amdhsa_system_sgpr_workgroup_id_z 0
		.amdhsa_system_sgpr_workgroup_info 0
		.amdhsa_system_vgpr_workitem_id 0
		.amdhsa_next_free_vgpr 20
		.amdhsa_next_free_sgpr 22
		.amdhsa_accum_offset 20
		.amdhsa_reserve_vcc 1
		.amdhsa_float_round_mode_32 0
		.amdhsa_float_round_mode_16_64 0
		.amdhsa_float_denorm_mode_32 3
		.amdhsa_float_denorm_mode_16_64 3
		.amdhsa_dx10_clamp 1
		.amdhsa_ieee_mode 1
		.amdhsa_fp16_overflow 0
		.amdhsa_tg_split 0
		.amdhsa_exception_fp_ieee_invalid_op 0
		.amdhsa_exception_fp_denorm_src 0
		.amdhsa_exception_fp_ieee_div_zero 0
		.amdhsa_exception_fp_ieee_overflow 0
		.amdhsa_exception_fp_ieee_underflow 0
		.amdhsa_exception_fp_ieee_inexact 0
		.amdhsa_exception_int_div_zero 0
	.end_amdhsa_kernel
	.section	.text._ZN9rocsparseL48csr2gebsr_nnz_wavefront_per_row_multipass_kernelILj256ELj4ELi64EEEviiiiii21rocsparse_index_base_PKiS3_S1_Pi,"axG",@progbits,_ZN9rocsparseL48csr2gebsr_nnz_wavefront_per_row_multipass_kernelILj256ELj4ELi64EEEviiiiii21rocsparse_index_base_PKiS3_S1_Pi,comdat
.Lfunc_end10:
	.size	_ZN9rocsparseL48csr2gebsr_nnz_wavefront_per_row_multipass_kernelILj256ELj4ELi64EEEviiiiii21rocsparse_index_base_PKiS3_S1_Pi, .Lfunc_end10-_ZN9rocsparseL48csr2gebsr_nnz_wavefront_per_row_multipass_kernelILj256ELj4ELi64EEEviiiiii21rocsparse_index_base_PKiS3_S1_Pi
                                        ; -- End function
	.section	.AMDGPU.csdata,"",@progbits
; Kernel info:
; codeLenInByte = 976
; NumSgprs: 28
; NumVgprs: 20
; NumAgprs: 0
; TotalNumVgprs: 20
; ScratchSize: 0
; MemoryBound: 0
; FloatMode: 240
; IeeeMode: 1
; LDSByteSize: 20 bytes/workgroup (compile time only)
; SGPRBlocks: 3
; VGPRBlocks: 2
; NumSGPRsForWavesPerEU: 28
; NumVGPRsForWavesPerEU: 20
; AccumOffset: 20
; Occupancy: 8
; WaveLimiterHint : 0
; COMPUTE_PGM_RSRC2:SCRATCH_EN: 0
; COMPUTE_PGM_RSRC2:USER_SGPR: 2
; COMPUTE_PGM_RSRC2:TRAP_HANDLER: 0
; COMPUTE_PGM_RSRC2:TGID_X_EN: 1
; COMPUTE_PGM_RSRC2:TGID_Y_EN: 0
; COMPUTE_PGM_RSRC2:TGID_Z_EN: 0
; COMPUTE_PGM_RSRC2:TIDIG_COMP_CNT: 0
; COMPUTE_PGM_RSRC3_GFX90A:ACCUM_OFFSET: 4
; COMPUTE_PGM_RSRC3_GFX90A:TG_SPLIT: 0
	.section	.text._ZN9rocsparseL48csr2gebsr_nnz_wavefront_per_row_multipass_kernelILj256ELj8ELi16EEEviiiiii21rocsparse_index_base_PKiS3_S1_Pi,"axG",@progbits,_ZN9rocsparseL48csr2gebsr_nnz_wavefront_per_row_multipass_kernelILj256ELj8ELi16EEEviiiiii21rocsparse_index_base_PKiS3_S1_Pi,comdat
	.globl	_ZN9rocsparseL48csr2gebsr_nnz_wavefront_per_row_multipass_kernelILj256ELj8ELi16EEEviiiiii21rocsparse_index_base_PKiS3_S1_Pi ; -- Begin function _ZN9rocsparseL48csr2gebsr_nnz_wavefront_per_row_multipass_kernelILj256ELj8ELi16EEEviiiiii21rocsparse_index_base_PKiS3_S1_Pi
	.p2align	8
	.type	_ZN9rocsparseL48csr2gebsr_nnz_wavefront_per_row_multipass_kernelILj256ELj8ELi16EEEviiiiii21rocsparse_index_base_PKiS3_S1_Pi,@function
_ZN9rocsparseL48csr2gebsr_nnz_wavefront_per_row_multipass_kernelILj256ELj8ELi16EEEviiiiii21rocsparse_index_base_PKiS3_S1_Pi: ; @_ZN9rocsparseL48csr2gebsr_nnz_wavefront_per_row_multipass_kernelILj256ELj8ELi16EEEviiiiii21rocsparse_index_base_PKiS3_S1_Pi
; %bb.0:
	s_load_dword s6, s[0:1], 0x0
	s_load_dwordx4 s[8:11], s[0:1], 0x8
	s_load_dword s16, s[0:1], 0x18
	s_load_dwordx2 s[4:5], s[0:1], 0x20
	v_lshrrev_b32_e32 v3, 4, v0
	v_bfe_u32 v8, v0, 1, 3
	v_lshl_or_b32 v2, s2, 4, v3
	s_waitcnt lgkmcnt(0)
	v_mad_u64_u32 v[4:5], s[2:3], v2, s10, v[8:9]
	v_cmp_gt_i32_e32 vcc, s6, v4
	v_cmp_gt_i32_e64 s[2:3], s10, v8
	v_lshlrev_b32_e32 v6, 2, v3
	v_mov_b32_e32 v7, 0
	s_and_b64 s[2:3], s[2:3], vcc
	v_mov_b32_e32 v1, 0
	ds_write_b32 v6, v7
	s_waitcnt lgkmcnt(0)
	s_barrier
	s_and_saveexec_b64 s[6:7], s[2:3]
	s_cbranch_execz .LBB11_2
; %bb.1:
	v_ashrrev_i32_e32 v5, 31, v4
	v_lshl_add_u64 v[8:9], v[4:5], 2, s[4:5]
	global_load_dword v1, v[8:9], off
	s_waitcnt vmcnt(0)
	v_subrev_u32_e32 v1, s16, v1
.LBB11_2:
	s_or_b64 exec, exec, s[6:7]
	s_and_saveexec_b64 s[6:7], s[2:3]
	s_cbranch_execz .LBB11_4
; %bb.3:
	v_ashrrev_i32_e32 v5, 31, v4
	v_lshl_add_u64 v[4:5], v[4:5], 2, s[4:5]
	global_load_dword v4, v[4:5], off offset:4
	s_waitcnt vmcnt(0)
	v_subrev_u32_e32 v7, s16, v4
.LBB11_4:
	s_or_b64 exec, exec, s[6:7]
	v_and_b32_e32 v4, 15, v0
	s_cmp_lt_i32 s9, 1
	v_cmp_eq_u32_e32 vcc, 0, v4
	s_cbranch_scc1 .LBB11_18
; %bb.5:
	s_abs_i32 s17, s11
	v_cvt_f32_u32_e32 v9, s17
	v_and_b32_e32 v5, 1, v0
	v_mbcnt_lo_u32_b32 v0, -1, 0
	s_load_dwordx2 s[6:7], s[0:1], 0x28
	v_rcp_iflag_f32_e32 v10, v9
	v_mbcnt_hi_u32_b32 v0, -1, v0
	v_lshlrev_b32_e32 v0, 2, v0
	s_sub_i32 s2, 0, s17
	v_mul_f32_e32 v10, 0x4f7ffffe, v10
	v_cvt_u32_f32_e32 v11, v10
	v_or_b32_e32 v9, 4, v0
	v_or_b32_e32 v10, 60, v0
	v_mov_b32_e32 v8, 0
	v_mul_lo_u32 v0, s2, v11
	v_mul_hi_u32 v0, v11, v0
	s_ashr_i32 s18, s11, 31
	v_add_u32_e32 v11, v11, v0
	s_mov_b64 s[10:11], 0
	v_mov_b32_e32 v12, 1
	v_mov_b32_e32 v14, 0
	s_branch .LBB11_7
.LBB11_6:                               ;   in Loop: Header=BB11_7 Depth=1
	s_or_b64 exec, exec, s[2:3]
	v_mov_b32_dpp v0, v13 row_shr:1 row_mask:0xf bank_mask:0xf
	v_min_i32_e32 v0, v0, v13
	s_waitcnt lgkmcnt(0)
	s_nop 0
	v_mov_b32_dpp v13, v0 row_shr:2 row_mask:0xf bank_mask:0xf
	v_min_i32_e32 v0, v13, v0
	s_nop 1
	v_mov_b32_dpp v13, v0 row_shr:4 row_mask:0xf bank_mask:0xe
	v_min_i32_e32 v0, v13, v0
	;; [unrolled: 3-line block ×3, first 2 shown]
	ds_bpermute_b32 v14, v10, v0
	s_waitcnt lgkmcnt(0)
	v_cmp_le_i32_e64 s[2:3], s9, v14
	s_or_b64 s[10:11], s[2:3], s[10:11]
	s_andn2_b64 exec, exec, s[10:11]
	s_cbranch_execz .LBB11_17
.LBB11_7:                               ; =>This Loop Header: Depth=1
                                        ;     Child Loop BB11_10 Depth 2
	v_add_u32_e32 v0, v1, v5
	v_cmp_lt_i32_e64 s[2:3], v0, v7
	v_mov_b32_e32 v13, s9
	v_mov_b32_e32 v15, v7
	ds_write_b8 v3, v8 offset:64
	s_waitcnt lgkmcnt(0)
	s_and_saveexec_b64 s[12:13], s[2:3]
	s_cbranch_execz .LBB11_15
; %bb.8:                                ;   in Loop: Header=BB11_7 Depth=1
	s_mov_b64 s[14:15], 0
	v_mov_b32_e32 v13, s9
	v_mov_b32_e32 v15, v7
	s_branch .LBB11_10
.LBB11_9:                               ;   in Loop: Header=BB11_10 Depth=2
	s_or_b64 exec, exec, s[4:5]
	v_add_u32_e32 v0, 2, v0
	v_cmp_ge_i32_e64 s[4:5], v0, v7
	s_xor_b64 s[2:3], s[2:3], -1
	s_or_b64 s[2:3], s[2:3], s[4:5]
	s_and_b64 s[2:3], exec, s[2:3]
	s_or_b64 s[14:15], s[2:3], s[14:15]
	s_andn2_b64 exec, exec, s[14:15]
	s_cbranch_execz .LBB11_14
.LBB11_10:                              ;   Parent Loop BB11_7 Depth=1
                                        ; =>  This Inner Loop Header: Depth=2
	v_ashrrev_i32_e32 v1, 31, v0
	v_lshl_add_u64 v[16:17], v[0:1], 2, s[6:7]
	global_load_dword v1, v[16:17], off
	s_waitcnt vmcnt(0)
	v_subrev_u32_e32 v1, s16, v1
	v_sub_u32_e32 v17, 0, v1
	v_ashrrev_i32_e32 v16, 31, v1
	v_max_i32_e32 v1, v1, v17
	v_mul_hi_u32 v17, v1, v11
	v_mul_lo_u32 v18, v17, s17
	v_sub_u32_e32 v1, v1, v18
	v_add_u32_e32 v19, 1, v17
	v_cmp_le_u32_e64 s[2:3], s17, v1
	v_subrev_u32_e32 v18, s17, v1
	v_xor_b32_e32 v16, s18, v16
	v_cndmask_b32_e64 v17, v17, v19, s[2:3]
	v_cndmask_b32_e64 v1, v1, v18, s[2:3]
	v_add_u32_e32 v18, 1, v17
	v_cmp_le_u32_e64 s[2:3], s17, v1
	s_nop 1
	v_cndmask_b32_e64 v1, v17, v18, s[2:3]
	v_xor_b32_e32 v1, v1, v16
	v_sub_u32_e32 v16, v1, v16
	v_cmp_eq_u32_e64 s[2:3], v16, v14
	v_cmp_ne_u32_e64 s[4:5], v16, v14
	v_mov_b32_e32 v1, v15
	s_and_saveexec_b64 s[20:21], s[4:5]
	s_xor_b64 s[4:5], exec, s[20:21]
; %bb.11:                               ;   in Loop: Header=BB11_10 Depth=2
	v_min_i32_e32 v13, v16, v13
                                        ; implicit-def: $vgpr1
; %bb.12:                               ;   in Loop: Header=BB11_10 Depth=2
	s_or_saveexec_b64 s[4:5], s[4:5]
	v_mov_b32_e32 v15, v0
	s_xor_b64 exec, exec, s[4:5]
	s_cbranch_execz .LBB11_9
; %bb.13:                               ;   in Loop: Header=BB11_10 Depth=2
	v_mov_b32_e32 v15, v1
	ds_write_b8 v3, v12 offset:64
	s_branch .LBB11_9
.LBB11_14:                              ;   in Loop: Header=BB11_7 Depth=1
	s_or_b64 exec, exec, s[14:15]
.LBB11_15:                              ;   in Loop: Header=BB11_7 Depth=1
	s_or_b64 exec, exec, s[12:13]
	s_waitcnt lgkmcnt(0)
	ds_read_u8 v0, v3 offset:64
	v_mov_b32_dpp v1, v15 row_shr:1 row_mask:0xf bank_mask:0xf
	v_min_i32_e32 v1, v1, v15
	ds_bpermute_b32 v1, v9, v1
	s_waitcnt lgkmcnt(1)
	v_and_b32_e32 v0, 1, v0
	v_cmp_eq_u32_e64 s[2:3], 1, v0
	s_and_b64 s[4:5], vcc, s[2:3]
	s_and_saveexec_b64 s[2:3], s[4:5]
	s_cbranch_execz .LBB11_6
; %bb.16:                               ;   in Loop: Header=BB11_7 Depth=1
	ds_read_b32 v0, v6
	s_waitcnt lgkmcnt(0)
	v_add_u32_e32 v0, 1, v0
	ds_write_b32 v6, v0
	s_branch .LBB11_6
.LBB11_17:
	s_or_b64 exec, exec, s[10:11]
.LBB11_18:
	v_cmp_eq_u32_e32 vcc, 0, v4
	s_and_saveexec_b64 s[2:3], vcc
	s_cbranch_execz .LBB11_21
; %bb.19:
	s_load_dword s4, s[0:1], 0x30
	s_load_dwordx2 s[2:3], s[0:1], 0x38
	v_mov_b32_e32 v3, 0
	v_cmp_gt_u32_e32 vcc, s8, v2
	s_waitcnt lgkmcnt(0)
	v_mov_b32_e32 v0, s4
	global_store_dword v3, v0, s[2:3]
	s_and_b64 exec, exec, vcc
	s_cbranch_execz .LBB11_21
; %bb.20:
	ds_read_b32 v4, v6
	v_lshl_add_u64 v[0:1], v[2:3], 2, s[2:3]
	s_waitcnt lgkmcnt(0)
	global_store_dword v[0:1], v4, off offset:4
.LBB11_21:
	s_endpgm
	.section	.rodata,"a",@progbits
	.p2align	6, 0x0
	.amdhsa_kernel _ZN9rocsparseL48csr2gebsr_nnz_wavefront_per_row_multipass_kernelILj256ELj8ELi16EEEviiiiii21rocsparse_index_base_PKiS3_S1_Pi
		.amdhsa_group_segment_fixed_size 80
		.amdhsa_private_segment_fixed_size 0
		.amdhsa_kernarg_size 64
		.amdhsa_user_sgpr_count 2
		.amdhsa_user_sgpr_dispatch_ptr 0
		.amdhsa_user_sgpr_queue_ptr 0
		.amdhsa_user_sgpr_kernarg_segment_ptr 1
		.amdhsa_user_sgpr_dispatch_id 0
		.amdhsa_user_sgpr_kernarg_preload_length 0
		.amdhsa_user_sgpr_kernarg_preload_offset 0
		.amdhsa_user_sgpr_private_segment_size 0
		.amdhsa_uses_dynamic_stack 0
		.amdhsa_enable_private_segment 0
		.amdhsa_system_sgpr_workgroup_id_x 1
		.amdhsa_system_sgpr_workgroup_id_y 0
		.amdhsa_system_sgpr_workgroup_id_z 0
		.amdhsa_system_sgpr_workgroup_info 0
		.amdhsa_system_vgpr_workitem_id 0
		.amdhsa_next_free_vgpr 20
		.amdhsa_next_free_sgpr 22
		.amdhsa_accum_offset 20
		.amdhsa_reserve_vcc 1
		.amdhsa_float_round_mode_32 0
		.amdhsa_float_round_mode_16_64 0
		.amdhsa_float_denorm_mode_32 3
		.amdhsa_float_denorm_mode_16_64 3
		.amdhsa_dx10_clamp 1
		.amdhsa_ieee_mode 1
		.amdhsa_fp16_overflow 0
		.amdhsa_tg_split 0
		.amdhsa_exception_fp_ieee_invalid_op 0
		.amdhsa_exception_fp_denorm_src 0
		.amdhsa_exception_fp_ieee_div_zero 0
		.amdhsa_exception_fp_ieee_overflow 0
		.amdhsa_exception_fp_ieee_underflow 0
		.amdhsa_exception_fp_ieee_inexact 0
		.amdhsa_exception_int_div_zero 0
	.end_amdhsa_kernel
	.section	.text._ZN9rocsparseL48csr2gebsr_nnz_wavefront_per_row_multipass_kernelILj256ELj8ELi16EEEviiiiii21rocsparse_index_base_PKiS3_S1_Pi,"axG",@progbits,_ZN9rocsparseL48csr2gebsr_nnz_wavefront_per_row_multipass_kernelILj256ELj8ELi16EEEviiiiii21rocsparse_index_base_PKiS3_S1_Pi,comdat
.Lfunc_end11:
	.size	_ZN9rocsparseL48csr2gebsr_nnz_wavefront_per_row_multipass_kernelILj256ELj8ELi16EEEviiiiii21rocsparse_index_base_PKiS3_S1_Pi, .Lfunc_end11-_ZN9rocsparseL48csr2gebsr_nnz_wavefront_per_row_multipass_kernelILj256ELj8ELi16EEEviiiiii21rocsparse_index_base_PKiS3_S1_Pi
                                        ; -- End function
	.section	.AMDGPU.csdata,"",@progbits
; Kernel info:
; codeLenInByte = 896
; NumSgprs: 28
; NumVgprs: 20
; NumAgprs: 0
; TotalNumVgprs: 20
; ScratchSize: 0
; MemoryBound: 0
; FloatMode: 240
; IeeeMode: 1
; LDSByteSize: 80 bytes/workgroup (compile time only)
; SGPRBlocks: 3
; VGPRBlocks: 2
; NumSGPRsForWavesPerEU: 28
; NumVGPRsForWavesPerEU: 20
; AccumOffset: 20
; Occupancy: 8
; WaveLimiterHint : 0
; COMPUTE_PGM_RSRC2:SCRATCH_EN: 0
; COMPUTE_PGM_RSRC2:USER_SGPR: 2
; COMPUTE_PGM_RSRC2:TRAP_HANDLER: 0
; COMPUTE_PGM_RSRC2:TGID_X_EN: 1
; COMPUTE_PGM_RSRC2:TGID_Y_EN: 0
; COMPUTE_PGM_RSRC2:TGID_Z_EN: 0
; COMPUTE_PGM_RSRC2:TIDIG_COMP_CNT: 0
; COMPUTE_PGM_RSRC3_GFX90A:ACCUM_OFFSET: 4
; COMPUTE_PGM_RSRC3_GFX90A:TG_SPLIT: 0
	.section	.text._ZN9rocsparseL48csr2gebsr_nnz_wavefront_per_row_multipass_kernelILj256ELj8ELi32EEEviiiiii21rocsparse_index_base_PKiS3_S1_Pi,"axG",@progbits,_ZN9rocsparseL48csr2gebsr_nnz_wavefront_per_row_multipass_kernelILj256ELj8ELi32EEEviiiiii21rocsparse_index_base_PKiS3_S1_Pi,comdat
	.globl	_ZN9rocsparseL48csr2gebsr_nnz_wavefront_per_row_multipass_kernelILj256ELj8ELi32EEEviiiiii21rocsparse_index_base_PKiS3_S1_Pi ; -- Begin function _ZN9rocsparseL48csr2gebsr_nnz_wavefront_per_row_multipass_kernelILj256ELj8ELi32EEEviiiiii21rocsparse_index_base_PKiS3_S1_Pi
	.p2align	8
	.type	_ZN9rocsparseL48csr2gebsr_nnz_wavefront_per_row_multipass_kernelILj256ELj8ELi32EEEviiiiii21rocsparse_index_base_PKiS3_S1_Pi,@function
_ZN9rocsparseL48csr2gebsr_nnz_wavefront_per_row_multipass_kernelILj256ELj8ELi32EEEviiiiii21rocsparse_index_base_PKiS3_S1_Pi: ; @_ZN9rocsparseL48csr2gebsr_nnz_wavefront_per_row_multipass_kernelILj256ELj8ELi32EEEviiiiii21rocsparse_index_base_PKiS3_S1_Pi
; %bb.0:
	s_load_dword s6, s[0:1], 0x0
	s_load_dwordx4 s[8:11], s[0:1], 0x8
	s_load_dword s16, s[0:1], 0x18
	s_load_dwordx2 s[4:5], s[0:1], 0x20
	v_lshrrev_b32_e32 v3, 5, v0
	v_bfe_u32 v8, v0, 2, 3
	v_lshl_or_b32 v2, s2, 3, v3
	s_waitcnt lgkmcnt(0)
	v_mad_u64_u32 v[4:5], s[2:3], v2, s10, v[8:9]
	v_cmp_gt_i32_e32 vcc, s6, v4
	v_cmp_gt_i32_e64 s[2:3], s10, v8
	v_lshlrev_b32_e32 v6, 2, v3
	v_mov_b32_e32 v7, 0
	s_and_b64 s[2:3], s[2:3], vcc
	v_mov_b32_e32 v1, 0
	ds_write_b32 v6, v7
	s_waitcnt lgkmcnt(0)
	s_barrier
	s_and_saveexec_b64 s[6:7], s[2:3]
	s_cbranch_execz .LBB12_2
; %bb.1:
	v_ashrrev_i32_e32 v5, 31, v4
	v_lshl_add_u64 v[8:9], v[4:5], 2, s[4:5]
	global_load_dword v1, v[8:9], off
	s_waitcnt vmcnt(0)
	v_subrev_u32_e32 v1, s16, v1
.LBB12_2:
	s_or_b64 exec, exec, s[6:7]
	s_and_saveexec_b64 s[6:7], s[2:3]
	s_cbranch_execz .LBB12_4
; %bb.3:
	v_ashrrev_i32_e32 v5, 31, v4
	v_lshl_add_u64 v[4:5], v[4:5], 2, s[4:5]
	global_load_dword v4, v[4:5], off offset:4
	s_waitcnt vmcnt(0)
	v_subrev_u32_e32 v7, s16, v4
.LBB12_4:
	s_or_b64 exec, exec, s[6:7]
	v_and_b32_e32 v4, 31, v0
	s_cmp_lt_i32 s9, 1
	v_cmp_eq_u32_e32 vcc, 0, v4
	s_cbranch_scc1 .LBB12_18
; %bb.5:
	s_abs_i32 s17, s11
	v_cvt_f32_u32_e32 v9, s17
	v_and_b32_e32 v5, 3, v0
	v_mbcnt_lo_u32_b32 v0, -1, 0
	s_load_dwordx2 s[6:7], s[0:1], 0x28
	v_rcp_iflag_f32_e32 v10, v9
	v_mbcnt_hi_u32_b32 v0, -1, v0
	v_lshlrev_b32_e32 v0, 2, v0
	s_sub_i32 s2, 0, s17
	v_mul_f32_e32 v10, 0x4f7ffffe, v10
	v_cvt_u32_f32_e32 v11, v10
	v_or_b32_e32 v9, 12, v0
	v_or_b32_e32 v10, 0x7c, v0
	v_mov_b32_e32 v8, 0
	v_mul_lo_u32 v0, s2, v11
	v_mul_hi_u32 v0, v11, v0
	s_ashr_i32 s18, s11, 31
	v_add_u32_e32 v11, v11, v0
	s_mov_b64 s[10:11], 0
	v_mov_b32_e32 v12, 1
	v_mov_b32_e32 v14, 0
	s_branch .LBB12_7
.LBB12_6:                               ;   in Loop: Header=BB12_7 Depth=1
	s_or_b64 exec, exec, s[2:3]
	v_mov_b32_dpp v0, v13 row_shr:1 row_mask:0xf bank_mask:0xf
	v_min_i32_e32 v0, v0, v13
	s_waitcnt lgkmcnt(0)
	s_nop 0
	v_mov_b32_dpp v13, v0 row_shr:2 row_mask:0xf bank_mask:0xf
	v_min_i32_e32 v0, v13, v0
	s_nop 1
	v_mov_b32_dpp v13, v0 row_shr:4 row_mask:0xf bank_mask:0xe
	v_min_i32_e32 v0, v13, v0
	;; [unrolled: 3-line block ×3, first 2 shown]
	s_nop 1
	v_mov_b32_dpp v13, v0 row_bcast:15 row_mask:0xa bank_mask:0xf
	v_min_i32_e32 v0, v13, v0
	ds_bpermute_b32 v14, v10, v0
	s_waitcnt lgkmcnt(0)
	v_cmp_le_i32_e64 s[2:3], s9, v14
	s_or_b64 s[10:11], s[2:3], s[10:11]
	s_andn2_b64 exec, exec, s[10:11]
	s_cbranch_execz .LBB12_17
.LBB12_7:                               ; =>This Loop Header: Depth=1
                                        ;     Child Loop BB12_10 Depth 2
	v_add_u32_e32 v0, v1, v5
	v_cmp_lt_i32_e64 s[2:3], v0, v7
	v_mov_b32_e32 v13, s9
	v_mov_b32_e32 v15, v7
	ds_write_b8 v3, v8 offset:32
	s_waitcnt lgkmcnt(0)
	s_and_saveexec_b64 s[12:13], s[2:3]
	s_cbranch_execz .LBB12_15
; %bb.8:                                ;   in Loop: Header=BB12_7 Depth=1
	s_mov_b64 s[14:15], 0
	v_mov_b32_e32 v13, s9
	v_mov_b32_e32 v15, v7
	s_branch .LBB12_10
.LBB12_9:                               ;   in Loop: Header=BB12_10 Depth=2
	s_or_b64 exec, exec, s[4:5]
	v_add_u32_e32 v0, 4, v0
	v_cmp_ge_i32_e64 s[4:5], v0, v7
	s_xor_b64 s[2:3], s[2:3], -1
	s_or_b64 s[2:3], s[2:3], s[4:5]
	s_and_b64 s[2:3], exec, s[2:3]
	s_or_b64 s[14:15], s[2:3], s[14:15]
	s_andn2_b64 exec, exec, s[14:15]
	s_cbranch_execz .LBB12_14
.LBB12_10:                              ;   Parent Loop BB12_7 Depth=1
                                        ; =>  This Inner Loop Header: Depth=2
	v_ashrrev_i32_e32 v1, 31, v0
	v_lshl_add_u64 v[16:17], v[0:1], 2, s[6:7]
	global_load_dword v1, v[16:17], off
	s_waitcnt vmcnt(0)
	v_subrev_u32_e32 v1, s16, v1
	v_sub_u32_e32 v17, 0, v1
	v_ashrrev_i32_e32 v16, 31, v1
	v_max_i32_e32 v1, v1, v17
	v_mul_hi_u32 v17, v1, v11
	v_mul_lo_u32 v18, v17, s17
	v_sub_u32_e32 v1, v1, v18
	v_add_u32_e32 v19, 1, v17
	v_cmp_le_u32_e64 s[2:3], s17, v1
	v_subrev_u32_e32 v18, s17, v1
	v_xor_b32_e32 v16, s18, v16
	v_cndmask_b32_e64 v17, v17, v19, s[2:3]
	v_cndmask_b32_e64 v1, v1, v18, s[2:3]
	v_add_u32_e32 v18, 1, v17
	v_cmp_le_u32_e64 s[2:3], s17, v1
	s_nop 1
	v_cndmask_b32_e64 v1, v17, v18, s[2:3]
	v_xor_b32_e32 v1, v1, v16
	v_sub_u32_e32 v16, v1, v16
	v_cmp_eq_u32_e64 s[2:3], v16, v14
	v_cmp_ne_u32_e64 s[4:5], v16, v14
	v_mov_b32_e32 v1, v15
	s_and_saveexec_b64 s[20:21], s[4:5]
	s_xor_b64 s[4:5], exec, s[20:21]
; %bb.11:                               ;   in Loop: Header=BB12_10 Depth=2
	v_min_i32_e32 v13, v16, v13
                                        ; implicit-def: $vgpr1
; %bb.12:                               ;   in Loop: Header=BB12_10 Depth=2
	s_or_saveexec_b64 s[4:5], s[4:5]
	v_mov_b32_e32 v15, v0
	s_xor_b64 exec, exec, s[4:5]
	s_cbranch_execz .LBB12_9
; %bb.13:                               ;   in Loop: Header=BB12_10 Depth=2
	v_mov_b32_e32 v15, v1
	ds_write_b8 v3, v12 offset:32
	s_branch .LBB12_9
.LBB12_14:                              ;   in Loop: Header=BB12_7 Depth=1
	s_or_b64 exec, exec, s[14:15]
.LBB12_15:                              ;   in Loop: Header=BB12_7 Depth=1
	s_or_b64 exec, exec, s[12:13]
	v_mov_b32_dpp v0, v15 row_shr:1 row_mask:0xf bank_mask:0xf
	s_waitcnt lgkmcnt(0)
	v_min_i32_e32 v0, v0, v15
	ds_read_u8 v14, v3 offset:32
	s_nop 0
	v_mov_b32_dpp v1, v0 row_shr:2 row_mask:0xf bank_mask:0xf
	v_min_i32_e32 v0, v1, v0
	ds_bpermute_b32 v1, v9, v0
	s_waitcnt lgkmcnt(1)
	v_and_b32_e32 v0, 1, v14
	v_cmp_eq_u32_e64 s[2:3], 1, v0
	s_and_b64 s[4:5], vcc, s[2:3]
	s_and_saveexec_b64 s[2:3], s[4:5]
	s_cbranch_execz .LBB12_6
; %bb.16:                               ;   in Loop: Header=BB12_7 Depth=1
	ds_read_b32 v0, v6
	s_waitcnt lgkmcnt(0)
	v_add_u32_e32 v0, 1, v0
	ds_write_b32 v6, v0
	s_branch .LBB12_6
.LBB12_17:
	s_or_b64 exec, exec, s[10:11]
.LBB12_18:
	v_cmp_eq_u32_e32 vcc, 0, v4
	s_and_saveexec_b64 s[2:3], vcc
	s_cbranch_execz .LBB12_21
; %bb.19:
	s_load_dword s4, s[0:1], 0x30
	s_load_dwordx2 s[2:3], s[0:1], 0x38
	v_mov_b32_e32 v3, 0
	v_cmp_gt_u32_e32 vcc, s8, v2
	s_waitcnt lgkmcnt(0)
	v_mov_b32_e32 v0, s4
	global_store_dword v3, v0, s[2:3]
	s_and_b64 exec, exec, vcc
	s_cbranch_execz .LBB12_21
; %bb.20:
	ds_read_b32 v4, v6
	v_lshl_add_u64 v[0:1], v[2:3], 2, s[2:3]
	s_waitcnt lgkmcnt(0)
	global_store_dword v[0:1], v4, off offset:4
.LBB12_21:
	s_endpgm
	.section	.rodata,"a",@progbits
	.p2align	6, 0x0
	.amdhsa_kernel _ZN9rocsparseL48csr2gebsr_nnz_wavefront_per_row_multipass_kernelILj256ELj8ELi32EEEviiiiii21rocsparse_index_base_PKiS3_S1_Pi
		.amdhsa_group_segment_fixed_size 40
		.amdhsa_private_segment_fixed_size 0
		.amdhsa_kernarg_size 64
		.amdhsa_user_sgpr_count 2
		.amdhsa_user_sgpr_dispatch_ptr 0
		.amdhsa_user_sgpr_queue_ptr 0
		.amdhsa_user_sgpr_kernarg_segment_ptr 1
		.amdhsa_user_sgpr_dispatch_id 0
		.amdhsa_user_sgpr_kernarg_preload_length 0
		.amdhsa_user_sgpr_kernarg_preload_offset 0
		.amdhsa_user_sgpr_private_segment_size 0
		.amdhsa_uses_dynamic_stack 0
		.amdhsa_enable_private_segment 0
		.amdhsa_system_sgpr_workgroup_id_x 1
		.amdhsa_system_sgpr_workgroup_id_y 0
		.amdhsa_system_sgpr_workgroup_id_z 0
		.amdhsa_system_sgpr_workgroup_info 0
		.amdhsa_system_vgpr_workitem_id 0
		.amdhsa_next_free_vgpr 20
		.amdhsa_next_free_sgpr 22
		.amdhsa_accum_offset 20
		.amdhsa_reserve_vcc 1
		.amdhsa_float_round_mode_32 0
		.amdhsa_float_round_mode_16_64 0
		.amdhsa_float_denorm_mode_32 3
		.amdhsa_float_denorm_mode_16_64 3
		.amdhsa_dx10_clamp 1
		.amdhsa_ieee_mode 1
		.amdhsa_fp16_overflow 0
		.amdhsa_tg_split 0
		.amdhsa_exception_fp_ieee_invalid_op 0
		.amdhsa_exception_fp_denorm_src 0
		.amdhsa_exception_fp_ieee_div_zero 0
		.amdhsa_exception_fp_ieee_overflow 0
		.amdhsa_exception_fp_ieee_underflow 0
		.amdhsa_exception_fp_ieee_inexact 0
		.amdhsa_exception_int_div_zero 0
	.end_amdhsa_kernel
	.section	.text._ZN9rocsparseL48csr2gebsr_nnz_wavefront_per_row_multipass_kernelILj256ELj8ELi32EEEviiiiii21rocsparse_index_base_PKiS3_S1_Pi,"axG",@progbits,_ZN9rocsparseL48csr2gebsr_nnz_wavefront_per_row_multipass_kernelILj256ELj8ELi32EEEviiiiii21rocsparse_index_base_PKiS3_S1_Pi,comdat
.Lfunc_end12:
	.size	_ZN9rocsparseL48csr2gebsr_nnz_wavefront_per_row_multipass_kernelILj256ELj8ELi32EEEviiiiii21rocsparse_index_base_PKiS3_S1_Pi, .Lfunc_end12-_ZN9rocsparseL48csr2gebsr_nnz_wavefront_per_row_multipass_kernelILj256ELj8ELi32EEEviiiiii21rocsparse_index_base_PKiS3_S1_Pi
                                        ; -- End function
	.section	.AMDGPU.csdata,"",@progbits
; Kernel info:
; codeLenInByte = 932
; NumSgprs: 28
; NumVgprs: 20
; NumAgprs: 0
; TotalNumVgprs: 20
; ScratchSize: 0
; MemoryBound: 0
; FloatMode: 240
; IeeeMode: 1
; LDSByteSize: 40 bytes/workgroup (compile time only)
; SGPRBlocks: 3
; VGPRBlocks: 2
; NumSGPRsForWavesPerEU: 28
; NumVGPRsForWavesPerEU: 20
; AccumOffset: 20
; Occupancy: 8
; WaveLimiterHint : 0
; COMPUTE_PGM_RSRC2:SCRATCH_EN: 0
; COMPUTE_PGM_RSRC2:USER_SGPR: 2
; COMPUTE_PGM_RSRC2:TRAP_HANDLER: 0
; COMPUTE_PGM_RSRC2:TGID_X_EN: 1
; COMPUTE_PGM_RSRC2:TGID_Y_EN: 0
; COMPUTE_PGM_RSRC2:TGID_Z_EN: 0
; COMPUTE_PGM_RSRC2:TIDIG_COMP_CNT: 0
; COMPUTE_PGM_RSRC3_GFX90A:ACCUM_OFFSET: 4
; COMPUTE_PGM_RSRC3_GFX90A:TG_SPLIT: 0
	.section	.text._ZN9rocsparseL48csr2gebsr_nnz_wavefront_per_row_multipass_kernelILj256ELj8ELi64EEEviiiiii21rocsparse_index_base_PKiS3_S1_Pi,"axG",@progbits,_ZN9rocsparseL48csr2gebsr_nnz_wavefront_per_row_multipass_kernelILj256ELj8ELi64EEEviiiiii21rocsparse_index_base_PKiS3_S1_Pi,comdat
	.globl	_ZN9rocsparseL48csr2gebsr_nnz_wavefront_per_row_multipass_kernelILj256ELj8ELi64EEEviiiiii21rocsparse_index_base_PKiS3_S1_Pi ; -- Begin function _ZN9rocsparseL48csr2gebsr_nnz_wavefront_per_row_multipass_kernelILj256ELj8ELi64EEEviiiiii21rocsparse_index_base_PKiS3_S1_Pi
	.p2align	8
	.type	_ZN9rocsparseL48csr2gebsr_nnz_wavefront_per_row_multipass_kernelILj256ELj8ELi64EEEviiiiii21rocsparse_index_base_PKiS3_S1_Pi,@function
_ZN9rocsparseL48csr2gebsr_nnz_wavefront_per_row_multipass_kernelILj256ELj8ELi64EEEviiiiii21rocsparse_index_base_PKiS3_S1_Pi: ; @_ZN9rocsparseL48csr2gebsr_nnz_wavefront_per_row_multipass_kernelILj256ELj8ELi64EEEviiiiii21rocsparse_index_base_PKiS3_S1_Pi
; %bb.0:
	s_load_dword s6, s[0:1], 0x0
	s_load_dwordx4 s[8:11], s[0:1], 0x8
	s_load_dword s16, s[0:1], 0x18
	s_load_dwordx2 s[4:5], s[0:1], 0x20
	v_lshrrev_b32_e32 v3, 6, v0
	v_bfe_u32 v8, v0, 3, 3
	v_lshl_or_b32 v2, s2, 2, v3
	s_waitcnt lgkmcnt(0)
	v_mad_u64_u32 v[4:5], s[2:3], v2, s10, v[8:9]
	v_cmp_gt_i32_e32 vcc, s6, v4
	v_cmp_gt_i32_e64 s[2:3], s10, v8
	v_lshlrev_b32_e32 v6, 2, v3
	v_mov_b32_e32 v7, 0
	s_and_b64 s[2:3], s[2:3], vcc
	v_mov_b32_e32 v1, 0
	ds_write_b32 v6, v7
	s_waitcnt lgkmcnt(0)
	s_barrier
	s_and_saveexec_b64 s[6:7], s[2:3]
	s_cbranch_execz .LBB13_2
; %bb.1:
	v_ashrrev_i32_e32 v5, 31, v4
	v_lshl_add_u64 v[8:9], v[4:5], 2, s[4:5]
	global_load_dword v1, v[8:9], off
	s_waitcnt vmcnt(0)
	v_subrev_u32_e32 v1, s16, v1
.LBB13_2:
	s_or_b64 exec, exec, s[6:7]
	s_and_saveexec_b64 s[6:7], s[2:3]
	s_cbranch_execz .LBB13_4
; %bb.3:
	v_ashrrev_i32_e32 v5, 31, v4
	v_lshl_add_u64 v[4:5], v[4:5], 2, s[4:5]
	global_load_dword v4, v[4:5], off offset:4
	s_waitcnt vmcnt(0)
	v_subrev_u32_e32 v7, s16, v4
.LBB13_4:
	s_or_b64 exec, exec, s[6:7]
	v_and_b32_e32 v4, 63, v0
	s_cmp_lt_i32 s9, 1
	v_cmp_eq_u32_e32 vcc, 0, v4
	s_cbranch_scc1 .LBB13_18
; %bb.5:
	s_abs_i32 s17, s11
	v_cvt_f32_u32_e32 v9, s17
	v_and_b32_e32 v5, 7, v0
	v_mbcnt_lo_u32_b32 v0, -1, 0
	s_load_dwordx2 s[6:7], s[0:1], 0x28
	v_rcp_iflag_f32_e32 v10, v9
	v_mbcnt_hi_u32_b32 v0, -1, v0
	v_lshlrev_b32_e32 v0, 2, v0
	s_sub_i32 s2, 0, s17
	v_mul_f32_e32 v10, 0x4f7ffffe, v10
	v_cvt_u32_f32_e32 v11, v10
	v_or_b32_e32 v9, 28, v0
	v_or_b32_e32 v10, 0xfc, v0
	v_mov_b32_e32 v8, 0
	v_mul_lo_u32 v0, s2, v11
	v_mul_hi_u32 v0, v11, v0
	s_ashr_i32 s18, s11, 31
	v_add_u32_e32 v11, v11, v0
	s_mov_b64 s[10:11], 0
	v_mov_b32_e32 v12, 1
	v_mov_b32_e32 v14, 0
	s_branch .LBB13_7
.LBB13_6:                               ;   in Loop: Header=BB13_7 Depth=1
	s_or_b64 exec, exec, s[2:3]
	v_mov_b32_dpp v0, v13 row_shr:1 row_mask:0xf bank_mask:0xf
	v_min_i32_e32 v0, v0, v13
	s_waitcnt lgkmcnt(0)
	s_nop 0
	v_mov_b32_dpp v13, v0 row_shr:2 row_mask:0xf bank_mask:0xf
	v_min_i32_e32 v0, v13, v0
	s_nop 1
	v_mov_b32_dpp v13, v0 row_shr:4 row_mask:0xf bank_mask:0xe
	v_min_i32_e32 v0, v13, v0
	;; [unrolled: 3-line block ×3, first 2 shown]
	s_nop 1
	v_mov_b32_dpp v13, v0 row_bcast:15 row_mask:0xa bank_mask:0xf
	v_min_i32_e32 v0, v13, v0
	s_nop 1
	v_mov_b32_dpp v13, v0 row_bcast:31 row_mask:0xc bank_mask:0xf
	v_min_i32_e32 v0, v13, v0
	ds_bpermute_b32 v14, v10, v0
	s_waitcnt lgkmcnt(0)
	v_cmp_le_i32_e64 s[2:3], s9, v14
	s_or_b64 s[10:11], s[2:3], s[10:11]
	s_andn2_b64 exec, exec, s[10:11]
	s_cbranch_execz .LBB13_17
.LBB13_7:                               ; =>This Loop Header: Depth=1
                                        ;     Child Loop BB13_10 Depth 2
	v_add_u32_e32 v0, v1, v5
	v_cmp_lt_i32_e64 s[2:3], v0, v7
	v_mov_b32_e32 v13, s9
	v_mov_b32_e32 v15, v7
	ds_write_b8 v3, v8 offset:16
	s_waitcnt lgkmcnt(0)
	s_and_saveexec_b64 s[12:13], s[2:3]
	s_cbranch_execz .LBB13_15
; %bb.8:                                ;   in Loop: Header=BB13_7 Depth=1
	s_mov_b64 s[14:15], 0
	v_mov_b32_e32 v13, s9
	v_mov_b32_e32 v15, v7
	s_branch .LBB13_10
.LBB13_9:                               ;   in Loop: Header=BB13_10 Depth=2
	s_or_b64 exec, exec, s[4:5]
	v_add_u32_e32 v0, 8, v0
	v_cmp_ge_i32_e64 s[4:5], v0, v7
	s_xor_b64 s[2:3], s[2:3], -1
	s_or_b64 s[2:3], s[2:3], s[4:5]
	s_and_b64 s[2:3], exec, s[2:3]
	s_or_b64 s[14:15], s[2:3], s[14:15]
	s_andn2_b64 exec, exec, s[14:15]
	s_cbranch_execz .LBB13_14
.LBB13_10:                              ;   Parent Loop BB13_7 Depth=1
                                        ; =>  This Inner Loop Header: Depth=2
	v_ashrrev_i32_e32 v1, 31, v0
	v_lshl_add_u64 v[16:17], v[0:1], 2, s[6:7]
	global_load_dword v1, v[16:17], off
	s_waitcnt vmcnt(0)
	v_subrev_u32_e32 v1, s16, v1
	v_sub_u32_e32 v17, 0, v1
	v_ashrrev_i32_e32 v16, 31, v1
	v_max_i32_e32 v1, v1, v17
	v_mul_hi_u32 v17, v1, v11
	v_mul_lo_u32 v18, v17, s17
	v_sub_u32_e32 v1, v1, v18
	v_add_u32_e32 v19, 1, v17
	v_cmp_le_u32_e64 s[2:3], s17, v1
	v_subrev_u32_e32 v18, s17, v1
	v_xor_b32_e32 v16, s18, v16
	v_cndmask_b32_e64 v17, v17, v19, s[2:3]
	v_cndmask_b32_e64 v1, v1, v18, s[2:3]
	v_add_u32_e32 v18, 1, v17
	v_cmp_le_u32_e64 s[2:3], s17, v1
	s_nop 1
	v_cndmask_b32_e64 v1, v17, v18, s[2:3]
	v_xor_b32_e32 v1, v1, v16
	v_sub_u32_e32 v16, v1, v16
	v_cmp_eq_u32_e64 s[2:3], v16, v14
	v_cmp_ne_u32_e64 s[4:5], v16, v14
	v_mov_b32_e32 v1, v15
	s_and_saveexec_b64 s[20:21], s[4:5]
	s_xor_b64 s[4:5], exec, s[20:21]
; %bb.11:                               ;   in Loop: Header=BB13_10 Depth=2
	v_min_i32_e32 v13, v16, v13
                                        ; implicit-def: $vgpr1
; %bb.12:                               ;   in Loop: Header=BB13_10 Depth=2
	s_or_saveexec_b64 s[4:5], s[4:5]
	v_mov_b32_e32 v15, v0
	s_xor_b64 exec, exec, s[4:5]
	s_cbranch_execz .LBB13_9
; %bb.13:                               ;   in Loop: Header=BB13_10 Depth=2
	v_mov_b32_e32 v15, v1
	ds_write_b8 v3, v12 offset:16
	s_branch .LBB13_9
.LBB13_14:                              ;   in Loop: Header=BB13_7 Depth=1
	s_or_b64 exec, exec, s[14:15]
.LBB13_15:                              ;   in Loop: Header=BB13_7 Depth=1
	s_or_b64 exec, exec, s[12:13]
	v_mov_b32_dpp v0, v15 row_shr:1 row_mask:0xf bank_mask:0xf
	v_min_i32_e32 v0, v0, v15
	s_waitcnt lgkmcnt(0)
	ds_read_u8 v14, v3 offset:16
	v_mov_b32_dpp v1, v0 row_shr:2 row_mask:0xf bank_mask:0xf
	v_min_i32_e32 v0, v1, v0
	s_nop 1
	v_mov_b32_dpp v1, v0 row_shr:4 row_mask:0xf bank_mask:0xe
	v_min_i32_e32 v0, v1, v0
	ds_bpermute_b32 v1, v9, v0
	s_waitcnt lgkmcnt(1)
	v_and_b32_e32 v0, 1, v14
	v_cmp_eq_u32_e64 s[2:3], 1, v0
	s_and_b64 s[4:5], vcc, s[2:3]
	s_and_saveexec_b64 s[2:3], s[4:5]
	s_cbranch_execz .LBB13_6
; %bb.16:                               ;   in Loop: Header=BB13_7 Depth=1
	ds_read_b32 v0, v6
	s_waitcnt lgkmcnt(0)
	v_add_u32_e32 v0, 1, v0
	ds_write_b32 v6, v0
	s_branch .LBB13_6
.LBB13_17:
	s_or_b64 exec, exec, s[10:11]
.LBB13_18:
	v_cmp_eq_u32_e32 vcc, 0, v4
	s_and_saveexec_b64 s[2:3], vcc
	s_cbranch_execz .LBB13_21
; %bb.19:
	s_load_dword s4, s[0:1], 0x30
	s_load_dwordx2 s[2:3], s[0:1], 0x38
	v_mov_b32_e32 v3, 0
	v_cmp_gt_u32_e32 vcc, s8, v2
	s_waitcnt lgkmcnt(0)
	v_mov_b32_e32 v0, s4
	global_store_dword v3, v0, s[2:3]
	s_and_b64 exec, exec, vcc
	s_cbranch_execz .LBB13_21
; %bb.20:
	ds_read_b32 v4, v6
	v_lshl_add_u64 v[0:1], v[2:3], 2, s[2:3]
	s_waitcnt lgkmcnt(0)
	global_store_dword v[0:1], v4, off offset:4
.LBB13_21:
	s_endpgm
	.section	.rodata,"a",@progbits
	.p2align	6, 0x0
	.amdhsa_kernel _ZN9rocsparseL48csr2gebsr_nnz_wavefront_per_row_multipass_kernelILj256ELj8ELi64EEEviiiiii21rocsparse_index_base_PKiS3_S1_Pi
		.amdhsa_group_segment_fixed_size 20
		.amdhsa_private_segment_fixed_size 0
		.amdhsa_kernarg_size 64
		.amdhsa_user_sgpr_count 2
		.amdhsa_user_sgpr_dispatch_ptr 0
		.amdhsa_user_sgpr_queue_ptr 0
		.amdhsa_user_sgpr_kernarg_segment_ptr 1
		.amdhsa_user_sgpr_dispatch_id 0
		.amdhsa_user_sgpr_kernarg_preload_length 0
		.amdhsa_user_sgpr_kernarg_preload_offset 0
		.amdhsa_user_sgpr_private_segment_size 0
		.amdhsa_uses_dynamic_stack 0
		.amdhsa_enable_private_segment 0
		.amdhsa_system_sgpr_workgroup_id_x 1
		.amdhsa_system_sgpr_workgroup_id_y 0
		.amdhsa_system_sgpr_workgroup_id_z 0
		.amdhsa_system_sgpr_workgroup_info 0
		.amdhsa_system_vgpr_workitem_id 0
		.amdhsa_next_free_vgpr 20
		.amdhsa_next_free_sgpr 22
		.amdhsa_accum_offset 20
		.amdhsa_reserve_vcc 1
		.amdhsa_float_round_mode_32 0
		.amdhsa_float_round_mode_16_64 0
		.amdhsa_float_denorm_mode_32 3
		.amdhsa_float_denorm_mode_16_64 3
		.amdhsa_dx10_clamp 1
		.amdhsa_ieee_mode 1
		.amdhsa_fp16_overflow 0
		.amdhsa_tg_split 0
		.amdhsa_exception_fp_ieee_invalid_op 0
		.amdhsa_exception_fp_denorm_src 0
		.amdhsa_exception_fp_ieee_div_zero 0
		.amdhsa_exception_fp_ieee_overflow 0
		.amdhsa_exception_fp_ieee_underflow 0
		.amdhsa_exception_fp_ieee_inexact 0
		.amdhsa_exception_int_div_zero 0
	.end_amdhsa_kernel
	.section	.text._ZN9rocsparseL48csr2gebsr_nnz_wavefront_per_row_multipass_kernelILj256ELj8ELi64EEEviiiiii21rocsparse_index_base_PKiS3_S1_Pi,"axG",@progbits,_ZN9rocsparseL48csr2gebsr_nnz_wavefront_per_row_multipass_kernelILj256ELj8ELi64EEEviiiiii21rocsparse_index_base_PKiS3_S1_Pi,comdat
.Lfunc_end13:
	.size	_ZN9rocsparseL48csr2gebsr_nnz_wavefront_per_row_multipass_kernelILj256ELj8ELi64EEEviiiiii21rocsparse_index_base_PKiS3_S1_Pi, .Lfunc_end13-_ZN9rocsparseL48csr2gebsr_nnz_wavefront_per_row_multipass_kernelILj256ELj8ELi64EEEviiiiii21rocsparse_index_base_PKiS3_S1_Pi
                                        ; -- End function
	.section	.AMDGPU.csdata,"",@progbits
; Kernel info:
; codeLenInByte = 960
; NumSgprs: 28
; NumVgprs: 20
; NumAgprs: 0
; TotalNumVgprs: 20
; ScratchSize: 0
; MemoryBound: 0
; FloatMode: 240
; IeeeMode: 1
; LDSByteSize: 20 bytes/workgroup (compile time only)
; SGPRBlocks: 3
; VGPRBlocks: 2
; NumSGPRsForWavesPerEU: 28
; NumVGPRsForWavesPerEU: 20
; AccumOffset: 20
; Occupancy: 8
; WaveLimiterHint : 0
; COMPUTE_PGM_RSRC2:SCRATCH_EN: 0
; COMPUTE_PGM_RSRC2:USER_SGPR: 2
; COMPUTE_PGM_RSRC2:TRAP_HANDLER: 0
; COMPUTE_PGM_RSRC2:TGID_X_EN: 1
; COMPUTE_PGM_RSRC2:TGID_Y_EN: 0
; COMPUTE_PGM_RSRC2:TGID_Z_EN: 0
; COMPUTE_PGM_RSRC2:TIDIG_COMP_CNT: 0
; COMPUTE_PGM_RSRC3_GFX90A:ACCUM_OFFSET: 4
; COMPUTE_PGM_RSRC3_GFX90A:TG_SPLIT: 0
	.section	.text._ZN9rocsparseL44csr2gebsr_nnz_block_per_row_multipass_kernelILj256ELj16EEEviiiiii21rocsparse_index_base_PKiS3_S1_Pi,"axG",@progbits,_ZN9rocsparseL44csr2gebsr_nnz_block_per_row_multipass_kernelILj256ELj16EEEviiiiii21rocsparse_index_base_PKiS3_S1_Pi,comdat
	.globl	_ZN9rocsparseL44csr2gebsr_nnz_block_per_row_multipass_kernelILj256ELj16EEEviiiiii21rocsparse_index_base_PKiS3_S1_Pi ; -- Begin function _ZN9rocsparseL44csr2gebsr_nnz_block_per_row_multipass_kernelILj256ELj16EEEviiiiii21rocsparse_index_base_PKiS3_S1_Pi
	.p2align	8
	.type	_ZN9rocsparseL44csr2gebsr_nnz_block_per_row_multipass_kernelILj256ELj16EEEviiiiii21rocsparse_index_base_PKiS3_S1_Pi,@function
_ZN9rocsparseL44csr2gebsr_nnz_block_per_row_multipass_kernelILj256ELj16EEEviiiiii21rocsparse_index_base_PKiS3_S1_Pi: ; @_ZN9rocsparseL44csr2gebsr_nnz_block_per_row_multipass_kernelILj256ELj16EEEviiiiii21rocsparse_index_base_PKiS3_S1_Pi
; %bb.0:
	s_load_dwordx4 s[24:27], s[0:1], 0xc
	s_load_dword s3, s[0:1], 0x0
	s_load_dwordx2 s[6:7], s[0:1], 0x20
	v_lshrrev_b32_e32 v3, 4, v0
	v_mov_b32_e32 v1, 0
	s_waitcnt lgkmcnt(0)
	s_mul_i32 s4, s2, s25
	v_add_u32_e32 v2, s4, v3
	v_cmp_gt_i32_e32 vcc, s3, v2
	v_cmp_gt_i32_e64 s[4:5], s25, v3
	s_and_b64 s[4:5], s[4:5], vcc
	v_mov_b32_e32 v11, 0
	ds_write_b32 v1, v1 offset:1024
	s_waitcnt lgkmcnt(0)
	s_barrier
	s_and_saveexec_b64 s[8:9], s[4:5]
	s_cbranch_execnz .LBB14_3
; %bb.1:
	s_or_b64 exec, exec, s[8:9]
	s_and_saveexec_b64 s[8:9], s[4:5]
	s_cbranch_execnz .LBB14_4
.LBB14_2:
	s_or_b64 exec, exec, s[8:9]
	s_cmp_lt_i32 s24, 1
	v_cmp_eq_u32_e64 s[4:5], 0, v0
	s_cbranch_scc0 .LBB14_5
	s_branch .LBB14_33
.LBB14_3:
	v_ashrrev_i32_e32 v3, 31, v2
	v_lshl_add_u64 v[4:5], v[2:3], 2, s[6:7]
	global_load_dword v3, v[4:5], off
	s_waitcnt vmcnt(0)
	v_subrev_u32_e32 v11, s27, v3
	s_or_b64 exec, exec, s[8:9]
	s_and_saveexec_b64 s[8:9], s[4:5]
	s_cbranch_execz .LBB14_2
.LBB14_4:
	v_ashrrev_i32_e32 v3, 31, v2
	v_lshl_add_u64 v[2:3], v[2:3], 2, s[6:7]
	global_load_dword v1, v[2:3], off offset:4
	s_waitcnt vmcnt(0)
	v_subrev_u32_e32 v1, s27, v1
	s_or_b64 exec, exec, s[8:9]
	s_cmp_lt_i32 s24, 1
	v_cmp_eq_u32_e64 s[4:5], 0, v0
	s_cbranch_scc1 .LBB14_33
.LBB14_5:
	v_mbcnt_lo_u32_b32 v2, -1, 0
	v_mbcnt_hi_u32_b32 v2, -1, v2
	s_abs_i32 s3, s26
	v_lshl_or_b32 v6, v2, 2, 60
	v_cvt_f32_u32_e32 v2, s3
	s_load_dwordx2 s[22:23], s[0:1], 0x28
	s_sub_i32 s20, 0, s3
	s_movk_i32 s6, 0x80
	v_rcp_iflag_f32_e32 v2, v2
	v_and_b32_e32 v4, 15, v0
	v_mov_b32_e32 v5, 0
	v_lshlrev_b32_e32 v7, 2, v0
	v_mul_f32_e32 v2, 0x4f7ffffe, v2
	v_cvt_u32_f32_e32 v2, v2
	v_cmp_gt_u32_e64 s[6:7], s6, v0
	v_cmp_gt_u32_e64 s[8:9], 64, v0
	;; [unrolled: 1-line block ×3, first 2 shown]
	v_mul_lo_u32 v3, s20, v2
	v_mul_hi_u32 v3, v2, v3
	v_cmp_gt_u32_e64 s[12:13], 16, v0
	v_cmp_gt_u32_e64 s[14:15], 8, v0
	;; [unrolled: 1-line block ×4, first 2 shown]
	s_ashr_i32 s25, s26, 31
	v_add_u32_e32 v8, v2, v3
	v_mov_b32_e32 v9, 0
	v_mov_b32_e32 v10, 1
	;; [unrolled: 1-line block ×3, first 2 shown]
	s_branch .LBB14_7
.LBB14_6:                               ;   in Loop: Header=BB14_7 Depth=1
	s_or_b64 exec, exec, s[20:21]
	s_waitcnt lgkmcnt(0)
	s_barrier
	ds_read_b32 v13, v9
	s_waitcnt lgkmcnt(0)
	s_barrier
	v_cmp_gt_i32_e32 vcc, s24, v13
	s_cbranch_vccz .LBB14_33
.LBB14_7:                               ; =>This Loop Header: Depth=1
                                        ;     Child Loop BB14_10 Depth 2
	v_add_u32_e32 v2, v11, v4
	v_cmp_lt_i32_e32 vcc, v2, v1
	v_mov_b32_e32 v12, s24
	v_mov_b32_e32 v11, v1
	ds_write_b8 v9, v5 offset:1028
	s_waitcnt lgkmcnt(0)
	s_barrier
	s_and_saveexec_b64 s[28:29], vcc
	s_cbranch_execz .LBB14_15
; %bb.8:                                ;   in Loop: Header=BB14_7 Depth=1
	s_mov_b64 s[30:31], 0
	v_mov_b32_e32 v12, s24
	v_mov_b32_e32 v11, v1
	s_branch .LBB14_10
.LBB14_9:                               ;   in Loop: Header=BB14_10 Depth=2
	s_or_b64 exec, exec, s[20:21]
	v_add_u32_e32 v2, 16, v2
	v_cmp_ge_i32_e64 s[20:21], v2, v1
	s_xor_b64 s[34:35], vcc, -1
	s_or_b64 s[20:21], s[34:35], s[20:21]
	s_and_b64 s[20:21], exec, s[20:21]
	s_or_b64 s[30:31], s[20:21], s[30:31]
	s_andn2_b64 exec, exec, s[30:31]
	s_cbranch_execz .LBB14_14
.LBB14_10:                              ;   Parent Loop BB14_7 Depth=1
                                        ; =>  This Inner Loop Header: Depth=2
	v_ashrrev_i32_e32 v3, 31, v2
	v_lshl_add_u64 v[14:15], v[2:3], 2, s[22:23]
	global_load_dword v3, v[14:15], off
	s_waitcnt vmcnt(0)
	v_subrev_u32_e32 v3, s27, v3
	v_sub_u32_e32 v15, 0, v3
	v_ashrrev_i32_e32 v14, 31, v3
	v_max_i32_e32 v3, v3, v15
	v_mul_hi_u32 v15, v3, v8
	v_mul_lo_u32 v16, v15, s3
	v_sub_u32_e32 v3, v3, v16
	v_add_u32_e32 v17, 1, v15
	v_cmp_le_u32_e32 vcc, s3, v3
	v_subrev_u32_e32 v16, s3, v3
	v_xor_b32_e32 v14, s25, v14
	v_cndmask_b32_e32 v15, v15, v17, vcc
	v_cndmask_b32_e32 v3, v3, v16, vcc
	v_add_u32_e32 v16, 1, v15
	v_cmp_le_u32_e32 vcc, s3, v3
	s_nop 1
	v_cndmask_b32_e32 v3, v15, v16, vcc
	v_xor_b32_e32 v3, v3, v14
	v_sub_u32_e32 v14, v3, v14
	v_cmp_eq_u32_e32 vcc, v14, v13
	v_cmp_ne_u32_e64 s[20:21], v14, v13
	v_mov_b32_e32 v3, v11
	s_and_saveexec_b64 s[34:35], s[20:21]
	s_xor_b64 s[20:21], exec, s[34:35]
; %bb.11:                               ;   in Loop: Header=BB14_10 Depth=2
	v_min_i32_e32 v12, v14, v12
                                        ; implicit-def: $vgpr3
; %bb.12:                               ;   in Loop: Header=BB14_10 Depth=2
	s_or_saveexec_b64 s[20:21], s[20:21]
	v_mov_b32_e32 v11, v2
	s_xor_b64 exec, exec, s[20:21]
	s_cbranch_execz .LBB14_9
; %bb.13:                               ;   in Loop: Header=BB14_10 Depth=2
	v_mov_b32_e32 v11, v3
	ds_write_b8 v9, v10 offset:1028
	s_branch .LBB14_9
.LBB14_14:                              ;   in Loop: Header=BB14_7 Depth=1
	s_or_b64 exec, exec, s[30:31]
.LBB14_15:                              ;   in Loop: Header=BB14_7 Depth=1
	s_or_b64 exec, exec, s[28:29]
	v_mov_b32_dpp v2, v11 row_shr:1 row_mask:0xf bank_mask:0xf
	v_min_i32_e32 v2, v2, v11
	s_waitcnt lgkmcnt(0)
	s_barrier
	v_mov_b32_dpp v3, v2 row_shr:2 row_mask:0xf bank_mask:0xf
	v_min_i32_e32 v2, v3, v2
	ds_read_u8 v13, v9 offset:1028
	s_nop 0
	v_mov_b32_dpp v3, v2 row_shr:4 row_mask:0xf bank_mask:0xe
	v_min_i32_e32 v2, v3, v2
	s_waitcnt lgkmcnt(0)
	v_readfirstlane_b32 s20, v13
	v_mov_b32_dpp v3, v2 row_shr:8 row_mask:0xf bank_mask:0xc
	v_min_i32_e32 v2, v3, v2
	ds_bpermute_b32 v11, v6, v2
	s_bitcmp1_b32 s20, 0
	s_cselect_b64 s[20:21], -1, 0
	s_and_b64 s[28:29], s[4:5], s[20:21]
	s_and_saveexec_b64 s[20:21], s[28:29]
	s_cbranch_execz .LBB14_17
; %bb.16:                               ;   in Loop: Header=BB14_7 Depth=1
	ds_read_b32 v2, v9 offset:1024
	s_waitcnt lgkmcnt(0)
	v_add_u32_e32 v2, 1, v2
	ds_write_b32 v9, v2 offset:1024
.LBB14_17:                              ;   in Loop: Header=BB14_7 Depth=1
	s_or_b64 exec, exec, s[20:21]
	ds_write_b32 v7, v12
	s_waitcnt lgkmcnt(0)
	s_barrier
	s_and_saveexec_b64 s[20:21], s[6:7]
	s_cbranch_execz .LBB14_19
; %bb.18:                               ;   in Loop: Header=BB14_7 Depth=1
	ds_read2st64_b32 v[2:3], v7 offset1:2
	s_waitcnt lgkmcnt(0)
	v_min_i32_e32 v2, v3, v2
	ds_write_b32 v7, v2
.LBB14_19:                              ;   in Loop: Header=BB14_7 Depth=1
	s_or_b64 exec, exec, s[20:21]
	s_waitcnt lgkmcnt(0)
	s_barrier
	s_and_saveexec_b64 s[20:21], s[8:9]
	s_cbranch_execz .LBB14_21
; %bb.20:                               ;   in Loop: Header=BB14_7 Depth=1
	ds_read2st64_b32 v[2:3], v7 offset1:1
	s_waitcnt lgkmcnt(0)
	v_min_i32_e32 v2, v3, v2
	ds_write_b32 v7, v2
.LBB14_21:                              ;   in Loop: Header=BB14_7 Depth=1
	s_or_b64 exec, exec, s[20:21]
	s_waitcnt lgkmcnt(0)
	s_barrier
	s_and_saveexec_b64 s[20:21], s[10:11]
	s_cbranch_execz .LBB14_23
; %bb.22:                               ;   in Loop: Header=BB14_7 Depth=1
	ds_read2_b32 v[2:3], v7 offset1:32
	s_waitcnt lgkmcnt(0)
	v_min_i32_e32 v2, v3, v2
	ds_write_b32 v7, v2
.LBB14_23:                              ;   in Loop: Header=BB14_7 Depth=1
	s_or_b64 exec, exec, s[20:21]
	s_waitcnt lgkmcnt(0)
	s_barrier
	s_and_saveexec_b64 s[20:21], s[12:13]
	s_cbranch_execz .LBB14_25
; %bb.24:                               ;   in Loop: Header=BB14_7 Depth=1
	ds_read2_b32 v[2:3], v7 offset1:16
	s_waitcnt lgkmcnt(0)
	v_min_i32_e32 v2, v3, v2
	ds_write_b32 v7, v2
.LBB14_25:                              ;   in Loop: Header=BB14_7 Depth=1
	;; [unrolled: 11-line block ×5, first 2 shown]
	s_or_b64 exec, exec, s[20:21]
	s_waitcnt lgkmcnt(0)
	s_barrier
	s_and_saveexec_b64 s[20:21], s[4:5]
	s_cbranch_execz .LBB14_6
; %bb.32:                               ;   in Loop: Header=BB14_7 Depth=1
	ds_read_b64 v[2:3], v9
	s_waitcnt lgkmcnt(0)
	v_min_i32_e32 v2, v3, v2
	ds_write_b32 v9, v2
	s_branch .LBB14_6
.LBB14_33:
	v_cmp_eq_u32_e32 vcc, 0, v0
	s_and_saveexec_b64 s[4:5], vcc
	s_cbranch_execz .LBB14_35
; %bb.34:
	s_load_dwordx2 s[4:5], s[0:1], 0x38
	s_load_dword s6, s[0:1], 0x30
	v_mov_b32_e32 v0, 0
	ds_read_b32 v1, v0 offset:1024
	s_ashr_i32 s3, s2, 31
	s_lshl_b64 s[0:1], s[2:3], 2
	s_waitcnt lgkmcnt(0)
	s_add_u32 s0, s4, s0
	v_mov_b32_e32 v2, s6
	s_addc_u32 s1, s5, s1
	global_store_dword v0, v2, s[4:5]
	global_store_dword v0, v1, s[0:1] offset:4
.LBB14_35:
	s_endpgm
	.section	.rodata,"a",@progbits
	.p2align	6, 0x0
	.amdhsa_kernel _ZN9rocsparseL44csr2gebsr_nnz_block_per_row_multipass_kernelILj256ELj16EEEviiiiii21rocsparse_index_base_PKiS3_S1_Pi
		.amdhsa_group_segment_fixed_size 1032
		.amdhsa_private_segment_fixed_size 0
		.amdhsa_kernarg_size 64
		.amdhsa_user_sgpr_count 2
		.amdhsa_user_sgpr_dispatch_ptr 0
		.amdhsa_user_sgpr_queue_ptr 0
		.amdhsa_user_sgpr_kernarg_segment_ptr 1
		.amdhsa_user_sgpr_dispatch_id 0
		.amdhsa_user_sgpr_kernarg_preload_length 0
		.amdhsa_user_sgpr_kernarg_preload_offset 0
		.amdhsa_user_sgpr_private_segment_size 0
		.amdhsa_uses_dynamic_stack 0
		.amdhsa_enable_private_segment 0
		.amdhsa_system_sgpr_workgroup_id_x 1
		.amdhsa_system_sgpr_workgroup_id_y 0
		.amdhsa_system_sgpr_workgroup_id_z 0
		.amdhsa_system_sgpr_workgroup_info 0
		.amdhsa_system_vgpr_workitem_id 0
		.amdhsa_next_free_vgpr 18
		.amdhsa_next_free_sgpr 36
		.amdhsa_accum_offset 20
		.amdhsa_reserve_vcc 1
		.amdhsa_float_round_mode_32 0
		.amdhsa_float_round_mode_16_64 0
		.amdhsa_float_denorm_mode_32 3
		.amdhsa_float_denorm_mode_16_64 3
		.amdhsa_dx10_clamp 1
		.amdhsa_ieee_mode 1
		.amdhsa_fp16_overflow 0
		.amdhsa_tg_split 0
		.amdhsa_exception_fp_ieee_invalid_op 0
		.amdhsa_exception_fp_denorm_src 0
		.amdhsa_exception_fp_ieee_div_zero 0
		.amdhsa_exception_fp_ieee_overflow 0
		.amdhsa_exception_fp_ieee_underflow 0
		.amdhsa_exception_fp_ieee_inexact 0
		.amdhsa_exception_int_div_zero 0
	.end_amdhsa_kernel
	.section	.text._ZN9rocsparseL44csr2gebsr_nnz_block_per_row_multipass_kernelILj256ELj16EEEviiiiii21rocsparse_index_base_PKiS3_S1_Pi,"axG",@progbits,_ZN9rocsparseL44csr2gebsr_nnz_block_per_row_multipass_kernelILj256ELj16EEEviiiiii21rocsparse_index_base_PKiS3_S1_Pi,comdat
.Lfunc_end14:
	.size	_ZN9rocsparseL44csr2gebsr_nnz_block_per_row_multipass_kernelILj256ELj16EEEviiiiii21rocsparse_index_base_PKiS3_S1_Pi, .Lfunc_end14-_ZN9rocsparseL44csr2gebsr_nnz_block_per_row_multipass_kernelILj256ELj16EEEviiiiii21rocsparse_index_base_PKiS3_S1_Pi
                                        ; -- End function
	.section	.AMDGPU.csdata,"",@progbits
; Kernel info:
; codeLenInByte = 1268
; NumSgprs: 42
; NumVgprs: 18
; NumAgprs: 0
; TotalNumVgprs: 18
; ScratchSize: 0
; MemoryBound: 0
; FloatMode: 240
; IeeeMode: 1
; LDSByteSize: 1032 bytes/workgroup (compile time only)
; SGPRBlocks: 5
; VGPRBlocks: 2
; NumSGPRsForWavesPerEU: 42
; NumVGPRsForWavesPerEU: 18
; AccumOffset: 20
; Occupancy: 8
; WaveLimiterHint : 0
; COMPUTE_PGM_RSRC2:SCRATCH_EN: 0
; COMPUTE_PGM_RSRC2:USER_SGPR: 2
; COMPUTE_PGM_RSRC2:TRAP_HANDLER: 0
; COMPUTE_PGM_RSRC2:TGID_X_EN: 1
; COMPUTE_PGM_RSRC2:TGID_Y_EN: 0
; COMPUTE_PGM_RSRC2:TGID_Z_EN: 0
; COMPUTE_PGM_RSRC2:TIDIG_COMP_CNT: 0
; COMPUTE_PGM_RSRC3_GFX90A:ACCUM_OFFSET: 4
; COMPUTE_PGM_RSRC3_GFX90A:TG_SPLIT: 0
	.section	.text._ZN9rocsparseL44csr2gebsr_nnz_block_per_row_multipass_kernelILj256ELj32EEEviiiiii21rocsparse_index_base_PKiS3_S1_Pi,"axG",@progbits,_ZN9rocsparseL44csr2gebsr_nnz_block_per_row_multipass_kernelILj256ELj32EEEviiiiii21rocsparse_index_base_PKiS3_S1_Pi,comdat
	.globl	_ZN9rocsparseL44csr2gebsr_nnz_block_per_row_multipass_kernelILj256ELj32EEEviiiiii21rocsparse_index_base_PKiS3_S1_Pi ; -- Begin function _ZN9rocsparseL44csr2gebsr_nnz_block_per_row_multipass_kernelILj256ELj32EEEviiiiii21rocsparse_index_base_PKiS3_S1_Pi
	.p2align	8
	.type	_ZN9rocsparseL44csr2gebsr_nnz_block_per_row_multipass_kernelILj256ELj32EEEviiiiii21rocsparse_index_base_PKiS3_S1_Pi,@function
_ZN9rocsparseL44csr2gebsr_nnz_block_per_row_multipass_kernelILj256ELj32EEEviiiiii21rocsparse_index_base_PKiS3_S1_Pi: ; @_ZN9rocsparseL44csr2gebsr_nnz_block_per_row_multipass_kernelILj256ELj32EEEviiiiii21rocsparse_index_base_PKiS3_S1_Pi
; %bb.0:
	s_load_dwordx4 s[24:27], s[0:1], 0xc
	s_load_dword s3, s[0:1], 0x0
	s_load_dwordx2 s[6:7], s[0:1], 0x20
	v_lshrrev_b32_e32 v3, 3, v0
	v_mov_b32_e32 v1, 0
	s_waitcnt lgkmcnt(0)
	s_mul_i32 s4, s2, s25
	v_add_u32_e32 v2, s4, v3
	v_cmp_gt_i32_e32 vcc, s3, v2
	v_cmp_gt_i32_e64 s[4:5], s25, v3
	s_and_b64 s[4:5], s[4:5], vcc
	v_mov_b32_e32 v11, 0
	ds_write_b32 v1, v1 offset:1024
	s_waitcnt lgkmcnt(0)
	s_barrier
	s_and_saveexec_b64 s[8:9], s[4:5]
	s_cbranch_execnz .LBB15_3
; %bb.1:
	s_or_b64 exec, exec, s[8:9]
	s_and_saveexec_b64 s[8:9], s[4:5]
	s_cbranch_execnz .LBB15_4
.LBB15_2:
	s_or_b64 exec, exec, s[8:9]
	s_cmp_lt_i32 s24, 1
	v_cmp_eq_u32_e64 s[4:5], 0, v0
	s_cbranch_scc0 .LBB15_5
	s_branch .LBB15_33
.LBB15_3:
	v_ashrrev_i32_e32 v3, 31, v2
	v_lshl_add_u64 v[4:5], v[2:3], 2, s[6:7]
	global_load_dword v3, v[4:5], off
	s_waitcnt vmcnt(0)
	v_subrev_u32_e32 v11, s27, v3
	s_or_b64 exec, exec, s[8:9]
	s_and_saveexec_b64 s[8:9], s[4:5]
	s_cbranch_execz .LBB15_2
.LBB15_4:
	v_ashrrev_i32_e32 v3, 31, v2
	v_lshl_add_u64 v[2:3], v[2:3], 2, s[6:7]
	global_load_dword v1, v[2:3], off offset:4
	s_waitcnt vmcnt(0)
	v_subrev_u32_e32 v1, s27, v1
	s_or_b64 exec, exec, s[8:9]
	s_cmp_lt_i32 s24, 1
	v_cmp_eq_u32_e64 s[4:5], 0, v0
	s_cbranch_scc1 .LBB15_33
.LBB15_5:
	v_mbcnt_lo_u32_b32 v2, -1, 0
	v_mbcnt_hi_u32_b32 v2, -1, v2
	s_abs_i32 s3, s26
	v_lshl_or_b32 v6, v2, 2, 28
	v_cvt_f32_u32_e32 v2, s3
	s_load_dwordx2 s[22:23], s[0:1], 0x28
	s_sub_i32 s20, 0, s3
	s_movk_i32 s6, 0x80
	v_rcp_iflag_f32_e32 v2, v2
	v_and_b32_e32 v4, 7, v0
	v_mov_b32_e32 v5, 0
	v_lshlrev_b32_e32 v7, 2, v0
	v_mul_f32_e32 v2, 0x4f7ffffe, v2
	v_cvt_u32_f32_e32 v2, v2
	v_cmp_gt_u32_e64 s[6:7], s6, v0
	v_cmp_gt_u32_e64 s[8:9], 64, v0
	;; [unrolled: 1-line block ×3, first 2 shown]
	v_mul_lo_u32 v3, s20, v2
	v_mul_hi_u32 v3, v2, v3
	v_cmp_gt_u32_e64 s[12:13], 16, v0
	v_cmp_gt_u32_e64 s[14:15], 8, v0
	;; [unrolled: 1-line block ×4, first 2 shown]
	s_ashr_i32 s25, s26, 31
	v_add_u32_e32 v8, v2, v3
	v_mov_b32_e32 v9, 0
	v_mov_b32_e32 v10, 1
	v_mov_b32_e32 v13, 0
	s_branch .LBB15_7
.LBB15_6:                               ;   in Loop: Header=BB15_7 Depth=1
	s_or_b64 exec, exec, s[20:21]
	s_waitcnt lgkmcnt(0)
	s_barrier
	ds_read_b32 v13, v9
	s_waitcnt lgkmcnt(0)
	s_barrier
	v_cmp_gt_i32_e32 vcc, s24, v13
	s_cbranch_vccz .LBB15_33
.LBB15_7:                               ; =>This Loop Header: Depth=1
                                        ;     Child Loop BB15_10 Depth 2
	v_add_u32_e32 v2, v11, v4
	v_cmp_lt_i32_e32 vcc, v2, v1
	v_mov_b32_e32 v12, s24
	v_mov_b32_e32 v11, v1
	ds_write_b8 v9, v5 offset:1028
	s_waitcnt lgkmcnt(0)
	s_barrier
	s_and_saveexec_b64 s[28:29], vcc
	s_cbranch_execz .LBB15_15
; %bb.8:                                ;   in Loop: Header=BB15_7 Depth=1
	s_mov_b64 s[30:31], 0
	v_mov_b32_e32 v12, s24
	v_mov_b32_e32 v11, v1
	s_branch .LBB15_10
.LBB15_9:                               ;   in Loop: Header=BB15_10 Depth=2
	s_or_b64 exec, exec, s[20:21]
	v_add_u32_e32 v2, 8, v2
	v_cmp_ge_i32_e64 s[20:21], v2, v1
	s_xor_b64 s[34:35], vcc, -1
	s_or_b64 s[20:21], s[34:35], s[20:21]
	s_and_b64 s[20:21], exec, s[20:21]
	s_or_b64 s[30:31], s[20:21], s[30:31]
	s_andn2_b64 exec, exec, s[30:31]
	s_cbranch_execz .LBB15_14
.LBB15_10:                              ;   Parent Loop BB15_7 Depth=1
                                        ; =>  This Inner Loop Header: Depth=2
	v_ashrrev_i32_e32 v3, 31, v2
	v_lshl_add_u64 v[14:15], v[2:3], 2, s[22:23]
	global_load_dword v3, v[14:15], off
	s_waitcnt vmcnt(0)
	v_subrev_u32_e32 v3, s27, v3
	v_sub_u32_e32 v15, 0, v3
	v_ashrrev_i32_e32 v14, 31, v3
	v_max_i32_e32 v3, v3, v15
	v_mul_hi_u32 v15, v3, v8
	v_mul_lo_u32 v16, v15, s3
	v_sub_u32_e32 v3, v3, v16
	v_add_u32_e32 v17, 1, v15
	v_cmp_le_u32_e32 vcc, s3, v3
	v_subrev_u32_e32 v16, s3, v3
	v_xor_b32_e32 v14, s25, v14
	v_cndmask_b32_e32 v15, v15, v17, vcc
	v_cndmask_b32_e32 v3, v3, v16, vcc
	v_add_u32_e32 v16, 1, v15
	v_cmp_le_u32_e32 vcc, s3, v3
	s_nop 1
	v_cndmask_b32_e32 v3, v15, v16, vcc
	v_xor_b32_e32 v3, v3, v14
	v_sub_u32_e32 v14, v3, v14
	v_cmp_eq_u32_e32 vcc, v14, v13
	v_cmp_ne_u32_e64 s[20:21], v14, v13
	v_mov_b32_e32 v3, v11
	s_and_saveexec_b64 s[34:35], s[20:21]
	s_xor_b64 s[20:21], exec, s[34:35]
; %bb.11:                               ;   in Loop: Header=BB15_10 Depth=2
	v_min_i32_e32 v12, v14, v12
                                        ; implicit-def: $vgpr3
; %bb.12:                               ;   in Loop: Header=BB15_10 Depth=2
	s_or_saveexec_b64 s[20:21], s[20:21]
	v_mov_b32_e32 v11, v2
	s_xor_b64 exec, exec, s[20:21]
	s_cbranch_execz .LBB15_9
; %bb.13:                               ;   in Loop: Header=BB15_10 Depth=2
	v_mov_b32_e32 v11, v3
	ds_write_b8 v9, v10 offset:1028
	s_branch .LBB15_9
.LBB15_14:                              ;   in Loop: Header=BB15_7 Depth=1
	s_or_b64 exec, exec, s[30:31]
.LBB15_15:                              ;   in Loop: Header=BB15_7 Depth=1
	s_or_b64 exec, exec, s[28:29]
	v_mov_b32_dpp v2, v11 row_shr:1 row_mask:0xf bank_mask:0xf
	v_min_i32_e32 v2, v2, v11
	s_waitcnt lgkmcnt(0)
	s_barrier
	v_mov_b32_dpp v3, v2 row_shr:2 row_mask:0xf bank_mask:0xf
	ds_read_u8 v13, v9 offset:1028
	v_min_i32_e32 v2, v3, v2
	s_waitcnt lgkmcnt(0)
	v_readfirstlane_b32 s20, v13
	v_mov_b32_dpp v3, v2 row_shr:4 row_mask:0xf bank_mask:0xe
	v_min_i32_e32 v2, v3, v2
	ds_bpermute_b32 v11, v6, v2
	s_bitcmp1_b32 s20, 0
	s_cselect_b64 s[20:21], -1, 0
	s_and_b64 s[28:29], s[4:5], s[20:21]
	s_and_saveexec_b64 s[20:21], s[28:29]
	s_cbranch_execz .LBB15_17
; %bb.16:                               ;   in Loop: Header=BB15_7 Depth=1
	ds_read_b32 v2, v9 offset:1024
	s_waitcnt lgkmcnt(0)
	v_add_u32_e32 v2, 1, v2
	ds_write_b32 v9, v2 offset:1024
.LBB15_17:                              ;   in Loop: Header=BB15_7 Depth=1
	s_or_b64 exec, exec, s[20:21]
	ds_write_b32 v7, v12
	s_waitcnt lgkmcnt(0)
	s_barrier
	s_and_saveexec_b64 s[20:21], s[6:7]
	s_cbranch_execz .LBB15_19
; %bb.18:                               ;   in Loop: Header=BB15_7 Depth=1
	ds_read2st64_b32 v[2:3], v7 offset1:2
	s_waitcnt lgkmcnt(0)
	v_min_i32_e32 v2, v3, v2
	ds_write_b32 v7, v2
.LBB15_19:                              ;   in Loop: Header=BB15_7 Depth=1
	s_or_b64 exec, exec, s[20:21]
	s_waitcnt lgkmcnt(0)
	s_barrier
	s_and_saveexec_b64 s[20:21], s[8:9]
	s_cbranch_execz .LBB15_21
; %bb.20:                               ;   in Loop: Header=BB15_7 Depth=1
	ds_read2st64_b32 v[2:3], v7 offset1:1
	s_waitcnt lgkmcnt(0)
	v_min_i32_e32 v2, v3, v2
	ds_write_b32 v7, v2
.LBB15_21:                              ;   in Loop: Header=BB15_7 Depth=1
	s_or_b64 exec, exec, s[20:21]
	s_waitcnt lgkmcnt(0)
	s_barrier
	s_and_saveexec_b64 s[20:21], s[10:11]
	s_cbranch_execz .LBB15_23
; %bb.22:                               ;   in Loop: Header=BB15_7 Depth=1
	ds_read2_b32 v[2:3], v7 offset1:32
	s_waitcnt lgkmcnt(0)
	v_min_i32_e32 v2, v3, v2
	ds_write_b32 v7, v2
.LBB15_23:                              ;   in Loop: Header=BB15_7 Depth=1
	s_or_b64 exec, exec, s[20:21]
	s_waitcnt lgkmcnt(0)
	s_barrier
	s_and_saveexec_b64 s[20:21], s[12:13]
	s_cbranch_execz .LBB15_25
; %bb.24:                               ;   in Loop: Header=BB15_7 Depth=1
	ds_read2_b32 v[2:3], v7 offset1:16
	s_waitcnt lgkmcnt(0)
	v_min_i32_e32 v2, v3, v2
	ds_write_b32 v7, v2
.LBB15_25:                              ;   in Loop: Header=BB15_7 Depth=1
	;; [unrolled: 11-line block ×5, first 2 shown]
	s_or_b64 exec, exec, s[20:21]
	s_waitcnt lgkmcnt(0)
	s_barrier
	s_and_saveexec_b64 s[20:21], s[4:5]
	s_cbranch_execz .LBB15_6
; %bb.32:                               ;   in Loop: Header=BB15_7 Depth=1
	ds_read_b64 v[2:3], v9
	s_waitcnt lgkmcnt(0)
	v_min_i32_e32 v2, v3, v2
	ds_write_b32 v9, v2
	s_branch .LBB15_6
.LBB15_33:
	v_cmp_eq_u32_e32 vcc, 0, v0
	s_and_saveexec_b64 s[4:5], vcc
	s_cbranch_execz .LBB15_35
; %bb.34:
	s_load_dwordx2 s[4:5], s[0:1], 0x38
	s_load_dword s6, s[0:1], 0x30
	v_mov_b32_e32 v0, 0
	ds_read_b32 v1, v0 offset:1024
	s_ashr_i32 s3, s2, 31
	s_lshl_b64 s[0:1], s[2:3], 2
	s_waitcnt lgkmcnt(0)
	s_add_u32 s0, s4, s0
	v_mov_b32_e32 v2, s6
	s_addc_u32 s1, s5, s1
	global_store_dword v0, v2, s[4:5]
	global_store_dword v0, v1, s[0:1] offset:4
.LBB15_35:
	s_endpgm
	.section	.rodata,"a",@progbits
	.p2align	6, 0x0
	.amdhsa_kernel _ZN9rocsparseL44csr2gebsr_nnz_block_per_row_multipass_kernelILj256ELj32EEEviiiiii21rocsparse_index_base_PKiS3_S1_Pi
		.amdhsa_group_segment_fixed_size 1032
		.amdhsa_private_segment_fixed_size 0
		.amdhsa_kernarg_size 64
		.amdhsa_user_sgpr_count 2
		.amdhsa_user_sgpr_dispatch_ptr 0
		.amdhsa_user_sgpr_queue_ptr 0
		.amdhsa_user_sgpr_kernarg_segment_ptr 1
		.amdhsa_user_sgpr_dispatch_id 0
		.amdhsa_user_sgpr_kernarg_preload_length 0
		.amdhsa_user_sgpr_kernarg_preload_offset 0
		.amdhsa_user_sgpr_private_segment_size 0
		.amdhsa_uses_dynamic_stack 0
		.amdhsa_enable_private_segment 0
		.amdhsa_system_sgpr_workgroup_id_x 1
		.amdhsa_system_sgpr_workgroup_id_y 0
		.amdhsa_system_sgpr_workgroup_id_z 0
		.amdhsa_system_sgpr_workgroup_info 0
		.amdhsa_system_vgpr_workitem_id 0
		.amdhsa_next_free_vgpr 18
		.amdhsa_next_free_sgpr 36
		.amdhsa_accum_offset 20
		.amdhsa_reserve_vcc 1
		.amdhsa_float_round_mode_32 0
		.amdhsa_float_round_mode_16_64 0
		.amdhsa_float_denorm_mode_32 3
		.amdhsa_float_denorm_mode_16_64 3
		.amdhsa_dx10_clamp 1
		.amdhsa_ieee_mode 1
		.amdhsa_fp16_overflow 0
		.amdhsa_tg_split 0
		.amdhsa_exception_fp_ieee_invalid_op 0
		.amdhsa_exception_fp_denorm_src 0
		.amdhsa_exception_fp_ieee_div_zero 0
		.amdhsa_exception_fp_ieee_overflow 0
		.amdhsa_exception_fp_ieee_underflow 0
		.amdhsa_exception_fp_ieee_inexact 0
		.amdhsa_exception_int_div_zero 0
	.end_amdhsa_kernel
	.section	.text._ZN9rocsparseL44csr2gebsr_nnz_block_per_row_multipass_kernelILj256ELj32EEEviiiiii21rocsparse_index_base_PKiS3_S1_Pi,"axG",@progbits,_ZN9rocsparseL44csr2gebsr_nnz_block_per_row_multipass_kernelILj256ELj32EEEviiiiii21rocsparse_index_base_PKiS3_S1_Pi,comdat
.Lfunc_end15:
	.size	_ZN9rocsparseL44csr2gebsr_nnz_block_per_row_multipass_kernelILj256ELj32EEEviiiiii21rocsparse_index_base_PKiS3_S1_Pi, .Lfunc_end15-_ZN9rocsparseL44csr2gebsr_nnz_block_per_row_multipass_kernelILj256ELj32EEEviiiiii21rocsparse_index_base_PKiS3_S1_Pi
                                        ; -- End function
	.section	.AMDGPU.csdata,"",@progbits
; Kernel info:
; codeLenInByte = 1252
; NumSgprs: 42
; NumVgprs: 18
; NumAgprs: 0
; TotalNumVgprs: 18
; ScratchSize: 0
; MemoryBound: 0
; FloatMode: 240
; IeeeMode: 1
; LDSByteSize: 1032 bytes/workgroup (compile time only)
; SGPRBlocks: 5
; VGPRBlocks: 2
; NumSGPRsForWavesPerEU: 42
; NumVGPRsForWavesPerEU: 18
; AccumOffset: 20
; Occupancy: 8
; WaveLimiterHint : 0
; COMPUTE_PGM_RSRC2:SCRATCH_EN: 0
; COMPUTE_PGM_RSRC2:USER_SGPR: 2
; COMPUTE_PGM_RSRC2:TRAP_HANDLER: 0
; COMPUTE_PGM_RSRC2:TGID_X_EN: 1
; COMPUTE_PGM_RSRC2:TGID_Y_EN: 0
; COMPUTE_PGM_RSRC2:TGID_Z_EN: 0
; COMPUTE_PGM_RSRC2:TIDIG_COMP_CNT: 0
; COMPUTE_PGM_RSRC3_GFX90A:ACCUM_OFFSET: 4
; COMPUTE_PGM_RSRC3_GFX90A:TG_SPLIT: 0
	.section	.text._ZN9rocsparseL44csr2gebsr_nnz_block_per_row_multipass_kernelILj256ELj64EEEviiiiii21rocsparse_index_base_PKiS3_S1_Pi,"axG",@progbits,_ZN9rocsparseL44csr2gebsr_nnz_block_per_row_multipass_kernelILj256ELj64EEEviiiiii21rocsparse_index_base_PKiS3_S1_Pi,comdat
	.globl	_ZN9rocsparseL44csr2gebsr_nnz_block_per_row_multipass_kernelILj256ELj64EEEviiiiii21rocsparse_index_base_PKiS3_S1_Pi ; -- Begin function _ZN9rocsparseL44csr2gebsr_nnz_block_per_row_multipass_kernelILj256ELj64EEEviiiiii21rocsparse_index_base_PKiS3_S1_Pi
	.p2align	8
	.type	_ZN9rocsparseL44csr2gebsr_nnz_block_per_row_multipass_kernelILj256ELj64EEEviiiiii21rocsparse_index_base_PKiS3_S1_Pi,@function
_ZN9rocsparseL44csr2gebsr_nnz_block_per_row_multipass_kernelILj256ELj64EEEviiiiii21rocsparse_index_base_PKiS3_S1_Pi: ; @_ZN9rocsparseL44csr2gebsr_nnz_block_per_row_multipass_kernelILj256ELj64EEEviiiiii21rocsparse_index_base_PKiS3_S1_Pi
; %bb.0:
	s_load_dwordx4 s[24:27], s[0:1], 0xc
	s_load_dword s3, s[0:1], 0x0
	s_load_dwordx2 s[6:7], s[0:1], 0x20
	v_lshrrev_b32_e32 v3, 2, v0
	v_mov_b32_e32 v1, 0
	s_waitcnt lgkmcnt(0)
	s_mul_i32 s4, s2, s25
	v_add_u32_e32 v2, s4, v3
	v_cmp_gt_i32_e32 vcc, s3, v2
	v_cmp_gt_i32_e64 s[4:5], s25, v3
	s_and_b64 s[4:5], s[4:5], vcc
	v_mov_b32_e32 v11, 0
	ds_write_b32 v1, v1 offset:1024
	s_waitcnt lgkmcnt(0)
	s_barrier
	s_and_saveexec_b64 s[8:9], s[4:5]
	s_cbranch_execnz .LBB16_3
; %bb.1:
	s_or_b64 exec, exec, s[8:9]
	s_and_saveexec_b64 s[8:9], s[4:5]
	s_cbranch_execnz .LBB16_4
.LBB16_2:
	s_or_b64 exec, exec, s[8:9]
	s_cmp_lt_i32 s24, 1
	v_cmp_eq_u32_e64 s[4:5], 0, v0
	s_cbranch_scc0 .LBB16_5
	s_branch .LBB16_33
.LBB16_3:
	v_ashrrev_i32_e32 v3, 31, v2
	v_lshl_add_u64 v[4:5], v[2:3], 2, s[6:7]
	global_load_dword v3, v[4:5], off
	s_waitcnt vmcnt(0)
	v_subrev_u32_e32 v11, s27, v3
	s_or_b64 exec, exec, s[8:9]
	s_and_saveexec_b64 s[8:9], s[4:5]
	s_cbranch_execz .LBB16_2
.LBB16_4:
	v_ashrrev_i32_e32 v3, 31, v2
	v_lshl_add_u64 v[2:3], v[2:3], 2, s[6:7]
	global_load_dword v1, v[2:3], off offset:4
	s_waitcnt vmcnt(0)
	v_subrev_u32_e32 v1, s27, v1
	s_or_b64 exec, exec, s[8:9]
	s_cmp_lt_i32 s24, 1
	v_cmp_eq_u32_e64 s[4:5], 0, v0
	s_cbranch_scc1 .LBB16_33
.LBB16_5:
	v_mbcnt_lo_u32_b32 v2, -1, 0
	v_mbcnt_hi_u32_b32 v2, -1, v2
	s_abs_i32 s3, s26
	v_lshl_or_b32 v6, v2, 2, 12
	v_cvt_f32_u32_e32 v2, s3
	s_load_dwordx2 s[22:23], s[0:1], 0x28
	s_sub_i32 s20, 0, s3
	s_movk_i32 s6, 0x80
	v_rcp_iflag_f32_e32 v2, v2
	v_and_b32_e32 v4, 3, v0
	v_mov_b32_e32 v5, 0
	v_lshlrev_b32_e32 v7, 2, v0
	v_mul_f32_e32 v2, 0x4f7ffffe, v2
	v_cvt_u32_f32_e32 v2, v2
	v_cmp_gt_u32_e64 s[6:7], s6, v0
	v_cmp_gt_u32_e64 s[8:9], 64, v0
	v_cmp_gt_u32_e64 s[10:11], 32, v0
	v_mul_lo_u32 v3, s20, v2
	v_mul_hi_u32 v3, v2, v3
	v_cmp_gt_u32_e64 s[12:13], 16, v0
	v_cmp_gt_u32_e64 s[14:15], 8, v0
	;; [unrolled: 1-line block ×4, first 2 shown]
	s_ashr_i32 s25, s26, 31
	v_add_u32_e32 v8, v2, v3
	v_mov_b32_e32 v9, 0
	v_mov_b32_e32 v10, 1
	;; [unrolled: 1-line block ×3, first 2 shown]
	s_branch .LBB16_7
.LBB16_6:                               ;   in Loop: Header=BB16_7 Depth=1
	s_or_b64 exec, exec, s[20:21]
	s_waitcnt lgkmcnt(0)
	s_barrier
	ds_read_b32 v13, v9
	s_waitcnt lgkmcnt(0)
	s_barrier
	v_cmp_gt_i32_e32 vcc, s24, v13
	s_cbranch_vccz .LBB16_33
.LBB16_7:                               ; =>This Loop Header: Depth=1
                                        ;     Child Loop BB16_10 Depth 2
	v_add_u32_e32 v2, v11, v4
	v_cmp_lt_i32_e32 vcc, v2, v1
	v_mov_b32_e32 v12, s24
	v_mov_b32_e32 v11, v1
	ds_write_b8 v9, v5 offset:1028
	s_waitcnt lgkmcnt(0)
	s_barrier
	s_and_saveexec_b64 s[28:29], vcc
	s_cbranch_execz .LBB16_15
; %bb.8:                                ;   in Loop: Header=BB16_7 Depth=1
	s_mov_b64 s[30:31], 0
	v_mov_b32_e32 v12, s24
	v_mov_b32_e32 v11, v1
	s_branch .LBB16_10
.LBB16_9:                               ;   in Loop: Header=BB16_10 Depth=2
	s_or_b64 exec, exec, s[20:21]
	v_add_u32_e32 v2, 4, v2
	v_cmp_ge_i32_e64 s[20:21], v2, v1
	s_xor_b64 s[34:35], vcc, -1
	s_or_b64 s[20:21], s[34:35], s[20:21]
	s_and_b64 s[20:21], exec, s[20:21]
	s_or_b64 s[30:31], s[20:21], s[30:31]
	s_andn2_b64 exec, exec, s[30:31]
	s_cbranch_execz .LBB16_14
.LBB16_10:                              ;   Parent Loop BB16_7 Depth=1
                                        ; =>  This Inner Loop Header: Depth=2
	v_ashrrev_i32_e32 v3, 31, v2
	v_lshl_add_u64 v[14:15], v[2:3], 2, s[22:23]
	global_load_dword v3, v[14:15], off
	s_waitcnt vmcnt(0)
	v_subrev_u32_e32 v3, s27, v3
	v_sub_u32_e32 v15, 0, v3
	v_ashrrev_i32_e32 v14, 31, v3
	v_max_i32_e32 v3, v3, v15
	v_mul_hi_u32 v15, v3, v8
	v_mul_lo_u32 v16, v15, s3
	v_sub_u32_e32 v3, v3, v16
	v_add_u32_e32 v17, 1, v15
	v_cmp_le_u32_e32 vcc, s3, v3
	v_subrev_u32_e32 v16, s3, v3
	v_xor_b32_e32 v14, s25, v14
	v_cndmask_b32_e32 v15, v15, v17, vcc
	v_cndmask_b32_e32 v3, v3, v16, vcc
	v_add_u32_e32 v16, 1, v15
	v_cmp_le_u32_e32 vcc, s3, v3
	s_nop 1
	v_cndmask_b32_e32 v3, v15, v16, vcc
	v_xor_b32_e32 v3, v3, v14
	v_sub_u32_e32 v14, v3, v14
	v_cmp_eq_u32_e32 vcc, v14, v13
	v_cmp_ne_u32_e64 s[20:21], v14, v13
	v_mov_b32_e32 v3, v11
	s_and_saveexec_b64 s[34:35], s[20:21]
	s_xor_b64 s[20:21], exec, s[34:35]
; %bb.11:                               ;   in Loop: Header=BB16_10 Depth=2
	v_min_i32_e32 v12, v14, v12
                                        ; implicit-def: $vgpr3
; %bb.12:                               ;   in Loop: Header=BB16_10 Depth=2
	s_or_saveexec_b64 s[20:21], s[20:21]
	v_mov_b32_e32 v11, v2
	s_xor_b64 exec, exec, s[20:21]
	s_cbranch_execz .LBB16_9
; %bb.13:                               ;   in Loop: Header=BB16_10 Depth=2
	v_mov_b32_e32 v11, v3
	ds_write_b8 v9, v10 offset:1028
	s_branch .LBB16_9
.LBB16_14:                              ;   in Loop: Header=BB16_7 Depth=1
	s_or_b64 exec, exec, s[30:31]
.LBB16_15:                              ;   in Loop: Header=BB16_7 Depth=1
	s_or_b64 exec, exec, s[28:29]
	s_waitcnt lgkmcnt(0)
	s_barrier
	v_mov_b32_dpp v2, v11 row_shr:1 row_mask:0xf bank_mask:0xf
	ds_read_u8 v3, v9 offset:1028
	v_min_i32_e32 v2, v2, v11
	s_waitcnt lgkmcnt(0)
	v_readfirstlane_b32 s20, v3
	v_mov_b32_dpp v11, v2 row_shr:2 row_mask:0xf bank_mask:0xf
	v_min_i32_e32 v2, v11, v2
	ds_bpermute_b32 v11, v6, v2
	s_bitcmp1_b32 s20, 0
	s_cselect_b64 s[20:21], -1, 0
	s_and_b64 s[28:29], s[4:5], s[20:21]
	s_and_saveexec_b64 s[20:21], s[28:29]
	s_cbranch_execz .LBB16_17
; %bb.16:                               ;   in Loop: Header=BB16_7 Depth=1
	ds_read_b32 v2, v9 offset:1024
	s_waitcnt lgkmcnt(0)
	v_add_u32_e32 v2, 1, v2
	ds_write_b32 v9, v2 offset:1024
.LBB16_17:                              ;   in Loop: Header=BB16_7 Depth=1
	s_or_b64 exec, exec, s[20:21]
	ds_write_b32 v7, v12
	s_waitcnt lgkmcnt(0)
	s_barrier
	s_and_saveexec_b64 s[20:21], s[6:7]
	s_cbranch_execz .LBB16_19
; %bb.18:                               ;   in Loop: Header=BB16_7 Depth=1
	ds_read2st64_b32 v[2:3], v7 offset1:2
	s_waitcnt lgkmcnt(0)
	v_min_i32_e32 v2, v3, v2
	ds_write_b32 v7, v2
.LBB16_19:                              ;   in Loop: Header=BB16_7 Depth=1
	s_or_b64 exec, exec, s[20:21]
	s_waitcnt lgkmcnt(0)
	s_barrier
	s_and_saveexec_b64 s[20:21], s[8:9]
	s_cbranch_execz .LBB16_21
; %bb.20:                               ;   in Loop: Header=BB16_7 Depth=1
	ds_read2st64_b32 v[2:3], v7 offset1:1
	s_waitcnt lgkmcnt(0)
	v_min_i32_e32 v2, v3, v2
	ds_write_b32 v7, v2
.LBB16_21:                              ;   in Loop: Header=BB16_7 Depth=1
	s_or_b64 exec, exec, s[20:21]
	s_waitcnt lgkmcnt(0)
	s_barrier
	s_and_saveexec_b64 s[20:21], s[10:11]
	s_cbranch_execz .LBB16_23
; %bb.22:                               ;   in Loop: Header=BB16_7 Depth=1
	ds_read2_b32 v[2:3], v7 offset1:32
	s_waitcnt lgkmcnt(0)
	v_min_i32_e32 v2, v3, v2
	ds_write_b32 v7, v2
.LBB16_23:                              ;   in Loop: Header=BB16_7 Depth=1
	s_or_b64 exec, exec, s[20:21]
	s_waitcnt lgkmcnt(0)
	s_barrier
	s_and_saveexec_b64 s[20:21], s[12:13]
	s_cbranch_execz .LBB16_25
; %bb.24:                               ;   in Loop: Header=BB16_7 Depth=1
	ds_read2_b32 v[2:3], v7 offset1:16
	s_waitcnt lgkmcnt(0)
	v_min_i32_e32 v2, v3, v2
	ds_write_b32 v7, v2
.LBB16_25:                              ;   in Loop: Header=BB16_7 Depth=1
	;; [unrolled: 11-line block ×5, first 2 shown]
	s_or_b64 exec, exec, s[20:21]
	s_waitcnt lgkmcnt(0)
	s_barrier
	s_and_saveexec_b64 s[20:21], s[4:5]
	s_cbranch_execz .LBB16_6
; %bb.32:                               ;   in Loop: Header=BB16_7 Depth=1
	ds_read_b64 v[2:3], v9
	s_waitcnt lgkmcnt(0)
	v_min_i32_e32 v2, v3, v2
	ds_write_b32 v9, v2
	s_branch .LBB16_6
.LBB16_33:
	v_cmp_eq_u32_e32 vcc, 0, v0
	s_and_saveexec_b64 s[4:5], vcc
	s_cbranch_execz .LBB16_35
; %bb.34:
	s_load_dwordx2 s[4:5], s[0:1], 0x38
	s_load_dword s6, s[0:1], 0x30
	v_mov_b32_e32 v0, 0
	ds_read_b32 v1, v0 offset:1024
	s_ashr_i32 s3, s2, 31
	s_lshl_b64 s[0:1], s[2:3], 2
	s_waitcnt lgkmcnt(0)
	s_add_u32 s0, s4, s0
	v_mov_b32_e32 v2, s6
	s_addc_u32 s1, s5, s1
	global_store_dword v0, v2, s[4:5]
	global_store_dword v0, v1, s[0:1] offset:4
.LBB16_35:
	s_endpgm
	.section	.rodata,"a",@progbits
	.p2align	6, 0x0
	.amdhsa_kernel _ZN9rocsparseL44csr2gebsr_nnz_block_per_row_multipass_kernelILj256ELj64EEEviiiiii21rocsparse_index_base_PKiS3_S1_Pi
		.amdhsa_group_segment_fixed_size 1032
		.amdhsa_private_segment_fixed_size 0
		.amdhsa_kernarg_size 64
		.amdhsa_user_sgpr_count 2
		.amdhsa_user_sgpr_dispatch_ptr 0
		.amdhsa_user_sgpr_queue_ptr 0
		.amdhsa_user_sgpr_kernarg_segment_ptr 1
		.amdhsa_user_sgpr_dispatch_id 0
		.amdhsa_user_sgpr_kernarg_preload_length 0
		.amdhsa_user_sgpr_kernarg_preload_offset 0
		.amdhsa_user_sgpr_private_segment_size 0
		.amdhsa_uses_dynamic_stack 0
		.amdhsa_enable_private_segment 0
		.amdhsa_system_sgpr_workgroup_id_x 1
		.amdhsa_system_sgpr_workgroup_id_y 0
		.amdhsa_system_sgpr_workgroup_id_z 0
		.amdhsa_system_sgpr_workgroup_info 0
		.amdhsa_system_vgpr_workitem_id 0
		.amdhsa_next_free_vgpr 18
		.amdhsa_next_free_sgpr 36
		.amdhsa_accum_offset 20
		.amdhsa_reserve_vcc 1
		.amdhsa_float_round_mode_32 0
		.amdhsa_float_round_mode_16_64 0
		.amdhsa_float_denorm_mode_32 3
		.amdhsa_float_denorm_mode_16_64 3
		.amdhsa_dx10_clamp 1
		.amdhsa_ieee_mode 1
		.amdhsa_fp16_overflow 0
		.amdhsa_tg_split 0
		.amdhsa_exception_fp_ieee_invalid_op 0
		.amdhsa_exception_fp_denorm_src 0
		.amdhsa_exception_fp_ieee_div_zero 0
		.amdhsa_exception_fp_ieee_overflow 0
		.amdhsa_exception_fp_ieee_underflow 0
		.amdhsa_exception_fp_ieee_inexact 0
		.amdhsa_exception_int_div_zero 0
	.end_amdhsa_kernel
	.section	.text._ZN9rocsparseL44csr2gebsr_nnz_block_per_row_multipass_kernelILj256ELj64EEEviiiiii21rocsparse_index_base_PKiS3_S1_Pi,"axG",@progbits,_ZN9rocsparseL44csr2gebsr_nnz_block_per_row_multipass_kernelILj256ELj64EEEviiiiii21rocsparse_index_base_PKiS3_S1_Pi,comdat
.Lfunc_end16:
	.size	_ZN9rocsparseL44csr2gebsr_nnz_block_per_row_multipass_kernelILj256ELj64EEEviiiiii21rocsparse_index_base_PKiS3_S1_Pi, .Lfunc_end16-_ZN9rocsparseL44csr2gebsr_nnz_block_per_row_multipass_kernelILj256ELj64EEEviiiiii21rocsparse_index_base_PKiS3_S1_Pi
                                        ; -- End function
	.section	.AMDGPU.csdata,"",@progbits
; Kernel info:
; codeLenInByte = 1240
; NumSgprs: 42
; NumVgprs: 18
; NumAgprs: 0
; TotalNumVgprs: 18
; ScratchSize: 0
; MemoryBound: 0
; FloatMode: 240
; IeeeMode: 1
; LDSByteSize: 1032 bytes/workgroup (compile time only)
; SGPRBlocks: 5
; VGPRBlocks: 2
; NumSGPRsForWavesPerEU: 42
; NumVGPRsForWavesPerEU: 18
; AccumOffset: 20
; Occupancy: 8
; WaveLimiterHint : 0
; COMPUTE_PGM_RSRC2:SCRATCH_EN: 0
; COMPUTE_PGM_RSRC2:USER_SGPR: 2
; COMPUTE_PGM_RSRC2:TRAP_HANDLER: 0
; COMPUTE_PGM_RSRC2:TGID_X_EN: 1
; COMPUTE_PGM_RSRC2:TGID_Y_EN: 0
; COMPUTE_PGM_RSRC2:TGID_Z_EN: 0
; COMPUTE_PGM_RSRC2:TIDIG_COMP_CNT: 0
; COMPUTE_PGM_RSRC3_GFX90A:ACCUM_OFFSET: 4
; COMPUTE_PGM_RSRC3_GFX90A:TG_SPLIT: 0
	.section	.text._ZN9rocsparseL27csr2gebsr_nnz_65_inf_kernelILi32EEEviiiiiii21rocsparse_index_base_PKiS3_S1_PiS4_,"axG",@progbits,_ZN9rocsparseL27csr2gebsr_nnz_65_inf_kernelILi32EEEviiiiiii21rocsparse_index_base_PKiS3_S1_PiS4_,comdat
	.globl	_ZN9rocsparseL27csr2gebsr_nnz_65_inf_kernelILi32EEEviiiiiii21rocsparse_index_base_PKiS3_S1_PiS4_ ; -- Begin function _ZN9rocsparseL27csr2gebsr_nnz_65_inf_kernelILi32EEEviiiiiii21rocsparse_index_base_PKiS3_S1_PiS4_
	.p2align	8
	.type	_ZN9rocsparseL27csr2gebsr_nnz_65_inf_kernelILi32EEEviiiiiii21rocsparse_index_base_PKiS3_S1_PiS4_,@function
_ZN9rocsparseL27csr2gebsr_nnz_65_inf_kernelILi32EEEviiiiiii21rocsparse_index_base_PKiS3_S1_PiS4_: ; @_ZN9rocsparseL27csr2gebsr_nnz_65_inf_kernelILi32EEEviiiiiii21rocsparse_index_base_PKiS3_S1_PiS4_
; %bb.0:
	s_load_dwordx2 s[12:13], s[0:1], 0x18
	s_load_dwordx4 s[8:11], s[0:1], 0x8
	s_load_dwordx2 s[4:5], s[0:1], 0x40
	s_waitcnt lgkmcnt(0)
	s_mul_i32 s3, s2, s12
	s_lshl_b32 s6, s3, 6
	s_ashr_i32 s7, s6, 31
	s_lshl_b64 s[6:7], s[6:7], 2
	s_add_u32 s18, s4, s6
	s_addc_u32 s19, s5, s7
	s_lshl_b32 s20, s12, 5
	v_mul_lo_u32 v4, v0, s12
	s_ashr_i32 s21, s20, 31
	v_ashrrev_i32_e32 v5, 31, v4
	s_cmp_gt_i32 s12, 0
	s_cselect_b64 s[6:7], -1, 0
	s_cmp_lt_i32 s12, 1
	v_lshl_add_u64 v[2:3], v[4:5], 2, s[18:19]
	s_cbranch_scc1 .LBB17_5
; %bb.1:
	s_load_dwordx2 s[14:15], s[0:1], 0x20
	s_load_dword s3, s[0:1], 0x0
	s_mul_i32 s22, s2, s10
	s_lshl_b64 s[16:17], s[20:21], 2
	v_mov_b32_e32 v1, 0
	v_mov_b32_e32 v12, v0
	v_mov_b64_e32 v[6:7], v[2:3]
	s_mov_b32 s23, s12
	s_branch .LBB17_3
.LBB17_2:                               ;   in Loop: Header=BB17_3 Depth=1
	s_or_b64 exec, exec, s[4:5]
	s_add_i32 s23, s23, -1
	v_lshl_add_u64 v[6:7], v[6:7], 0, 4
	s_cmp_eq_u32 s23, 0
	v_add_u32_e32 v12, 32, v12
	s_cbranch_scc1 .LBB17_5
.LBB17_3:                               ; =>This Inner Loop Header: Depth=1
	v_add_u32_e32 v10, s22, v12
	s_waitcnt lgkmcnt(0)
	v_cmp_gt_i32_e32 vcc, s3, v10
	v_cmp_gt_i32_e64 s[4:5], s10, v12
	v_lshl_add_u64 v[8:9], v[6:7], 0, s[16:17]
	s_and_b64 s[24:25], vcc, s[4:5]
	global_store_dword v[6:7], v1, off
	global_store_dword v[8:9], v1, off
	s_and_saveexec_b64 s[4:5], s[24:25]
	s_cbranch_execz .LBB17_2
; %bb.4:                                ;   in Loop: Header=BB17_3 Depth=1
	v_ashrrev_i32_e32 v11, 31, v10
	v_lshl_add_u64 v[10:11], v[10:11], 2, s[14:15]
	global_load_dwordx2 v[10:11], v[10:11], off
	s_waitcnt vmcnt(0)
	v_subrev_u32_e32 v10, s13, v10
	v_subrev_u32_e32 v11, s13, v11
	global_store_dword v[6:7], v10, off
	global_store_dword v[8:9], v11, off
	s_branch .LBB17_2
.LBB17_5:
	s_load_dwordx2 s[14:15], s[0:1], 0x38
	s_cmp_lt_i32 s9, 1
	v_cmp_eq_u32_e64 s[4:5], 31, v0
	s_cbranch_scc1 .LBB17_20
; %bb.6:
	s_lshl_b64 s[20:21], s[20:21], 2
	s_add_u32 s18, s18, s20
	s_addc_u32 s19, s19, s21
	s_abs_i32 s3, s11
	v_cvt_f32_u32_e32 v1, s3
	v_mbcnt_lo_u32_b32 v6, -1, 0
	s_load_dwordx2 s[16:17], s[0:1], 0x28
	v_mbcnt_hi_u32_b32 v6, -1, v6
	v_rcp_iflag_f32_e32 v1, v1
	v_mov_b32_e32 v7, 0x7c
	s_sub_i32 s10, 0, s3
	v_lshl_or_b32 v12, v6, 2, v7
	v_mul_f32_e32 v1, 0x4f7ffffe, v1
	v_cvt_u32_f32_e32 v1, v1
	v_lshl_add_u64 v[4:5], v[4:5], 2, s[18:19]
	s_mov_b32 s19, 0
	v_mov_b32_e32 v14, 0
	v_mul_lo_u32 v6, s10, v1
	v_mul_hi_u32 v6, v1, v6
	v_add_u32_e32 v13, v1, v6
	v_cndmask_b32_e64 v1, 0, 1, s[6:7]
	s_ashr_i32 s33, s11, 31
	s_mov_b64 s[10:11], 0
	v_cmp_ne_u32_e64 s[6:7], 1, v1
	v_mov_b32_e32 v1, 0
	s_branch .LBB17_8
.LBB17_7:                               ;   in Loop: Header=BB17_8 Depth=1
	s_nop 0
	v_mov_b32_dpp v6, v15 row_shr:1 row_mask:0xf bank_mask:0xf
	v_min_i32_e32 v6, v6, v15
	s_nop 1
	v_mov_b32_dpp v7, v6 row_shr:2 row_mask:0xf bank_mask:0xf
	v_min_i32_e32 v6, v7, v6
	;; [unrolled: 3-line block ×4, first 2 shown]
	s_nop 1
	v_mov_b32_dpp v7, v6 row_bcast:15 row_mask:0xa bank_mask:0xf
	v_min_i32_e32 v6, v7, v6
	ds_bpermute_b32 v6, v12, v6
	s_waitcnt lgkmcnt(0)
	v_cmp_gt_i32_e32 vcc, s9, v6
	v_add_u32_e32 v14, 1, v6
	s_and_b64 s[20:21], s[4:5], vcc
	v_cndmask_b32_e64 v6, 0, 1, s[20:21]
	v_cmp_le_i32_e32 vcc, s9, v14
	s_or_b64 s[10:11], vcc, s[10:11]
	v_add_u32_e32 v1, v1, v6
	s_andn2_b64 exec, exec, s[10:11]
	s_cbranch_execz .LBB17_19
.LBB17_8:                               ; =>This Loop Header: Depth=1
                                        ;     Child Loop BB17_12 Depth 2
                                        ;       Child Loop BB17_15 Depth 3
	s_and_b64 vcc, exec, s[6:7]
	v_mov_b32_e32 v15, s9
	s_cbranch_vccnz .LBB17_7
; %bb.9:                                ;   in Loop: Header=BB17_8 Depth=1
	s_mov_b32 s18, 0
	v_mov_b32_e32 v15, s9
	s_branch .LBB17_12
.LBB17_10:                              ;   in Loop: Header=BB17_12 Depth=2
	s_or_b64 exec, exec, s[22:23]
.LBB17_11:                              ;   in Loop: Header=BB17_12 Depth=2
	s_or_b64 exec, exec, s[20:21]
	s_add_i32 s18, s18, 1
	s_cmp_eq_u32 s18, s12
	s_cbranch_scc1 .LBB17_7
.LBB17_12:                              ;   Parent Loop BB17_8 Depth=1
                                        ; =>  This Loop Header: Depth=2
                                        ;       Child Loop BB17_15 Depth 3
	s_lshl_b64 s[20:21], s[18:19], 2
	v_lshl_add_u64 v[6:7], v[2:3], 0, s[20:21]
	v_lshl_add_u64 v[8:9], v[4:5], 0, s[20:21]
	global_load_dword v10, v[6:7], off
	global_load_dword v16, v[8:9], off
	s_waitcnt vmcnt(0)
	v_cmp_lt_i32_e32 vcc, v10, v16
	s_and_saveexec_b64 s[20:21], vcc
	s_cbranch_execz .LBB17_11
; %bb.13:                               ;   in Loop: Header=BB17_12 Depth=2
	v_ashrrev_i32_e32 v11, 31, v10
	s_waitcnt lgkmcnt(0)
	v_lshl_add_u64 v[8:9], v[10:11], 2, s[16:17]
	s_mov_b64 s[22:23], 0
                                        ; implicit-def: $sgpr24_sgpr25
                                        ; implicit-def: $sgpr28_sgpr29
                                        ; implicit-def: $sgpr26_sgpr27
	s_branch .LBB17_15
.LBB17_14:                              ;   in Loop: Header=BB17_15 Depth=3
	s_or_b64 exec, exec, s[30:31]
	s_and_b64 s[30:31], exec, s[28:29]
	s_or_b64 s[22:23], s[30:31], s[22:23]
	s_andn2_b64 s[24:25], s[24:25], exec
	s_and_b64 s[30:31], s[26:27], exec
	s_or_b64 s[24:25], s[24:25], s[30:31]
	s_andn2_b64 exec, exec, s[22:23]
	s_cbranch_execz .LBB17_17
.LBB17_15:                              ;   Parent Loop BB17_8 Depth=1
                                        ;     Parent Loop BB17_12 Depth=2
                                        ; =>    This Inner Loop Header: Depth=3
	global_load_dword v17, v[8:9], off
	v_mov_b32_e32 v11, v10
	s_or_b64 s[26:27], s[26:27], exec
	s_or_b64 s[28:29], s[28:29], exec
	s_waitcnt vmcnt(0)
	v_subrev_u32_e32 v10, s13, v17
	v_sub_u32_e32 v18, 0, v10
	v_ashrrev_i32_e32 v17, 31, v10
	v_max_i32_e32 v10, v10, v18
	v_mul_hi_u32 v18, v10, v13
	v_mul_lo_u32 v19, v18, s3
	v_sub_u32_e32 v10, v10, v19
	v_add_u32_e32 v20, 1, v18
	v_cmp_le_u32_e32 vcc, s3, v10
	v_subrev_u32_e32 v19, s3, v10
	v_xor_b32_e32 v17, s33, v17
	v_cndmask_b32_e32 v18, v18, v20, vcc
	v_cndmask_b32_e32 v10, v10, v19, vcc
	v_add_u32_e32 v19, 1, v18
	v_cmp_le_u32_e32 vcc, s3, v10
	s_nop 1
	v_cndmask_b32_e32 v10, v18, v19, vcc
	v_xor_b32_e32 v10, v10, v17
	v_sub_u32_e32 v17, v10, v17
	v_cmp_lt_i32_e32 vcc, v17, v14
                                        ; implicit-def: $vgpr10
	s_and_saveexec_b64 s[30:31], vcc
	s_cbranch_execz .LBB17_14
; %bb.16:                               ;   in Loop: Header=BB17_15 Depth=3
	v_add_u32_e32 v10, 1, v11
	v_cmp_ge_i32_e32 vcc, v10, v16
	s_andn2_b64 s[28:29], s[28:29], exec
	s_and_b64 s[34:35], vcc, exec
	v_lshl_add_u64 v[8:9], v[8:9], 0, 4
	s_andn2_b64 s[26:27], s[26:27], exec
	s_or_b64 s[28:29], s[28:29], s[34:35]
	s_branch .LBB17_14
.LBB17_17:                              ;   in Loop: Header=BB17_12 Depth=2
	s_or_b64 exec, exec, s[22:23]
	s_and_saveexec_b64 s[22:23], s[24:25]
	s_xor_b64 s[22:23], exec, s[22:23]
	s_cbranch_execz .LBB17_10
; %bb.18:                               ;   in Loop: Header=BB17_12 Depth=2
	v_min_i32_e32 v15, v17, v15
	global_store_dword v[6:7], v11, off
	s_branch .LBB17_10
.LBB17_19:
	s_or_b64 exec, exec, s[10:11]
	s_branch .LBB17_21
.LBB17_20:
	v_mov_b32_e32 v1, 0
.LBB17_21:
	s_cmp_lt_i32 s2, s8
	s_cselect_b64 s[4:5], -1, 0
	v_cmp_eq_u32_e32 vcc, 31, v0
	s_and_b64 s[4:5], vcc, s[4:5]
	s_and_saveexec_b64 s[6:7], s[4:5]
	s_cbranch_execz .LBB17_23
; %bb.22:
	s_load_dword s4, s[0:1], 0x30
	s_ashr_i32 s3, s2, 31
	s_lshl_b64 s[0:1], s[2:3], 2
	s_waitcnt lgkmcnt(0)
	s_add_u32 s0, s14, s0
	v_mov_b32_e32 v0, 0
	v_mov_b32_e32 v2, s4
	s_addc_u32 s1, s15, s1
	global_store_dword v0, v2, s[14:15]
	global_store_dword v0, v1, s[0:1] offset:4
.LBB17_23:
	s_endpgm
	.section	.rodata,"a",@progbits
	.p2align	6, 0x0
	.amdhsa_kernel _ZN9rocsparseL27csr2gebsr_nnz_65_inf_kernelILi32EEEviiiiiii21rocsparse_index_base_PKiS3_S1_PiS4_
		.amdhsa_group_segment_fixed_size 0
		.amdhsa_private_segment_fixed_size 0
		.amdhsa_kernarg_size 72
		.amdhsa_user_sgpr_count 2
		.amdhsa_user_sgpr_dispatch_ptr 0
		.amdhsa_user_sgpr_queue_ptr 0
		.amdhsa_user_sgpr_kernarg_segment_ptr 1
		.amdhsa_user_sgpr_dispatch_id 0
		.amdhsa_user_sgpr_kernarg_preload_length 0
		.amdhsa_user_sgpr_kernarg_preload_offset 0
		.amdhsa_user_sgpr_private_segment_size 0
		.amdhsa_uses_dynamic_stack 0
		.amdhsa_enable_private_segment 0
		.amdhsa_system_sgpr_workgroup_id_x 1
		.amdhsa_system_sgpr_workgroup_id_y 0
		.amdhsa_system_sgpr_workgroup_id_z 0
		.amdhsa_system_sgpr_workgroup_info 0
		.amdhsa_system_vgpr_workitem_id 0
		.amdhsa_next_free_vgpr 21
		.amdhsa_next_free_sgpr 36
		.amdhsa_accum_offset 24
		.amdhsa_reserve_vcc 1
		.amdhsa_float_round_mode_32 0
		.amdhsa_float_round_mode_16_64 0
		.amdhsa_float_denorm_mode_32 3
		.amdhsa_float_denorm_mode_16_64 3
		.amdhsa_dx10_clamp 1
		.amdhsa_ieee_mode 1
		.amdhsa_fp16_overflow 0
		.amdhsa_tg_split 0
		.amdhsa_exception_fp_ieee_invalid_op 0
		.amdhsa_exception_fp_denorm_src 0
		.amdhsa_exception_fp_ieee_div_zero 0
		.amdhsa_exception_fp_ieee_overflow 0
		.amdhsa_exception_fp_ieee_underflow 0
		.amdhsa_exception_fp_ieee_inexact 0
		.amdhsa_exception_int_div_zero 0
	.end_amdhsa_kernel
	.section	.text._ZN9rocsparseL27csr2gebsr_nnz_65_inf_kernelILi32EEEviiiiiii21rocsparse_index_base_PKiS3_S1_PiS4_,"axG",@progbits,_ZN9rocsparseL27csr2gebsr_nnz_65_inf_kernelILi32EEEviiiiiii21rocsparse_index_base_PKiS3_S1_PiS4_,comdat
.Lfunc_end17:
	.size	_ZN9rocsparseL27csr2gebsr_nnz_65_inf_kernelILi32EEEviiiiiii21rocsparse_index_base_PKiS3_S1_PiS4_, .Lfunc_end17-_ZN9rocsparseL27csr2gebsr_nnz_65_inf_kernelILi32EEEviiiiiii21rocsparse_index_base_PKiS3_S1_PiS4_
                                        ; -- End function
	.section	.AMDGPU.csdata,"",@progbits
; Kernel info:
; codeLenInByte = 1012
; NumSgprs: 42
; NumVgprs: 21
; NumAgprs: 0
; TotalNumVgprs: 21
; ScratchSize: 0
; MemoryBound: 0
; FloatMode: 240
; IeeeMode: 1
; LDSByteSize: 0 bytes/workgroup (compile time only)
; SGPRBlocks: 5
; VGPRBlocks: 2
; NumSGPRsForWavesPerEU: 42
; NumVGPRsForWavesPerEU: 21
; AccumOffset: 24
; Occupancy: 8
; WaveLimiterHint : 0
; COMPUTE_PGM_RSRC2:SCRATCH_EN: 0
; COMPUTE_PGM_RSRC2:USER_SGPR: 2
; COMPUTE_PGM_RSRC2:TRAP_HANDLER: 0
; COMPUTE_PGM_RSRC2:TGID_X_EN: 1
; COMPUTE_PGM_RSRC2:TGID_Y_EN: 0
; COMPUTE_PGM_RSRC2:TGID_Z_EN: 0
; COMPUTE_PGM_RSRC2:TIDIG_COMP_CNT: 0
; COMPUTE_PGM_RSRC3_GFX90A:ACCUM_OFFSET: 5
; COMPUTE_PGM_RSRC3_GFX90A:TG_SPLIT: 0
	.section	.text._ZN9rocsparseL20csr2gebsr_kernel_bm1ILi256EfEEviiii21rocsparse_index_base_PKT0_PKiS6_20rocsparse_direction_S1_PS2_S6_Piii,"axG",@progbits,_ZN9rocsparseL20csr2gebsr_kernel_bm1ILi256EfEEviiii21rocsparse_index_base_PKT0_PKiS6_20rocsparse_direction_S1_PS2_S6_Piii,comdat
	.globl	_ZN9rocsparseL20csr2gebsr_kernel_bm1ILi256EfEEviiii21rocsparse_index_base_PKT0_PKiS6_20rocsparse_direction_S1_PS2_S6_Piii ; -- Begin function _ZN9rocsparseL20csr2gebsr_kernel_bm1ILi256EfEEviiii21rocsparse_index_base_PKT0_PKiS6_20rocsparse_direction_S1_PS2_S6_Piii
	.p2align	8
	.type	_ZN9rocsparseL20csr2gebsr_kernel_bm1ILi256EfEEviiii21rocsparse_index_base_PKT0_PKiS6_20rocsparse_direction_S1_PS2_S6_Piii,@function
_ZN9rocsparseL20csr2gebsr_kernel_bm1ILi256EfEEviiii21rocsparse_index_base_PKT0_PKiS6_20rocsparse_direction_S1_PS2_S6_Piii: ; @_ZN9rocsparseL20csr2gebsr_kernel_bm1ILi256EfEEviiii21rocsparse_index_base_PKT0_PKiS6_20rocsparse_direction_S1_PS2_S6_Piii
; %bb.0:
	s_load_dword s3, s[0:1], 0x0
	v_lshl_or_b32 v4, s2, 8, v0
	s_waitcnt lgkmcnt(0)
	v_cmp_gt_i32_e32 vcc, s3, v4
	s_and_saveexec_b64 s[2:3], vcc
	s_cbranch_execz .LBB18_6
; %bb.1:
	s_load_dwordx4 s[16:19], s[0:1], 0x18
	v_ashrrev_i32_e32 v5, 31, v4
	s_waitcnt lgkmcnt(0)
	v_mov_b32_e32 v0, s18
	v_mov_b32_e32 v1, s19
	v_lshl_add_u64 v[0:1], v[4:5], 2, v[0:1]
	global_load_dwordx2 v[2:3], v[0:1], off
	s_waitcnt vmcnt(0)
	v_cmp_lt_i32_e32 vcc, v2, v3
	s_and_b64 exec, exec, vcc
	s_cbranch_execz .LBB18_6
; %bb.2:
	s_load_dwordx8 s[4:11], s[0:1], 0x28
	v_mov_b32_e32 v10, -1
	s_waitcnt lgkmcnt(0)
	v_mov_b32_e32 v6, s10
	v_mov_b32_e32 v7, s11
	v_lshl_add_u64 v[4:5], v[4:5], 2, v[6:7]
	global_load_dword v11, v[4:5], off
	s_load_dword s10, s[0:1], 0x10
	s_load_dwordx4 s[12:15], s[0:1], 0x48
	s_cmp_eq_u32 s6, 0
	s_waitcnt lgkmcnt(0)
	v_subrev_u32_e32 v4, s10, v2
	s_cselect_b32 s11, s14, 1
	s_abs_i32 s18, s15
	v_cvt_f32_u32_e32 v2, s18
	v_ashrrev_i32_e32 v5, 31, v4
	s_sub_i32 s2, 0, s18
	v_lshlrev_b64 v[8:9], 2, v[4:5]
	v_rcp_iflag_f32_e32 v2, v2
	s_ashr_i32 s19, s15, 31
	s_add_u32 s0, s12, 4
	s_mul_hi_i32 s6, s15, s14
	v_mul_f32_e32 v2, 0x4f7ffffe, v2
	v_cvt_u32_f32_e32 v2, v2
	s_mul_i32 s14, s15, s14
	v_lshl_add_u64 v[6:7], s[4:5], 0, v[8:9]
	v_lshl_add_u64 v[8:9], s[16:17], 0, v[8:9]
	v_mul_lo_u32 v5, s2, v2
	v_mul_hi_u32 v5, v2, v5
	v_add_u32_e32 v5, v2, v5
	s_addc_u32 s1, s13, 0
	s_mov_b64 s[2:3], 0
	s_waitcnt vmcnt(0)
	v_xad_u32 v2, s7, -1, v11
	v_mov_b32_e32 v11, v2
	s_branch .LBB18_4
.LBB18_3:                               ;   in Loop: Header=BB18_4 Depth=1
	s_or_b64 exec, exec, s[4:5]
	global_load_dword v16, v[8:9], off
	v_mul_lo_u32 v13, v13, s15
	v_ashrrev_i32_e32 v17, 31, v11
	v_mul_lo_u32 v18, s6, v11
	v_mad_u64_u32 v[14:15], s[4:5], s14, v11, 0
	v_sub_u32_e32 v12, v12, v13
	v_mul_lo_u32 v13, s14, v17
	v_add_u32_e32 v4, 1, v4
	s_waitcnt vmcnt(1)
	v_subrev_u32_e32 v19, s10, v3
	v_add3_u32 v15, v15, v13, v18
	v_mul_lo_u32 v12, v12, s11
	v_cmp_ge_i32_e32 vcc, v4, v19
	v_ashrrev_i32_e32 v13, 31, v12
	v_lshl_add_u64 v[14:15], v[14:15], 2, s[8:9]
	v_lshl_add_u64 v[6:7], v[6:7], 0, 4
	s_or_b64 s[2:3], vcc, s[2:3]
	v_lshl_add_u64 v[12:13], v[12:13], 2, v[14:15]
	v_lshl_add_u64 v[8:9], v[8:9], 0, 4
	s_waitcnt vmcnt(0)
	global_store_dword v[12:13], v16, off
	s_andn2_b64 exec, exec, s[2:3]
	s_cbranch_execz .LBB18_6
.LBB18_4:                               ; =>This Inner Loop Header: Depth=1
	global_load_dword v12, v[6:7], off
	s_waitcnt vmcnt(0)
	v_subrev_u32_e32 v12, s10, v12
	v_sub_u32_e32 v14, 0, v12
	v_max_i32_e32 v14, v12, v14
	v_mul_hi_u32 v15, v14, v5
	v_mul_lo_u32 v16, v15, s18
	v_sub_u32_e32 v14, v14, v16
	v_add_u32_e32 v17, 1, v15
	v_cmp_le_u32_e32 vcc, s18, v14
	v_subrev_u32_e32 v16, s18, v14
	v_ashrrev_i32_e32 v13, 31, v12
	v_cndmask_b32_e32 v15, v15, v17, vcc
	v_cndmask_b32_e32 v14, v14, v16, vcc
	v_add_u32_e32 v16, 1, v15
	v_cmp_le_u32_e32 vcc, s18, v14
	v_xor_b32_e32 v13, s19, v13
	s_nop 0
	v_cndmask_b32_e32 v14, v15, v16, vcc
	v_xor_b32_e32 v14, v14, v13
	v_sub_u32_e32 v13, v14, v13
	v_cmp_ne_u32_e32 vcc, v13, v10
	s_and_saveexec_b64 s[4:5], vcc
	s_cbranch_execz .LBB18_3
; %bb.5:                                ;   in Loop: Header=BB18_4 Depth=1
	v_ashrrev_i32_e32 v3, 31, v2
	v_lshl_add_u64 v[14:15], v[2:3], 2, s[0:1]
	v_add_u32_e32 v3, s7, v13
	global_store_dword v[14:15], v3, off
	global_load_dword v3, v[0:1], off offset:4
	v_add_u32_e32 v11, 1, v11
	v_add_u32_e32 v2, 1, v2
	v_mov_b32_e32 v10, v13
	s_branch .LBB18_3
.LBB18_6:
	s_endpgm
	.section	.rodata,"a",@progbits
	.p2align	6, 0x0
	.amdhsa_kernel _ZN9rocsparseL20csr2gebsr_kernel_bm1ILi256EfEEviiii21rocsparse_index_base_PKT0_PKiS6_20rocsparse_direction_S1_PS2_S6_Piii
		.amdhsa_group_segment_fixed_size 0
		.amdhsa_private_segment_fixed_size 0
		.amdhsa_kernarg_size 88
		.amdhsa_user_sgpr_count 2
		.amdhsa_user_sgpr_dispatch_ptr 0
		.amdhsa_user_sgpr_queue_ptr 0
		.amdhsa_user_sgpr_kernarg_segment_ptr 1
		.amdhsa_user_sgpr_dispatch_id 0
		.amdhsa_user_sgpr_kernarg_preload_length 0
		.amdhsa_user_sgpr_kernarg_preload_offset 0
		.amdhsa_user_sgpr_private_segment_size 0
		.amdhsa_uses_dynamic_stack 0
		.amdhsa_enable_private_segment 0
		.amdhsa_system_sgpr_workgroup_id_x 1
		.amdhsa_system_sgpr_workgroup_id_y 0
		.amdhsa_system_sgpr_workgroup_id_z 0
		.amdhsa_system_sgpr_workgroup_info 0
		.amdhsa_system_vgpr_workitem_id 0
		.amdhsa_next_free_vgpr 20
		.amdhsa_next_free_sgpr 20
		.amdhsa_accum_offset 20
		.amdhsa_reserve_vcc 1
		.amdhsa_float_round_mode_32 0
		.amdhsa_float_round_mode_16_64 0
		.amdhsa_float_denorm_mode_32 3
		.amdhsa_float_denorm_mode_16_64 3
		.amdhsa_dx10_clamp 1
		.amdhsa_ieee_mode 1
		.amdhsa_fp16_overflow 0
		.amdhsa_tg_split 0
		.amdhsa_exception_fp_ieee_invalid_op 0
		.amdhsa_exception_fp_denorm_src 0
		.amdhsa_exception_fp_ieee_div_zero 0
		.amdhsa_exception_fp_ieee_overflow 0
		.amdhsa_exception_fp_ieee_underflow 0
		.amdhsa_exception_fp_ieee_inexact 0
		.amdhsa_exception_int_div_zero 0
	.end_amdhsa_kernel
	.section	.text._ZN9rocsparseL20csr2gebsr_kernel_bm1ILi256EfEEviiii21rocsparse_index_base_PKT0_PKiS6_20rocsparse_direction_S1_PS2_S6_Piii,"axG",@progbits,_ZN9rocsparseL20csr2gebsr_kernel_bm1ILi256EfEEviiii21rocsparse_index_base_PKT0_PKiS6_20rocsparse_direction_S1_PS2_S6_Piii,comdat
.Lfunc_end18:
	.size	_ZN9rocsparseL20csr2gebsr_kernel_bm1ILi256EfEEviiii21rocsparse_index_base_PKT0_PKiS6_20rocsparse_direction_S1_PS2_S6_Piii, .Lfunc_end18-_ZN9rocsparseL20csr2gebsr_kernel_bm1ILi256EfEEviiii21rocsparse_index_base_PKT0_PKiS6_20rocsparse_direction_S1_PS2_S6_Piii
                                        ; -- End function
	.section	.AMDGPU.csdata,"",@progbits
; Kernel info:
; codeLenInByte = 584
; NumSgprs: 26
; NumVgprs: 20
; NumAgprs: 0
; TotalNumVgprs: 20
; ScratchSize: 0
; MemoryBound: 0
; FloatMode: 240
; IeeeMode: 1
; LDSByteSize: 0 bytes/workgroup (compile time only)
; SGPRBlocks: 3
; VGPRBlocks: 2
; NumSGPRsForWavesPerEU: 26
; NumVGPRsForWavesPerEU: 20
; AccumOffset: 20
; Occupancy: 8
; WaveLimiterHint : 0
; COMPUTE_PGM_RSRC2:SCRATCH_EN: 0
; COMPUTE_PGM_RSRC2:USER_SGPR: 2
; COMPUTE_PGM_RSRC2:TRAP_HANDLER: 0
; COMPUTE_PGM_RSRC2:TGID_X_EN: 1
; COMPUTE_PGM_RSRC2:TGID_Y_EN: 0
; COMPUTE_PGM_RSRC2:TGID_Z_EN: 0
; COMPUTE_PGM_RSRC2:TIDIG_COMP_CNT: 0
; COMPUTE_PGM_RSRC3_GFX90A:ACCUM_OFFSET: 4
; COMPUTE_PGM_RSRC3_GFX90A:TG_SPLIT: 0
	.section	.text._ZN9rocsparseL44csr2gebsr_wavefront_per_row_multipass_kernelILi256ELi2ELi2ELi4EfEEv20rocsparse_direction_iiiiii21rocsparse_index_base_PKT3_PKiS7_S2_PS3_PiS9_,"axG",@progbits,_ZN9rocsparseL44csr2gebsr_wavefront_per_row_multipass_kernelILi256ELi2ELi2ELi4EfEEv20rocsparse_direction_iiiiii21rocsparse_index_base_PKT3_PKiS7_S2_PS3_PiS9_,comdat
	.globl	_ZN9rocsparseL44csr2gebsr_wavefront_per_row_multipass_kernelILi256ELi2ELi2ELi4EfEEv20rocsparse_direction_iiiiii21rocsparse_index_base_PKT3_PKiS7_S2_PS3_PiS9_ ; -- Begin function _ZN9rocsparseL44csr2gebsr_wavefront_per_row_multipass_kernelILi256ELi2ELi2ELi4EfEEv20rocsparse_direction_iiiiii21rocsparse_index_base_PKT3_PKiS7_S2_PS3_PiS9_
	.p2align	8
	.type	_ZN9rocsparseL44csr2gebsr_wavefront_per_row_multipass_kernelILi256ELi2ELi2ELi4EfEEv20rocsparse_direction_iiiiii21rocsparse_index_base_PKT3_PKiS7_S2_PS3_PiS9_,@function
_ZN9rocsparseL44csr2gebsr_wavefront_per_row_multipass_kernelILi256ELi2ELi2ELi4EfEEv20rocsparse_direction_iiiiii21rocsparse_index_base_PKT3_PKiS7_S2_PS3_PiS9_: ; @_ZN9rocsparseL44csr2gebsr_wavefront_per_row_multipass_kernelILi256ELi2ELi2ELi4EfEEv20rocsparse_direction_iiiiii21rocsparse_index_base_PKT3_PKiS7_S2_PS3_PiS9_
; %bb.0:
	s_load_dwordx2 s[14:15], s[0:1], 0x0
	s_load_dwordx4 s[4:7], s[0:1], 0xc
	s_load_dword s20, s[0:1], 0x1c
	s_load_dwordx2 s[8:9], s[0:1], 0x28
	v_lshrrev_b32_e32 v10, 2, v0
	v_bfe_u32 v8, v0, 1, 1
	v_lshl_or_b32 v4, s2, 6, v10
	s_waitcnt lgkmcnt(0)
	v_mad_u64_u32 v[2:3], s[2:3], v4, s6, v[8:9]
	v_cmp_gt_i32_e64 s[2:3], s15, v2
	v_cmp_gt_i32_e32 vcc, s6, v8
	s_and_b64 s[2:3], vcc, s[2:3]
	v_mov_b32_e32 v11, 0
	v_mov_b32_e32 v6, 0
	s_and_saveexec_b64 s[10:11], s[2:3]
	s_cbranch_execz .LBB19_2
; %bb.1:
	v_ashrrev_i32_e32 v3, 31, v2
	v_lshl_add_u64 v[6:7], v[2:3], 2, s[8:9]
	global_load_dword v1, v[6:7], off
	s_waitcnt vmcnt(0)
	v_subrev_u32_e32 v6, s20, v1
.LBB19_2:
	s_or_b64 exec, exec, s[10:11]
	s_and_saveexec_b64 s[10:11], s[2:3]
	s_cbranch_execz .LBB19_4
; %bb.3:
	v_ashrrev_i32_e32 v3, 31, v2
	v_lshl_add_u64 v[2:3], v[2:3], 2, s[8:9]
	global_load_dword v1, v[2:3], off offset:4
	s_waitcnt vmcnt(0)
	v_subrev_u32_e32 v11, s20, v1
.LBB19_4:
	s_or_b64 exec, exec, s[10:11]
	s_load_dword s21, s[0:1], 0x38
	v_cmp_gt_i32_e64 s[2:3], s4, v4
	v_mov_b32_e32 v2, 0
	s_and_saveexec_b64 s[8:9], s[2:3]
	s_cbranch_execz .LBB19_6
; %bb.5:
	s_load_dwordx2 s[2:3], s[0:1], 0x48
	v_ashrrev_i32_e32 v5, 31, v4
	s_waitcnt lgkmcnt(0)
	v_lshl_add_u64 v[2:3], v[4:5], 2, s[2:3]
	global_load_dword v1, v[2:3], off
	s_waitcnt vmcnt(0)
	v_subrev_u32_e32 v2, s21, v1
.LBB19_6:
	s_or_b64 exec, exec, s[8:9]
	s_cmp_lt_i32 s5, 1
	s_cbranch_scc1 .LBB19_21
; %bb.7:
	v_and_b32_e32 v4, 1, v0
	s_load_dwordx2 s[2:3], s[0:1], 0x20
	s_load_dwordx2 s[8:9], s[0:1], 0x50
	;; [unrolled: 1-line block ×4, first 2 shown]
	v_cmp_gt_u32_e64 s[0:1], s7, v4
	s_and_b64 s[12:13], vcc, s[0:1]
	s_cmp_eq_u32 s14, 0
	s_cselect_b64 vcc, -1, 0
	s_abs_i32 s4, s7
	v_cvt_f32_u32_e32 v7, s4
	v_and_b32_e32 v0, 0xfc, v0
	v_lshl_or_b32 v12, v8, 1, v0
	v_mbcnt_lo_u32_b32 v0, -1, 0
	v_mbcnt_hi_u32_b32 v0, -1, v0
	v_lshlrev_b32_e32 v3, 2, v0
	v_or_b32_e32 v0, v12, v4
	v_mov_b32_e32 v5, 0
	v_rcp_iflag_f32_e32 v7, v7
	v_lshlrev_b32_e32 v15, 2, v0
	v_mul_lo_u32 v0, v4, s6
	v_mov_b32_e32 v1, v5
	v_lshlrev_b32_e32 v16, 2, v8
	v_mul_lo_u32 v8, v8, s7
	s_waitcnt lgkmcnt(0)
	v_lshl_add_u64 v[0:1], v[0:1], 2, s[16:17]
	v_mov_b32_e32 v17, v5
	v_ashrrev_i32_e32 v9, 31, v8
	v_lshl_add_u64 v[0:1], v[0:1], 0, v[16:17]
	v_lshl_add_u64 v[8:9], v[8:9], 2, s[16:17]
	v_lshlrev_b32_e32 v16, 2, v4
	v_or_b32_e32 v14, 4, v3
	v_lshl_add_u64 v[8:9], v[8:9], 0, v[16:17]
	v_or_b32_e32 v16, 12, v3
	v_mul_f32_e32 v3, 0x4f7ffffe, v7
	v_cvt_u32_f32_e32 v3, v3
	s_ashr_i32 s22, s7, 31
	s_mul_hi_u32 s0, s7, s6
	s_mul_i32 s1, s22, s6
	s_add_i32 s23, s0, s1
	s_sub_i32 s0, 0, s4
	v_mul_lo_u32 v7, s0, v3
	v_mul_hi_u32 v7, v3, v7
	v_mov_b32_e32 v13, 0
	s_mul_i32 s6, s7, s6
	v_cndmask_b32_e32 v1, v1, v9, vcc
	v_cndmask_b32_e32 v0, v0, v8, vcc
	v_add_u32_e32 v17, v3, v7
	s_mov_b64 s[14:15], 0
	v_mov_b32_e32 v18, 1
	v_mov_b32_e32 v3, 0
	s_branch .LBB19_10
.LBB19_8:                               ;   in Loop: Header=BB19_10 Depth=1
	s_or_b64 exec, exec, s[16:17]
	v_mov_b32_e32 v7, 1
.LBB19_9:                               ;   in Loop: Header=BB19_10 Depth=1
	s_or_b64 exec, exec, s[0:1]
	v_mov_b32_dpp v3, v19 row_shr:1 row_mask:0xf bank_mask:0xf
	v_min_i32_e32 v3, v3, v19
	v_add_u32_e32 v2, v7, v2
	s_waitcnt lgkmcnt(0)
	v_mov_b32_dpp v8, v3 row_shr:2 row_mask:0xf bank_mask:0xf
	v_min_i32_e32 v3, v8, v3
	ds_bpermute_b32 v3, v16, v3
	s_waitcnt lgkmcnt(0)
	v_cmp_le_i32_e32 vcc, s5, v3
	s_or_b64 s[14:15], vcc, s[14:15]
	s_andn2_b64 exec, exec, s[14:15]
	s_cbranch_execz .LBB19_21
.LBB19_10:                              ; =>This Loop Header: Depth=1
                                        ;     Child Loop BB19_13 Depth 2
	v_add_u32_e32 v20, v6, v4
	v_cmp_lt_i32_e32 vcc, v20, v11
	v_mov_b32_e32 v19, s5
	v_mov_b32_e32 v22, v11
	ds_write_b8 v10, v13 offset:1024
	ds_write_b32 v15, v5
	s_waitcnt lgkmcnt(0)
	s_and_saveexec_b64 s[16:17], vcc
	s_cbranch_execz .LBB19_18
; %bb.11:                               ;   in Loop: Header=BB19_10 Depth=1
	v_ashrrev_i32_e32 v7, 31, v6
	v_lshl_add_u64 v[6:7], v[4:5], 0, v[6:7]
	v_lshlrev_b64 v[8:9], 2, v[6:7]
	v_mul_lo_u32 v21, v3, s7
	v_lshl_add_u64 v[6:7], s[10:11], 0, v[8:9]
	v_lshl_add_u64 v[8:9], s[2:3], 0, v[8:9]
	s_mov_b64 s[18:19], 0
	v_mov_b32_e32 v19, s5
	v_mov_b32_e32 v22, v11
	s_branch .LBB19_13
.LBB19_12:                              ;   in Loop: Header=BB19_13 Depth=2
	s_or_b64 exec, exec, s[0:1]
	v_add_u32_e32 v20, 2, v20
	v_cmp_ge_i32_e64 s[0:1], v20, v11
	s_xor_b64 s[24:25], vcc, -1
	s_or_b64 s[0:1], s[24:25], s[0:1]
	s_and_b64 s[0:1], exec, s[0:1]
	v_lshl_add_u64 v[6:7], v[6:7], 0, 8
	s_or_b64 s[18:19], s[0:1], s[18:19]
	v_lshl_add_u64 v[8:9], v[8:9], 0, 8
	s_andn2_b64 exec, exec, s[18:19]
	s_cbranch_execz .LBB19_17
.LBB19_13:                              ;   Parent Loop BB19_10 Depth=1
                                        ; =>  This Inner Loop Header: Depth=2
	global_load_dword v23, v[6:7], off
	s_waitcnt vmcnt(0)
	v_subrev_u32_e32 v23, s20, v23
	v_sub_u32_e32 v25, 0, v23
	v_max_i32_e32 v25, v23, v25
	v_mul_hi_u32 v26, v25, v17
	v_mul_lo_u32 v27, v26, s4
	v_sub_u32_e32 v25, v25, v27
	v_add_u32_e32 v28, 1, v26
	v_cmp_le_u32_e32 vcc, s4, v25
	v_subrev_u32_e32 v27, s4, v25
	v_ashrrev_i32_e32 v24, 31, v23
	v_cndmask_b32_e32 v26, v26, v28, vcc
	v_cndmask_b32_e32 v25, v25, v27, vcc
	v_add_u32_e32 v27, 1, v26
	v_cmp_le_u32_e32 vcc, s4, v25
	v_xor_b32_e32 v24, s22, v24
	s_nop 0
	v_cndmask_b32_e32 v25, v26, v27, vcc
	v_xor_b32_e32 v25, v25, v24
	v_sub_u32_e32 v25, v25, v24
	v_cmp_eq_u32_e32 vcc, v25, v3
	v_cmp_ne_u32_e64 s[0:1], v25, v3
	v_mov_b32_e32 v24, v22
	s_and_saveexec_b64 s[24:25], s[0:1]
	s_xor_b64 s[0:1], exec, s[24:25]
; %bb.14:                               ;   in Loop: Header=BB19_13 Depth=2
	v_min_i32_e32 v19, v25, v19
                                        ; implicit-def: $vgpr23
                                        ; implicit-def: $vgpr24
; %bb.15:                               ;   in Loop: Header=BB19_13 Depth=2
	s_or_saveexec_b64 s[0:1], s[0:1]
	v_mov_b32_e32 v22, v20
	s_xor_b64 exec, exec, s[0:1]
	s_cbranch_execz .LBB19_12
; %bb.16:                               ;   in Loop: Header=BB19_13 Depth=2
	global_load_dword v22, v[8:9], off
	v_sub_u32_e32 v23, v23, v21
	v_add_lshl_u32 v23, v12, v23, 2
	ds_write_b8 v10, v18 offset:1024
	s_waitcnt vmcnt(0)
	ds_write_b32 v23, v22
	v_mov_b32_e32 v22, v24
	s_branch .LBB19_12
.LBB19_17:                              ;   in Loop: Header=BB19_10 Depth=1
	s_or_b64 exec, exec, s[18:19]
.LBB19_18:                              ;   in Loop: Header=BB19_10 Depth=1
	s_or_b64 exec, exec, s[16:17]
	s_waitcnt lgkmcnt(0)
	ds_read_u8 v7, v10 offset:1024
	v_mov_b32_dpp v6, v22 row_shr:1 row_mask:0xf bank_mask:0xf
	v_min_i32_e32 v6, v6, v22
	ds_bpermute_b32 v6, v14, v6
	s_waitcnt lgkmcnt(1)
	v_and_b32_e32 v7, 1, v7
	v_cmp_eq_u32_e32 vcc, 1, v7
	v_mov_b32_e32 v7, 0
	s_and_saveexec_b64 s[0:1], vcc
	s_cbranch_execz .LBB19_9
; %bb.19:                               ;   in Loop: Header=BB19_10 Depth=1
	v_add_u32_e32 v7, s21, v3
	v_ashrrev_i32_e32 v3, 31, v2
	v_lshl_add_u64 v[8:9], v[2:3], 2, s[8:9]
	global_store_dword v[8:9], v7, off
	s_and_saveexec_b64 s[16:17], s[12:13]
	s_cbranch_execz .LBB19_8
; %bb.20:                               ;   in Loop: Header=BB19_10 Depth=1
	ds_read_b32 v7, v15
	v_mul_lo_u32 v20, s23, v2
	v_mul_lo_u32 v3, s6, v3
	v_mad_u64_u32 v[8:9], s[18:19], s6, v2, 0
	v_add3_u32 v9, v9, v3, v20
	v_lshl_add_u64 v[8:9], v[8:9], 2, v[0:1]
	s_waitcnt lgkmcnt(0)
	global_store_dword v[8:9], v7, off
	s_branch .LBB19_8
.LBB19_21:
	s_endpgm
	.section	.rodata,"a",@progbits
	.p2align	6, 0x0
	.amdhsa_kernel _ZN9rocsparseL44csr2gebsr_wavefront_per_row_multipass_kernelILi256ELi2ELi2ELi4EfEEv20rocsparse_direction_iiiiii21rocsparse_index_base_PKT3_PKiS7_S2_PS3_PiS9_
		.amdhsa_group_segment_fixed_size 1088
		.amdhsa_private_segment_fixed_size 0
		.amdhsa_kernarg_size 88
		.amdhsa_user_sgpr_count 2
		.amdhsa_user_sgpr_dispatch_ptr 0
		.amdhsa_user_sgpr_queue_ptr 0
		.amdhsa_user_sgpr_kernarg_segment_ptr 1
		.amdhsa_user_sgpr_dispatch_id 0
		.amdhsa_user_sgpr_kernarg_preload_length 0
		.amdhsa_user_sgpr_kernarg_preload_offset 0
		.amdhsa_user_sgpr_private_segment_size 0
		.amdhsa_uses_dynamic_stack 0
		.amdhsa_enable_private_segment 0
		.amdhsa_system_sgpr_workgroup_id_x 1
		.amdhsa_system_sgpr_workgroup_id_y 0
		.amdhsa_system_sgpr_workgroup_id_z 0
		.amdhsa_system_sgpr_workgroup_info 0
		.amdhsa_system_vgpr_workitem_id 0
		.amdhsa_next_free_vgpr 29
		.amdhsa_next_free_sgpr 26
		.amdhsa_accum_offset 32
		.amdhsa_reserve_vcc 1
		.amdhsa_float_round_mode_32 0
		.amdhsa_float_round_mode_16_64 0
		.amdhsa_float_denorm_mode_32 3
		.amdhsa_float_denorm_mode_16_64 3
		.amdhsa_dx10_clamp 1
		.amdhsa_ieee_mode 1
		.amdhsa_fp16_overflow 0
		.amdhsa_tg_split 0
		.amdhsa_exception_fp_ieee_invalid_op 0
		.amdhsa_exception_fp_denorm_src 0
		.amdhsa_exception_fp_ieee_div_zero 0
		.amdhsa_exception_fp_ieee_overflow 0
		.amdhsa_exception_fp_ieee_underflow 0
		.amdhsa_exception_fp_ieee_inexact 0
		.amdhsa_exception_int_div_zero 0
	.end_amdhsa_kernel
	.section	.text._ZN9rocsparseL44csr2gebsr_wavefront_per_row_multipass_kernelILi256ELi2ELi2ELi4EfEEv20rocsparse_direction_iiiiii21rocsparse_index_base_PKT3_PKiS7_S2_PS3_PiS9_,"axG",@progbits,_ZN9rocsparseL44csr2gebsr_wavefront_per_row_multipass_kernelILi256ELi2ELi2ELi4EfEEv20rocsparse_direction_iiiiii21rocsparse_index_base_PKT3_PKiS7_S2_PS3_PiS9_,comdat
.Lfunc_end19:
	.size	_ZN9rocsparseL44csr2gebsr_wavefront_per_row_multipass_kernelILi256ELi2ELi2ELi4EfEEv20rocsparse_direction_iiiiii21rocsparse_index_base_PKT3_PKiS7_S2_PS3_PiS9_, .Lfunc_end19-_ZN9rocsparseL44csr2gebsr_wavefront_per_row_multipass_kernelILi256ELi2ELi2ELi4EfEEv20rocsparse_direction_iiiiii21rocsparse_index_base_PKT3_PKiS7_S2_PS3_PiS9_
                                        ; -- End function
	.section	.AMDGPU.csdata,"",@progbits
; Kernel info:
; codeLenInByte = 1112
; NumSgprs: 32
; NumVgprs: 29
; NumAgprs: 0
; TotalNumVgprs: 29
; ScratchSize: 0
; MemoryBound: 0
; FloatMode: 240
; IeeeMode: 1
; LDSByteSize: 1088 bytes/workgroup (compile time only)
; SGPRBlocks: 3
; VGPRBlocks: 3
; NumSGPRsForWavesPerEU: 32
; NumVGPRsForWavesPerEU: 29
; AccumOffset: 32
; Occupancy: 8
; WaveLimiterHint : 0
; COMPUTE_PGM_RSRC2:SCRATCH_EN: 0
; COMPUTE_PGM_RSRC2:USER_SGPR: 2
; COMPUTE_PGM_RSRC2:TRAP_HANDLER: 0
; COMPUTE_PGM_RSRC2:TGID_X_EN: 1
; COMPUTE_PGM_RSRC2:TGID_Y_EN: 0
; COMPUTE_PGM_RSRC2:TGID_Z_EN: 0
; COMPUTE_PGM_RSRC2:TIDIG_COMP_CNT: 0
; COMPUTE_PGM_RSRC3_GFX90A:ACCUM_OFFSET: 7
; COMPUTE_PGM_RSRC3_GFX90A:TG_SPLIT: 0
	.section	.text._ZN9rocsparseL44csr2gebsr_wavefront_per_row_multipass_kernelILi256ELi2ELi4ELi8EfEEv20rocsparse_direction_iiiiii21rocsparse_index_base_PKT3_PKiS7_S2_PS3_PiS9_,"axG",@progbits,_ZN9rocsparseL44csr2gebsr_wavefront_per_row_multipass_kernelILi256ELi2ELi4ELi8EfEEv20rocsparse_direction_iiiiii21rocsparse_index_base_PKT3_PKiS7_S2_PS3_PiS9_,comdat
	.globl	_ZN9rocsparseL44csr2gebsr_wavefront_per_row_multipass_kernelILi256ELi2ELi4ELi8EfEEv20rocsparse_direction_iiiiii21rocsparse_index_base_PKT3_PKiS7_S2_PS3_PiS9_ ; -- Begin function _ZN9rocsparseL44csr2gebsr_wavefront_per_row_multipass_kernelILi256ELi2ELi4ELi8EfEEv20rocsparse_direction_iiiiii21rocsparse_index_base_PKT3_PKiS7_S2_PS3_PiS9_
	.p2align	8
	.type	_ZN9rocsparseL44csr2gebsr_wavefront_per_row_multipass_kernelILi256ELi2ELi4ELi8EfEEv20rocsparse_direction_iiiiii21rocsparse_index_base_PKT3_PKiS7_S2_PS3_PiS9_,@function
_ZN9rocsparseL44csr2gebsr_wavefront_per_row_multipass_kernelILi256ELi2ELi4ELi8EfEEv20rocsparse_direction_iiiiii21rocsparse_index_base_PKT3_PKiS7_S2_PS3_PiS9_: ; @_ZN9rocsparseL44csr2gebsr_wavefront_per_row_multipass_kernelILi256ELi2ELi4ELi8EfEEv20rocsparse_direction_iiiiii21rocsparse_index_base_PKT3_PKiS7_S2_PS3_PiS9_
; %bb.0:
	s_load_dwordx2 s[14:15], s[0:1], 0x0
	s_load_dwordx4 s[4:7], s[0:1], 0xc
	s_load_dword s20, s[0:1], 0x1c
	s_load_dwordx2 s[8:9], s[0:1], 0x28
	v_lshrrev_b32_e32 v10, 3, v0
	v_bfe_u32 v8, v0, 2, 1
	v_lshl_or_b32 v4, s2, 5, v10
	s_waitcnt lgkmcnt(0)
	v_mad_u64_u32 v[2:3], s[2:3], v4, s6, v[8:9]
	v_cmp_gt_i32_e64 s[2:3], s15, v2
	v_cmp_gt_i32_e32 vcc, s6, v8
	s_and_b64 s[2:3], vcc, s[2:3]
	v_mov_b32_e32 v11, 0
	v_mov_b32_e32 v6, 0
	s_and_saveexec_b64 s[10:11], s[2:3]
	s_cbranch_execz .LBB20_2
; %bb.1:
	v_ashrrev_i32_e32 v3, 31, v2
	v_lshl_add_u64 v[6:7], v[2:3], 2, s[8:9]
	global_load_dword v1, v[6:7], off
	s_waitcnt vmcnt(0)
	v_subrev_u32_e32 v6, s20, v1
.LBB20_2:
	s_or_b64 exec, exec, s[10:11]
	s_and_saveexec_b64 s[10:11], s[2:3]
	s_cbranch_execz .LBB20_4
; %bb.3:
	v_ashrrev_i32_e32 v3, 31, v2
	v_lshl_add_u64 v[2:3], v[2:3], 2, s[8:9]
	global_load_dword v1, v[2:3], off offset:4
	s_waitcnt vmcnt(0)
	v_subrev_u32_e32 v11, s20, v1
.LBB20_4:
	s_or_b64 exec, exec, s[10:11]
	s_load_dword s21, s[0:1], 0x38
	v_cmp_gt_i32_e64 s[2:3], s4, v4
	v_mov_b32_e32 v2, 0
	s_and_saveexec_b64 s[8:9], s[2:3]
	s_cbranch_execz .LBB20_6
; %bb.5:
	s_load_dwordx2 s[2:3], s[0:1], 0x48
	v_ashrrev_i32_e32 v5, 31, v4
	s_waitcnt lgkmcnt(0)
	v_lshl_add_u64 v[2:3], v[4:5], 2, s[2:3]
	global_load_dword v1, v[2:3], off
	s_waitcnt vmcnt(0)
	v_subrev_u32_e32 v2, s21, v1
.LBB20_6:
	s_or_b64 exec, exec, s[8:9]
	s_cmp_lt_i32 s5, 1
	s_cbranch_scc1 .LBB20_21
; %bb.7:
	s_load_dwordx2 s[2:3], s[0:1], 0x20
	s_load_dwordx2 s[8:9], s[0:1], 0x50
	;; [unrolled: 1-line block ×4, first 2 shown]
	v_and_b32_e32 v4, 3, v0
	v_lshlrev_b32_e32 v16, 2, v8
	s_movk_i32 s0, 0xf8
	v_and_or_b32 v12, v0, s0, v16
	v_cmp_gt_u32_e64 s[0:1], s7, v4
	s_and_b64 s[12:13], vcc, s[0:1]
	s_cmp_eq_u32 s14, 0
	s_cselect_b64 vcc, -1, 0
	s_abs_i32 s4, s7
	v_cvt_f32_u32_e32 v7, s4
	v_mbcnt_lo_u32_b32 v0, -1, 0
	v_mbcnt_hi_u32_b32 v0, -1, v0
	v_lshlrev_b32_e32 v3, 2, v0
	v_or_b32_e32 v0, v12, v4
	v_mov_b32_e32 v5, 0
	v_rcp_iflag_f32_e32 v7, v7
	v_lshlrev_b32_e32 v15, 2, v0
	v_mul_lo_u32 v0, v4, s6
	v_mov_b32_e32 v1, v5
	v_mul_lo_u32 v8, v8, s7
	s_waitcnt lgkmcnt(0)
	v_lshl_add_u64 v[0:1], v[0:1], 2, s[16:17]
	v_mov_b32_e32 v17, v5
	v_ashrrev_i32_e32 v9, 31, v8
	v_lshl_add_u64 v[0:1], v[0:1], 0, v[16:17]
	v_lshl_add_u64 v[8:9], v[8:9], 2, s[16:17]
	v_lshlrev_b32_e32 v16, 2, v4
	v_or_b32_e32 v14, 12, v3
	v_lshl_add_u64 v[8:9], v[8:9], 0, v[16:17]
	v_or_b32_e32 v16, 28, v3
	v_mul_f32_e32 v3, 0x4f7ffffe, v7
	v_cvt_u32_f32_e32 v3, v3
	s_ashr_i32 s22, s7, 31
	s_mul_hi_u32 s0, s7, s6
	s_mul_i32 s1, s22, s6
	s_add_i32 s23, s0, s1
	s_sub_i32 s0, 0, s4
	v_mul_lo_u32 v7, s0, v3
	v_mul_hi_u32 v7, v3, v7
	v_mov_b32_e32 v13, 0
	s_mul_i32 s6, s7, s6
	v_cndmask_b32_e32 v1, v1, v9, vcc
	v_cndmask_b32_e32 v0, v0, v8, vcc
	v_add_u32_e32 v17, v3, v7
	s_mov_b64 s[14:15], 0
	v_mov_b32_e32 v18, 1
	v_mov_b32_e32 v3, 0
	s_branch .LBB20_10
.LBB20_8:                               ;   in Loop: Header=BB20_10 Depth=1
	s_or_b64 exec, exec, s[16:17]
	v_mov_b32_e32 v7, 1
.LBB20_9:                               ;   in Loop: Header=BB20_10 Depth=1
	s_or_b64 exec, exec, s[0:1]
	v_mov_b32_dpp v3, v19 row_shr:1 row_mask:0xf bank_mask:0xf
	v_min_i32_e32 v3, v3, v19
	v_add_u32_e32 v2, v7, v2
	s_waitcnt lgkmcnt(0)
	v_mov_b32_dpp v8, v3 row_shr:2 row_mask:0xf bank_mask:0xf
	v_min_i32_e32 v3, v8, v3
	s_nop 1
	v_mov_b32_dpp v8, v3 row_shr:4 row_mask:0xf bank_mask:0xe
	v_min_i32_e32 v3, v8, v3
	ds_bpermute_b32 v3, v16, v3
	s_waitcnt lgkmcnt(0)
	v_cmp_le_i32_e32 vcc, s5, v3
	s_or_b64 s[14:15], vcc, s[14:15]
	s_andn2_b64 exec, exec, s[14:15]
	s_cbranch_execz .LBB20_21
.LBB20_10:                              ; =>This Loop Header: Depth=1
                                        ;     Child Loop BB20_13 Depth 2
	v_add_u32_e32 v20, v6, v4
	v_cmp_lt_i32_e32 vcc, v20, v11
	v_mov_b32_e32 v19, s5
	v_mov_b32_e32 v22, v11
	ds_write_b8 v10, v13 offset:1024
	ds_write_b32 v15, v5
	s_waitcnt lgkmcnt(0)
	s_and_saveexec_b64 s[16:17], vcc
	s_cbranch_execz .LBB20_18
; %bb.11:                               ;   in Loop: Header=BB20_10 Depth=1
	v_ashrrev_i32_e32 v7, 31, v6
	v_lshl_add_u64 v[6:7], v[4:5], 0, v[6:7]
	v_lshlrev_b64 v[8:9], 2, v[6:7]
	v_mul_lo_u32 v21, v3, s7
	v_lshl_add_u64 v[6:7], s[10:11], 0, v[8:9]
	v_lshl_add_u64 v[8:9], s[2:3], 0, v[8:9]
	s_mov_b64 s[18:19], 0
	v_mov_b32_e32 v19, s5
	v_mov_b32_e32 v22, v11
	s_branch .LBB20_13
.LBB20_12:                              ;   in Loop: Header=BB20_13 Depth=2
	s_or_b64 exec, exec, s[0:1]
	v_add_u32_e32 v20, 4, v20
	v_cmp_ge_i32_e64 s[0:1], v20, v11
	s_xor_b64 s[24:25], vcc, -1
	s_or_b64 s[0:1], s[24:25], s[0:1]
	s_and_b64 s[0:1], exec, s[0:1]
	v_lshl_add_u64 v[6:7], v[6:7], 0, 16
	s_or_b64 s[18:19], s[0:1], s[18:19]
	v_lshl_add_u64 v[8:9], v[8:9], 0, 16
	s_andn2_b64 exec, exec, s[18:19]
	s_cbranch_execz .LBB20_17
.LBB20_13:                              ;   Parent Loop BB20_10 Depth=1
                                        ; =>  This Inner Loop Header: Depth=2
	global_load_dword v23, v[6:7], off
	s_waitcnt vmcnt(0)
	v_subrev_u32_e32 v23, s20, v23
	v_sub_u32_e32 v25, 0, v23
	v_max_i32_e32 v25, v23, v25
	v_mul_hi_u32 v26, v25, v17
	v_mul_lo_u32 v27, v26, s4
	v_sub_u32_e32 v25, v25, v27
	v_add_u32_e32 v28, 1, v26
	v_cmp_le_u32_e32 vcc, s4, v25
	v_subrev_u32_e32 v27, s4, v25
	v_ashrrev_i32_e32 v24, 31, v23
	v_cndmask_b32_e32 v26, v26, v28, vcc
	v_cndmask_b32_e32 v25, v25, v27, vcc
	v_add_u32_e32 v27, 1, v26
	v_cmp_le_u32_e32 vcc, s4, v25
	v_xor_b32_e32 v24, s22, v24
	s_nop 0
	v_cndmask_b32_e32 v25, v26, v27, vcc
	v_xor_b32_e32 v25, v25, v24
	v_sub_u32_e32 v25, v25, v24
	v_cmp_eq_u32_e32 vcc, v25, v3
	v_cmp_ne_u32_e64 s[0:1], v25, v3
	v_mov_b32_e32 v24, v22
	s_and_saveexec_b64 s[24:25], s[0:1]
	s_xor_b64 s[0:1], exec, s[24:25]
; %bb.14:                               ;   in Loop: Header=BB20_13 Depth=2
	v_min_i32_e32 v19, v25, v19
                                        ; implicit-def: $vgpr23
                                        ; implicit-def: $vgpr24
; %bb.15:                               ;   in Loop: Header=BB20_13 Depth=2
	s_or_saveexec_b64 s[0:1], s[0:1]
	v_mov_b32_e32 v22, v20
	s_xor_b64 exec, exec, s[0:1]
	s_cbranch_execz .LBB20_12
; %bb.16:                               ;   in Loop: Header=BB20_13 Depth=2
	global_load_dword v22, v[8:9], off
	v_sub_u32_e32 v23, v23, v21
	v_add_lshl_u32 v23, v12, v23, 2
	ds_write_b8 v10, v18 offset:1024
	s_waitcnt vmcnt(0)
	ds_write_b32 v23, v22
	v_mov_b32_e32 v22, v24
	s_branch .LBB20_12
.LBB20_17:                              ;   in Loop: Header=BB20_10 Depth=1
	s_or_b64 exec, exec, s[18:19]
.LBB20_18:                              ;   in Loop: Header=BB20_10 Depth=1
	s_or_b64 exec, exec, s[16:17]
	v_mov_b32_dpp v6, v22 row_shr:1 row_mask:0xf bank_mask:0xf
	v_min_i32_e32 v6, v6, v22
	s_waitcnt lgkmcnt(0)
	ds_read_u8 v7, v10 offset:1024
	v_mov_b32_dpp v8, v6 row_shr:2 row_mask:0xf bank_mask:0xf
	v_min_i32_e32 v6, v8, v6
	ds_bpermute_b32 v6, v14, v6
	s_waitcnt lgkmcnt(1)
	v_and_b32_e32 v7, 1, v7
	v_cmp_eq_u32_e32 vcc, 1, v7
	v_mov_b32_e32 v7, 0
	s_and_saveexec_b64 s[0:1], vcc
	s_cbranch_execz .LBB20_9
; %bb.19:                               ;   in Loop: Header=BB20_10 Depth=1
	v_add_u32_e32 v7, s21, v3
	v_ashrrev_i32_e32 v3, 31, v2
	v_lshl_add_u64 v[8:9], v[2:3], 2, s[8:9]
	global_store_dword v[8:9], v7, off
	s_and_saveexec_b64 s[16:17], s[12:13]
	s_cbranch_execz .LBB20_8
; %bb.20:                               ;   in Loop: Header=BB20_10 Depth=1
	ds_read_b32 v7, v15
	v_mul_lo_u32 v20, s23, v2
	v_mul_lo_u32 v3, s6, v3
	v_mad_u64_u32 v[8:9], s[18:19], s6, v2, 0
	v_add3_u32 v9, v9, v3, v20
	v_lshl_add_u64 v[8:9], v[8:9], 2, v[0:1]
	s_waitcnt lgkmcnt(0)
	global_store_dword v[8:9], v7, off
	s_branch .LBB20_8
.LBB20_21:
	s_endpgm
	.section	.rodata,"a",@progbits
	.p2align	6, 0x0
	.amdhsa_kernel _ZN9rocsparseL44csr2gebsr_wavefront_per_row_multipass_kernelILi256ELi2ELi4ELi8EfEEv20rocsparse_direction_iiiiii21rocsparse_index_base_PKT3_PKiS7_S2_PS3_PiS9_
		.amdhsa_group_segment_fixed_size 1056
		.amdhsa_private_segment_fixed_size 0
		.amdhsa_kernarg_size 88
		.amdhsa_user_sgpr_count 2
		.amdhsa_user_sgpr_dispatch_ptr 0
		.amdhsa_user_sgpr_queue_ptr 0
		.amdhsa_user_sgpr_kernarg_segment_ptr 1
		.amdhsa_user_sgpr_dispatch_id 0
		.amdhsa_user_sgpr_kernarg_preload_length 0
		.amdhsa_user_sgpr_kernarg_preload_offset 0
		.amdhsa_user_sgpr_private_segment_size 0
		.amdhsa_uses_dynamic_stack 0
		.amdhsa_enable_private_segment 0
		.amdhsa_system_sgpr_workgroup_id_x 1
		.amdhsa_system_sgpr_workgroup_id_y 0
		.amdhsa_system_sgpr_workgroup_id_z 0
		.amdhsa_system_sgpr_workgroup_info 0
		.amdhsa_system_vgpr_workitem_id 0
		.amdhsa_next_free_vgpr 29
		.amdhsa_next_free_sgpr 26
		.amdhsa_accum_offset 32
		.amdhsa_reserve_vcc 1
		.amdhsa_float_round_mode_32 0
		.amdhsa_float_round_mode_16_64 0
		.amdhsa_float_denorm_mode_32 3
		.amdhsa_float_denorm_mode_16_64 3
		.amdhsa_dx10_clamp 1
		.amdhsa_ieee_mode 1
		.amdhsa_fp16_overflow 0
		.amdhsa_tg_split 0
		.amdhsa_exception_fp_ieee_invalid_op 0
		.amdhsa_exception_fp_denorm_src 0
		.amdhsa_exception_fp_ieee_div_zero 0
		.amdhsa_exception_fp_ieee_overflow 0
		.amdhsa_exception_fp_ieee_underflow 0
		.amdhsa_exception_fp_ieee_inexact 0
		.amdhsa_exception_int_div_zero 0
	.end_amdhsa_kernel
	.section	.text._ZN9rocsparseL44csr2gebsr_wavefront_per_row_multipass_kernelILi256ELi2ELi4ELi8EfEEv20rocsparse_direction_iiiiii21rocsparse_index_base_PKT3_PKiS7_S2_PS3_PiS9_,"axG",@progbits,_ZN9rocsparseL44csr2gebsr_wavefront_per_row_multipass_kernelILi256ELi2ELi4ELi8EfEEv20rocsparse_direction_iiiiii21rocsparse_index_base_PKT3_PKiS7_S2_PS3_PiS9_,comdat
.Lfunc_end20:
	.size	_ZN9rocsparseL44csr2gebsr_wavefront_per_row_multipass_kernelILi256ELi2ELi4ELi8EfEEv20rocsparse_direction_iiiiii21rocsparse_index_base_PKT3_PKiS7_S2_PS3_PiS9_, .Lfunc_end20-_ZN9rocsparseL44csr2gebsr_wavefront_per_row_multipass_kernelILi256ELi2ELi4ELi8EfEEv20rocsparse_direction_iiiiii21rocsparse_index_base_PKT3_PKiS7_S2_PS3_PiS9_
                                        ; -- End function
	.section	.AMDGPU.csdata,"",@progbits
; Kernel info:
; codeLenInByte = 1136
; NumSgprs: 32
; NumVgprs: 29
; NumAgprs: 0
; TotalNumVgprs: 29
; ScratchSize: 0
; MemoryBound: 0
; FloatMode: 240
; IeeeMode: 1
; LDSByteSize: 1056 bytes/workgroup (compile time only)
; SGPRBlocks: 3
; VGPRBlocks: 3
; NumSGPRsForWavesPerEU: 32
; NumVGPRsForWavesPerEU: 29
; AccumOffset: 32
; Occupancy: 8
; WaveLimiterHint : 0
; COMPUTE_PGM_RSRC2:SCRATCH_EN: 0
; COMPUTE_PGM_RSRC2:USER_SGPR: 2
; COMPUTE_PGM_RSRC2:TRAP_HANDLER: 0
; COMPUTE_PGM_RSRC2:TGID_X_EN: 1
; COMPUTE_PGM_RSRC2:TGID_Y_EN: 0
; COMPUTE_PGM_RSRC2:TGID_Z_EN: 0
; COMPUTE_PGM_RSRC2:TIDIG_COMP_CNT: 0
; COMPUTE_PGM_RSRC3_GFX90A:ACCUM_OFFSET: 7
; COMPUTE_PGM_RSRC3_GFX90A:TG_SPLIT: 0
	.section	.text._ZN9rocsparseL44csr2gebsr_wavefront_per_row_multipass_kernelILi256ELi2ELi8ELi16EfEEv20rocsparse_direction_iiiiii21rocsparse_index_base_PKT3_PKiS7_S2_PS3_PiS9_,"axG",@progbits,_ZN9rocsparseL44csr2gebsr_wavefront_per_row_multipass_kernelILi256ELi2ELi8ELi16EfEEv20rocsparse_direction_iiiiii21rocsparse_index_base_PKT3_PKiS7_S2_PS3_PiS9_,comdat
	.globl	_ZN9rocsparseL44csr2gebsr_wavefront_per_row_multipass_kernelILi256ELi2ELi8ELi16EfEEv20rocsparse_direction_iiiiii21rocsparse_index_base_PKT3_PKiS7_S2_PS3_PiS9_ ; -- Begin function _ZN9rocsparseL44csr2gebsr_wavefront_per_row_multipass_kernelILi256ELi2ELi8ELi16EfEEv20rocsparse_direction_iiiiii21rocsparse_index_base_PKT3_PKiS7_S2_PS3_PiS9_
	.p2align	8
	.type	_ZN9rocsparseL44csr2gebsr_wavefront_per_row_multipass_kernelILi256ELi2ELi8ELi16EfEEv20rocsparse_direction_iiiiii21rocsparse_index_base_PKT3_PKiS7_S2_PS3_PiS9_,@function
_ZN9rocsparseL44csr2gebsr_wavefront_per_row_multipass_kernelILi256ELi2ELi8ELi16EfEEv20rocsparse_direction_iiiiii21rocsparse_index_base_PKT3_PKiS7_S2_PS3_PiS9_: ; @_ZN9rocsparseL44csr2gebsr_wavefront_per_row_multipass_kernelILi256ELi2ELi8ELi16EfEEv20rocsparse_direction_iiiiii21rocsparse_index_base_PKT3_PKiS7_S2_PS3_PiS9_
; %bb.0:
	s_load_dwordx2 s[14:15], s[0:1], 0x0
	s_load_dwordx4 s[4:7], s[0:1], 0xc
	s_load_dword s20, s[0:1], 0x1c
	s_load_dwordx2 s[8:9], s[0:1], 0x28
	v_lshrrev_b32_e32 v10, 4, v0
	v_bfe_u32 v8, v0, 3, 1
	v_lshl_or_b32 v4, s2, 4, v10
	s_waitcnt lgkmcnt(0)
	v_mad_u64_u32 v[2:3], s[2:3], v4, s6, v[8:9]
	v_cmp_gt_i32_e64 s[2:3], s15, v2
	v_cmp_gt_i32_e32 vcc, s6, v8
	s_and_b64 s[2:3], vcc, s[2:3]
	v_mov_b32_e32 v11, 0
	v_mov_b32_e32 v6, 0
	s_and_saveexec_b64 s[10:11], s[2:3]
	s_cbranch_execz .LBB21_2
; %bb.1:
	v_ashrrev_i32_e32 v3, 31, v2
	v_lshl_add_u64 v[6:7], v[2:3], 2, s[8:9]
	global_load_dword v1, v[6:7], off
	s_waitcnt vmcnt(0)
	v_subrev_u32_e32 v6, s20, v1
.LBB21_2:
	s_or_b64 exec, exec, s[10:11]
	s_and_saveexec_b64 s[10:11], s[2:3]
	s_cbranch_execz .LBB21_4
; %bb.3:
	v_ashrrev_i32_e32 v3, 31, v2
	v_lshl_add_u64 v[2:3], v[2:3], 2, s[8:9]
	global_load_dword v1, v[2:3], off offset:4
	s_waitcnt vmcnt(0)
	v_subrev_u32_e32 v11, s20, v1
.LBB21_4:
	s_or_b64 exec, exec, s[10:11]
	s_load_dword s21, s[0:1], 0x38
	v_cmp_gt_i32_e64 s[2:3], s4, v4
	v_mov_b32_e32 v2, 0
	s_and_saveexec_b64 s[8:9], s[2:3]
	s_cbranch_execz .LBB21_6
; %bb.5:
	s_load_dwordx2 s[2:3], s[0:1], 0x48
	v_ashrrev_i32_e32 v5, 31, v4
	s_waitcnt lgkmcnt(0)
	v_lshl_add_u64 v[2:3], v[4:5], 2, s[2:3]
	global_load_dword v1, v[2:3], off
	s_waitcnt vmcnt(0)
	v_subrev_u32_e32 v2, s21, v1
.LBB21_6:
	s_or_b64 exec, exec, s[8:9]
	s_cmp_lt_i32 s5, 1
	s_cbranch_scc1 .LBB21_21
; %bb.7:
	v_and_b32_e32 v4, 7, v0
	s_load_dwordx2 s[2:3], s[0:1], 0x20
	s_load_dwordx2 s[8:9], s[0:1], 0x50
	;; [unrolled: 1-line block ×4, first 2 shown]
	v_cmp_gt_u32_e64 s[0:1], s7, v4
	s_and_b64 s[12:13], vcc, s[0:1]
	s_cmp_eq_u32 s14, 0
	s_cselect_b64 vcc, -1, 0
	s_abs_i32 s4, s7
	v_cvt_f32_u32_e32 v7, s4
	v_and_b32_e32 v0, 0xf0, v0
	v_lshl_or_b32 v12, v8, 3, v0
	v_mbcnt_lo_u32_b32 v0, -1, 0
	v_mbcnt_hi_u32_b32 v0, -1, v0
	v_lshlrev_b32_e32 v3, 2, v0
	v_or_b32_e32 v0, v12, v4
	v_mov_b32_e32 v5, 0
	v_rcp_iflag_f32_e32 v7, v7
	v_lshlrev_b32_e32 v15, 2, v0
	v_mul_lo_u32 v0, v4, s6
	v_mov_b32_e32 v1, v5
	v_lshlrev_b32_e32 v16, 2, v8
	v_mul_lo_u32 v8, v8, s7
	s_waitcnt lgkmcnt(0)
	v_lshl_add_u64 v[0:1], v[0:1], 2, s[16:17]
	v_mov_b32_e32 v17, v5
	v_ashrrev_i32_e32 v9, 31, v8
	v_lshl_add_u64 v[0:1], v[0:1], 0, v[16:17]
	v_lshl_add_u64 v[8:9], v[8:9], 2, s[16:17]
	v_lshlrev_b32_e32 v16, 2, v4
	v_or_b32_e32 v14, 28, v3
	v_lshl_add_u64 v[8:9], v[8:9], 0, v[16:17]
	v_or_b32_e32 v16, 60, v3
	v_mul_f32_e32 v3, 0x4f7ffffe, v7
	v_cvt_u32_f32_e32 v3, v3
	s_ashr_i32 s22, s7, 31
	s_mul_hi_u32 s0, s7, s6
	s_mul_i32 s1, s22, s6
	s_add_i32 s23, s0, s1
	s_sub_i32 s0, 0, s4
	v_mul_lo_u32 v7, s0, v3
	v_mul_hi_u32 v7, v3, v7
	v_mov_b32_e32 v13, 0
	s_mul_i32 s6, s7, s6
	v_cndmask_b32_e32 v1, v1, v9, vcc
	v_cndmask_b32_e32 v0, v0, v8, vcc
	v_add_u32_e32 v17, v3, v7
	s_mov_b64 s[14:15], 0
	v_mov_b32_e32 v18, 1
	v_mov_b32_e32 v3, 0
	s_branch .LBB21_10
.LBB21_8:                               ;   in Loop: Header=BB21_10 Depth=1
	s_or_b64 exec, exec, s[16:17]
	v_mov_b32_e32 v7, 1
.LBB21_9:                               ;   in Loop: Header=BB21_10 Depth=1
	s_or_b64 exec, exec, s[0:1]
	v_mov_b32_dpp v3, v19 row_shr:1 row_mask:0xf bank_mask:0xf
	v_min_i32_e32 v3, v3, v19
	v_add_u32_e32 v2, v7, v2
	s_waitcnt lgkmcnt(0)
	v_mov_b32_dpp v8, v3 row_shr:2 row_mask:0xf bank_mask:0xf
	v_min_i32_e32 v3, v8, v3
	s_nop 1
	v_mov_b32_dpp v8, v3 row_shr:4 row_mask:0xf bank_mask:0xe
	v_min_i32_e32 v3, v8, v3
	s_nop 1
	v_mov_b32_dpp v8, v3 row_shr:8 row_mask:0xf bank_mask:0xc
	v_min_i32_e32 v3, v8, v3
	ds_bpermute_b32 v3, v16, v3
	s_waitcnt lgkmcnt(0)
	v_cmp_le_i32_e32 vcc, s5, v3
	s_or_b64 s[14:15], vcc, s[14:15]
	s_andn2_b64 exec, exec, s[14:15]
	s_cbranch_execz .LBB21_21
.LBB21_10:                              ; =>This Loop Header: Depth=1
                                        ;     Child Loop BB21_13 Depth 2
	v_add_u32_e32 v20, v6, v4
	v_cmp_lt_i32_e32 vcc, v20, v11
	v_mov_b32_e32 v19, s5
	v_mov_b32_e32 v22, v11
	ds_write_b8 v10, v13 offset:1024
	ds_write_b32 v15, v5
	s_waitcnt lgkmcnt(0)
	s_and_saveexec_b64 s[16:17], vcc
	s_cbranch_execz .LBB21_18
; %bb.11:                               ;   in Loop: Header=BB21_10 Depth=1
	v_ashrrev_i32_e32 v7, 31, v6
	v_lshl_add_u64 v[6:7], v[4:5], 0, v[6:7]
	v_lshlrev_b64 v[8:9], 2, v[6:7]
	v_mul_lo_u32 v21, v3, s7
	v_lshl_add_u64 v[6:7], s[10:11], 0, v[8:9]
	v_lshl_add_u64 v[8:9], s[2:3], 0, v[8:9]
	s_mov_b64 s[18:19], 0
	v_mov_b32_e32 v19, s5
	v_mov_b32_e32 v22, v11
	s_branch .LBB21_13
.LBB21_12:                              ;   in Loop: Header=BB21_13 Depth=2
	s_or_b64 exec, exec, s[0:1]
	v_add_u32_e32 v20, 8, v20
	v_cmp_ge_i32_e64 s[0:1], v20, v11
	s_xor_b64 s[24:25], vcc, -1
	s_or_b64 s[0:1], s[24:25], s[0:1]
	s_and_b64 s[0:1], exec, s[0:1]
	v_lshl_add_u64 v[6:7], v[6:7], 0, 32
	s_or_b64 s[18:19], s[0:1], s[18:19]
	v_lshl_add_u64 v[8:9], v[8:9], 0, 32
	s_andn2_b64 exec, exec, s[18:19]
	s_cbranch_execz .LBB21_17
.LBB21_13:                              ;   Parent Loop BB21_10 Depth=1
                                        ; =>  This Inner Loop Header: Depth=2
	global_load_dword v23, v[6:7], off
	s_waitcnt vmcnt(0)
	v_subrev_u32_e32 v23, s20, v23
	v_sub_u32_e32 v25, 0, v23
	v_max_i32_e32 v25, v23, v25
	v_mul_hi_u32 v26, v25, v17
	v_mul_lo_u32 v27, v26, s4
	v_sub_u32_e32 v25, v25, v27
	v_add_u32_e32 v28, 1, v26
	v_cmp_le_u32_e32 vcc, s4, v25
	v_subrev_u32_e32 v27, s4, v25
	v_ashrrev_i32_e32 v24, 31, v23
	v_cndmask_b32_e32 v26, v26, v28, vcc
	v_cndmask_b32_e32 v25, v25, v27, vcc
	v_add_u32_e32 v27, 1, v26
	v_cmp_le_u32_e32 vcc, s4, v25
	v_xor_b32_e32 v24, s22, v24
	s_nop 0
	v_cndmask_b32_e32 v25, v26, v27, vcc
	v_xor_b32_e32 v25, v25, v24
	v_sub_u32_e32 v25, v25, v24
	v_cmp_eq_u32_e32 vcc, v25, v3
	v_cmp_ne_u32_e64 s[0:1], v25, v3
	v_mov_b32_e32 v24, v22
	s_and_saveexec_b64 s[24:25], s[0:1]
	s_xor_b64 s[0:1], exec, s[24:25]
; %bb.14:                               ;   in Loop: Header=BB21_13 Depth=2
	v_min_i32_e32 v19, v25, v19
                                        ; implicit-def: $vgpr23
                                        ; implicit-def: $vgpr24
; %bb.15:                               ;   in Loop: Header=BB21_13 Depth=2
	s_or_saveexec_b64 s[0:1], s[0:1]
	v_mov_b32_e32 v22, v20
	s_xor_b64 exec, exec, s[0:1]
	s_cbranch_execz .LBB21_12
; %bb.16:                               ;   in Loop: Header=BB21_13 Depth=2
	global_load_dword v22, v[8:9], off
	v_sub_u32_e32 v23, v23, v21
	v_add_lshl_u32 v23, v12, v23, 2
	ds_write_b8 v10, v18 offset:1024
	s_waitcnt vmcnt(0)
	ds_write_b32 v23, v22
	v_mov_b32_e32 v22, v24
	s_branch .LBB21_12
.LBB21_17:                              ;   in Loop: Header=BB21_10 Depth=1
	s_or_b64 exec, exec, s[18:19]
.LBB21_18:                              ;   in Loop: Header=BB21_10 Depth=1
	s_or_b64 exec, exec, s[16:17]
	v_mov_b32_dpp v6, v22 row_shr:1 row_mask:0xf bank_mask:0xf
	v_min_i32_e32 v6, v6, v22
	s_waitcnt lgkmcnt(0)
	s_nop 0
	v_mov_b32_dpp v7, v6 row_shr:2 row_mask:0xf bank_mask:0xf
	v_min_i32_e32 v6, v7, v6
	ds_read_u8 v7, v10 offset:1024
	s_waitcnt lgkmcnt(0)
	v_and_b32_e32 v7, 1, v7
	v_mov_b32_dpp v8, v6 row_shr:4 row_mask:0xf bank_mask:0xe
	v_min_i32_e32 v6, v8, v6
	ds_bpermute_b32 v6, v14, v6
	v_cmp_eq_u32_e32 vcc, 1, v7
	v_mov_b32_e32 v7, 0
	s_and_saveexec_b64 s[0:1], vcc
	s_cbranch_execz .LBB21_9
; %bb.19:                               ;   in Loop: Header=BB21_10 Depth=1
	v_add_u32_e32 v7, s21, v3
	v_ashrrev_i32_e32 v3, 31, v2
	v_lshl_add_u64 v[8:9], v[2:3], 2, s[8:9]
	global_store_dword v[8:9], v7, off
	s_and_saveexec_b64 s[16:17], s[12:13]
	s_cbranch_execz .LBB21_8
; %bb.20:                               ;   in Loop: Header=BB21_10 Depth=1
	ds_read_b32 v7, v15
	v_mul_lo_u32 v20, s23, v2
	v_mul_lo_u32 v3, s6, v3
	v_mad_u64_u32 v[8:9], s[18:19], s6, v2, 0
	v_add3_u32 v9, v9, v3, v20
	v_lshl_add_u64 v[8:9], v[8:9], 2, v[0:1]
	s_waitcnt lgkmcnt(0)
	global_store_dword v[8:9], v7, off
	s_branch .LBB21_8
.LBB21_21:
	s_endpgm
	.section	.rodata,"a",@progbits
	.p2align	6, 0x0
	.amdhsa_kernel _ZN9rocsparseL44csr2gebsr_wavefront_per_row_multipass_kernelILi256ELi2ELi8ELi16EfEEv20rocsparse_direction_iiiiii21rocsparse_index_base_PKT3_PKiS7_S2_PS3_PiS9_
		.amdhsa_group_segment_fixed_size 1040
		.amdhsa_private_segment_fixed_size 0
		.amdhsa_kernarg_size 88
		.amdhsa_user_sgpr_count 2
		.amdhsa_user_sgpr_dispatch_ptr 0
		.amdhsa_user_sgpr_queue_ptr 0
		.amdhsa_user_sgpr_kernarg_segment_ptr 1
		.amdhsa_user_sgpr_dispatch_id 0
		.amdhsa_user_sgpr_kernarg_preload_length 0
		.amdhsa_user_sgpr_kernarg_preload_offset 0
		.amdhsa_user_sgpr_private_segment_size 0
		.amdhsa_uses_dynamic_stack 0
		.amdhsa_enable_private_segment 0
		.amdhsa_system_sgpr_workgroup_id_x 1
		.amdhsa_system_sgpr_workgroup_id_y 0
		.amdhsa_system_sgpr_workgroup_id_z 0
		.amdhsa_system_sgpr_workgroup_info 0
		.amdhsa_system_vgpr_workitem_id 0
		.amdhsa_next_free_vgpr 29
		.amdhsa_next_free_sgpr 26
		.amdhsa_accum_offset 32
		.amdhsa_reserve_vcc 1
		.amdhsa_float_round_mode_32 0
		.amdhsa_float_round_mode_16_64 0
		.amdhsa_float_denorm_mode_32 3
		.amdhsa_float_denorm_mode_16_64 3
		.amdhsa_dx10_clamp 1
		.amdhsa_ieee_mode 1
		.amdhsa_fp16_overflow 0
		.amdhsa_tg_split 0
		.amdhsa_exception_fp_ieee_invalid_op 0
		.amdhsa_exception_fp_denorm_src 0
		.amdhsa_exception_fp_ieee_div_zero 0
		.amdhsa_exception_fp_ieee_overflow 0
		.amdhsa_exception_fp_ieee_underflow 0
		.amdhsa_exception_fp_ieee_inexact 0
		.amdhsa_exception_int_div_zero 0
	.end_amdhsa_kernel
	.section	.text._ZN9rocsparseL44csr2gebsr_wavefront_per_row_multipass_kernelILi256ELi2ELi8ELi16EfEEv20rocsparse_direction_iiiiii21rocsparse_index_base_PKT3_PKiS7_S2_PS3_PiS9_,"axG",@progbits,_ZN9rocsparseL44csr2gebsr_wavefront_per_row_multipass_kernelILi256ELi2ELi8ELi16EfEEv20rocsparse_direction_iiiiii21rocsparse_index_base_PKT3_PKiS7_S2_PS3_PiS9_,comdat
.Lfunc_end21:
	.size	_ZN9rocsparseL44csr2gebsr_wavefront_per_row_multipass_kernelILi256ELi2ELi8ELi16EfEEv20rocsparse_direction_iiiiii21rocsparse_index_base_PKT3_PKiS7_S2_PS3_PiS9_, .Lfunc_end21-_ZN9rocsparseL44csr2gebsr_wavefront_per_row_multipass_kernelILi256ELi2ELi8ELi16EfEEv20rocsparse_direction_iiiiii21rocsparse_index_base_PKT3_PKiS7_S2_PS3_PiS9_
                                        ; -- End function
	.section	.AMDGPU.csdata,"",@progbits
; Kernel info:
; codeLenInByte = 1172
; NumSgprs: 32
; NumVgprs: 29
; NumAgprs: 0
; TotalNumVgprs: 29
; ScratchSize: 0
; MemoryBound: 0
; FloatMode: 240
; IeeeMode: 1
; LDSByteSize: 1040 bytes/workgroup (compile time only)
; SGPRBlocks: 3
; VGPRBlocks: 3
; NumSGPRsForWavesPerEU: 32
; NumVGPRsForWavesPerEU: 29
; AccumOffset: 32
; Occupancy: 8
; WaveLimiterHint : 0
; COMPUTE_PGM_RSRC2:SCRATCH_EN: 0
; COMPUTE_PGM_RSRC2:USER_SGPR: 2
; COMPUTE_PGM_RSRC2:TRAP_HANDLER: 0
; COMPUTE_PGM_RSRC2:TGID_X_EN: 1
; COMPUTE_PGM_RSRC2:TGID_Y_EN: 0
; COMPUTE_PGM_RSRC2:TGID_Z_EN: 0
; COMPUTE_PGM_RSRC2:TIDIG_COMP_CNT: 0
; COMPUTE_PGM_RSRC3_GFX90A:ACCUM_OFFSET: 7
; COMPUTE_PGM_RSRC3_GFX90A:TG_SPLIT: 0
	.section	.text._ZN9rocsparseL44csr2gebsr_wavefront_per_row_multipass_kernelILi256ELi2ELi16ELi32EfEEv20rocsparse_direction_iiiiii21rocsparse_index_base_PKT3_PKiS7_S2_PS3_PiS9_,"axG",@progbits,_ZN9rocsparseL44csr2gebsr_wavefront_per_row_multipass_kernelILi256ELi2ELi16ELi32EfEEv20rocsparse_direction_iiiiii21rocsparse_index_base_PKT3_PKiS7_S2_PS3_PiS9_,comdat
	.globl	_ZN9rocsparseL44csr2gebsr_wavefront_per_row_multipass_kernelILi256ELi2ELi16ELi32EfEEv20rocsparse_direction_iiiiii21rocsparse_index_base_PKT3_PKiS7_S2_PS3_PiS9_ ; -- Begin function _ZN9rocsparseL44csr2gebsr_wavefront_per_row_multipass_kernelILi256ELi2ELi16ELi32EfEEv20rocsparse_direction_iiiiii21rocsparse_index_base_PKT3_PKiS7_S2_PS3_PiS9_
	.p2align	8
	.type	_ZN9rocsparseL44csr2gebsr_wavefront_per_row_multipass_kernelILi256ELi2ELi16ELi32EfEEv20rocsparse_direction_iiiiii21rocsparse_index_base_PKT3_PKiS7_S2_PS3_PiS9_,@function
_ZN9rocsparseL44csr2gebsr_wavefront_per_row_multipass_kernelILi256ELi2ELi16ELi32EfEEv20rocsparse_direction_iiiiii21rocsparse_index_base_PKT3_PKiS7_S2_PS3_PiS9_: ; @_ZN9rocsparseL44csr2gebsr_wavefront_per_row_multipass_kernelILi256ELi2ELi16ELi32EfEEv20rocsparse_direction_iiiiii21rocsparse_index_base_PKT3_PKiS7_S2_PS3_PiS9_
; %bb.0:
	s_load_dwordx2 s[14:15], s[0:1], 0x0
	s_load_dwordx4 s[4:7], s[0:1], 0xc
	s_load_dword s20, s[0:1], 0x1c
	s_load_dwordx2 s[8:9], s[0:1], 0x28
	v_lshrrev_b32_e32 v10, 5, v0
	v_bfe_u32 v8, v0, 4, 1
	v_lshl_or_b32 v4, s2, 3, v10
	s_waitcnt lgkmcnt(0)
	v_mad_u64_u32 v[2:3], s[2:3], v4, s6, v[8:9]
	v_cmp_gt_i32_e64 s[2:3], s15, v2
	v_cmp_gt_i32_e32 vcc, s6, v8
	s_and_b64 s[2:3], vcc, s[2:3]
	v_mov_b32_e32 v11, 0
	v_mov_b32_e32 v6, 0
	s_and_saveexec_b64 s[10:11], s[2:3]
	s_cbranch_execz .LBB22_2
; %bb.1:
	v_ashrrev_i32_e32 v3, 31, v2
	v_lshl_add_u64 v[6:7], v[2:3], 2, s[8:9]
	global_load_dword v1, v[6:7], off
	s_waitcnt vmcnt(0)
	v_subrev_u32_e32 v6, s20, v1
.LBB22_2:
	s_or_b64 exec, exec, s[10:11]
	s_and_saveexec_b64 s[10:11], s[2:3]
	s_cbranch_execz .LBB22_4
; %bb.3:
	v_ashrrev_i32_e32 v3, 31, v2
	v_lshl_add_u64 v[2:3], v[2:3], 2, s[8:9]
	global_load_dword v1, v[2:3], off offset:4
	s_waitcnt vmcnt(0)
	v_subrev_u32_e32 v11, s20, v1
.LBB22_4:
	s_or_b64 exec, exec, s[10:11]
	s_load_dword s21, s[0:1], 0x38
	v_cmp_gt_i32_e64 s[2:3], s4, v4
	v_mov_b32_e32 v2, 0
	s_and_saveexec_b64 s[8:9], s[2:3]
	s_cbranch_execz .LBB22_6
; %bb.5:
	s_load_dwordx2 s[2:3], s[0:1], 0x48
	v_ashrrev_i32_e32 v5, 31, v4
	s_waitcnt lgkmcnt(0)
	v_lshl_add_u64 v[2:3], v[4:5], 2, s[2:3]
	global_load_dword v1, v[2:3], off
	s_waitcnt vmcnt(0)
	v_subrev_u32_e32 v2, s21, v1
.LBB22_6:
	s_or_b64 exec, exec, s[8:9]
	s_cmp_lt_i32 s5, 1
	s_cbranch_scc1 .LBB22_21
; %bb.7:
	v_and_b32_e32 v4, 15, v0
	s_load_dwordx2 s[2:3], s[0:1], 0x20
	s_load_dwordx2 s[8:9], s[0:1], 0x50
	;; [unrolled: 1-line block ×4, first 2 shown]
	v_cmp_gt_u32_e64 s[0:1], s7, v4
	s_and_b64 s[12:13], vcc, s[0:1]
	s_cmp_eq_u32 s14, 0
	s_cselect_b64 vcc, -1, 0
	s_abs_i32 s4, s7
	v_cvt_f32_u32_e32 v7, s4
	v_and_b32_e32 v0, 0xe0, v0
	v_lshl_or_b32 v12, v8, 4, v0
	v_mbcnt_lo_u32_b32 v0, -1, 0
	v_mbcnt_hi_u32_b32 v0, -1, v0
	v_lshlrev_b32_e32 v3, 2, v0
	v_or_b32_e32 v0, v12, v4
	v_mov_b32_e32 v5, 0
	v_rcp_iflag_f32_e32 v7, v7
	v_lshlrev_b32_e32 v15, 2, v0
	v_mul_lo_u32 v0, v4, s6
	v_mov_b32_e32 v1, v5
	v_lshlrev_b32_e32 v16, 2, v8
	v_mul_lo_u32 v8, v8, s7
	s_waitcnt lgkmcnt(0)
	v_lshl_add_u64 v[0:1], v[0:1], 2, s[16:17]
	v_mov_b32_e32 v17, v5
	v_ashrrev_i32_e32 v9, 31, v8
	v_lshl_add_u64 v[0:1], v[0:1], 0, v[16:17]
	v_lshl_add_u64 v[8:9], v[8:9], 2, s[16:17]
	v_lshlrev_b32_e32 v16, 2, v4
	v_or_b32_e32 v14, 60, v3
	v_lshl_add_u64 v[8:9], v[8:9], 0, v[16:17]
	v_or_b32_e32 v16, 0x7c, v3
	v_mul_f32_e32 v3, 0x4f7ffffe, v7
	v_cvt_u32_f32_e32 v3, v3
	s_ashr_i32 s22, s7, 31
	s_mul_hi_u32 s0, s7, s6
	s_mul_i32 s1, s22, s6
	s_add_i32 s23, s0, s1
	s_sub_i32 s0, 0, s4
	v_mul_lo_u32 v7, s0, v3
	v_mul_hi_u32 v7, v3, v7
	v_mov_b32_e32 v13, 0
	s_mul_i32 s6, s7, s6
	v_cndmask_b32_e32 v1, v1, v9, vcc
	v_cndmask_b32_e32 v0, v0, v8, vcc
	v_add_u32_e32 v17, v3, v7
	s_mov_b64 s[14:15], 0
	v_mov_b32_e32 v18, 1
	v_mov_b32_e32 v3, 0
	s_branch .LBB22_10
.LBB22_8:                               ;   in Loop: Header=BB22_10 Depth=1
	s_or_b64 exec, exec, s[16:17]
	v_mov_b32_e32 v7, 1
.LBB22_9:                               ;   in Loop: Header=BB22_10 Depth=1
	s_or_b64 exec, exec, s[0:1]
	v_mov_b32_dpp v3, v19 row_shr:1 row_mask:0xf bank_mask:0xf
	v_min_i32_e32 v3, v3, v19
	v_add_u32_e32 v2, v7, v2
	s_waitcnt lgkmcnt(0)
	v_mov_b32_dpp v8, v3 row_shr:2 row_mask:0xf bank_mask:0xf
	v_min_i32_e32 v3, v8, v3
	s_nop 1
	v_mov_b32_dpp v8, v3 row_shr:4 row_mask:0xf bank_mask:0xe
	v_min_i32_e32 v3, v8, v3
	s_nop 1
	;; [unrolled: 3-line block ×3, first 2 shown]
	v_mov_b32_dpp v8, v3 row_bcast:15 row_mask:0xa bank_mask:0xf
	v_min_i32_e32 v3, v8, v3
	ds_bpermute_b32 v3, v16, v3
	s_waitcnt lgkmcnt(0)
	v_cmp_le_i32_e32 vcc, s5, v3
	s_or_b64 s[14:15], vcc, s[14:15]
	s_andn2_b64 exec, exec, s[14:15]
	s_cbranch_execz .LBB22_21
.LBB22_10:                              ; =>This Loop Header: Depth=1
                                        ;     Child Loop BB22_13 Depth 2
	v_add_u32_e32 v20, v6, v4
	v_cmp_lt_i32_e32 vcc, v20, v11
	v_mov_b32_e32 v19, s5
	v_mov_b32_e32 v22, v11
	ds_write_b8 v10, v13 offset:1024
	ds_write_b32 v15, v5
	s_waitcnt lgkmcnt(0)
	s_and_saveexec_b64 s[16:17], vcc
	s_cbranch_execz .LBB22_18
; %bb.11:                               ;   in Loop: Header=BB22_10 Depth=1
	v_ashrrev_i32_e32 v7, 31, v6
	v_lshl_add_u64 v[6:7], v[4:5], 0, v[6:7]
	v_lshlrev_b64 v[8:9], 2, v[6:7]
	v_mul_lo_u32 v21, v3, s7
	v_lshl_add_u64 v[6:7], s[10:11], 0, v[8:9]
	v_lshl_add_u64 v[8:9], s[2:3], 0, v[8:9]
	s_mov_b64 s[18:19], 0
	v_mov_b32_e32 v19, s5
	v_mov_b32_e32 v22, v11
	s_branch .LBB22_13
.LBB22_12:                              ;   in Loop: Header=BB22_13 Depth=2
	s_or_b64 exec, exec, s[0:1]
	v_add_u32_e32 v20, 16, v20
	v_cmp_ge_i32_e64 s[0:1], v20, v11
	s_xor_b64 s[24:25], vcc, -1
	s_or_b64 s[0:1], s[24:25], s[0:1]
	s_and_b64 s[0:1], exec, s[0:1]
	v_lshl_add_u64 v[6:7], v[6:7], 0, 64
	s_or_b64 s[18:19], s[0:1], s[18:19]
	v_lshl_add_u64 v[8:9], v[8:9], 0, 64
	s_andn2_b64 exec, exec, s[18:19]
	s_cbranch_execz .LBB22_17
.LBB22_13:                              ;   Parent Loop BB22_10 Depth=1
                                        ; =>  This Inner Loop Header: Depth=2
	global_load_dword v23, v[6:7], off
	s_waitcnt vmcnt(0)
	v_subrev_u32_e32 v23, s20, v23
	v_sub_u32_e32 v25, 0, v23
	v_max_i32_e32 v25, v23, v25
	v_mul_hi_u32 v26, v25, v17
	v_mul_lo_u32 v27, v26, s4
	v_sub_u32_e32 v25, v25, v27
	v_add_u32_e32 v28, 1, v26
	v_cmp_le_u32_e32 vcc, s4, v25
	v_subrev_u32_e32 v27, s4, v25
	v_ashrrev_i32_e32 v24, 31, v23
	v_cndmask_b32_e32 v26, v26, v28, vcc
	v_cndmask_b32_e32 v25, v25, v27, vcc
	v_add_u32_e32 v27, 1, v26
	v_cmp_le_u32_e32 vcc, s4, v25
	v_xor_b32_e32 v24, s22, v24
	s_nop 0
	v_cndmask_b32_e32 v25, v26, v27, vcc
	v_xor_b32_e32 v25, v25, v24
	v_sub_u32_e32 v25, v25, v24
	v_cmp_eq_u32_e32 vcc, v25, v3
	v_cmp_ne_u32_e64 s[0:1], v25, v3
	v_mov_b32_e32 v24, v22
	s_and_saveexec_b64 s[24:25], s[0:1]
	s_xor_b64 s[0:1], exec, s[24:25]
; %bb.14:                               ;   in Loop: Header=BB22_13 Depth=2
	v_min_i32_e32 v19, v25, v19
                                        ; implicit-def: $vgpr23
                                        ; implicit-def: $vgpr24
; %bb.15:                               ;   in Loop: Header=BB22_13 Depth=2
	s_or_saveexec_b64 s[0:1], s[0:1]
	v_mov_b32_e32 v22, v20
	s_xor_b64 exec, exec, s[0:1]
	s_cbranch_execz .LBB22_12
; %bb.16:                               ;   in Loop: Header=BB22_13 Depth=2
	global_load_dword v22, v[8:9], off
	v_sub_u32_e32 v23, v23, v21
	v_add_lshl_u32 v23, v12, v23, 2
	ds_write_b8 v10, v18 offset:1024
	s_waitcnt vmcnt(0)
	ds_write_b32 v23, v22
	v_mov_b32_e32 v22, v24
	s_branch .LBB22_12
.LBB22_17:                              ;   in Loop: Header=BB22_10 Depth=1
	s_or_b64 exec, exec, s[18:19]
.LBB22_18:                              ;   in Loop: Header=BB22_10 Depth=1
	s_or_b64 exec, exec, s[16:17]
	v_mov_b32_dpp v6, v22 row_shr:1 row_mask:0xf bank_mask:0xf
	v_min_i32_e32 v6, v6, v22
	s_waitcnt lgkmcnt(0)
	s_nop 0
	v_mov_b32_dpp v7, v6 row_shr:2 row_mask:0xf bank_mask:0xf
	v_min_i32_e32 v6, v7, v6
	s_nop 1
	v_mov_b32_dpp v7, v6 row_shr:4 row_mask:0xf bank_mask:0xe
	v_min_i32_e32 v6, v7, v6
	ds_read_u8 v7, v10 offset:1024
	s_waitcnt lgkmcnt(0)
	v_and_b32_e32 v7, 1, v7
	v_mov_b32_dpp v8, v6 row_shr:8 row_mask:0xf bank_mask:0xc
	v_min_i32_e32 v6, v8, v6
	ds_bpermute_b32 v6, v14, v6
	v_cmp_eq_u32_e32 vcc, 1, v7
	v_mov_b32_e32 v7, 0
	s_and_saveexec_b64 s[0:1], vcc
	s_cbranch_execz .LBB22_9
; %bb.19:                               ;   in Loop: Header=BB22_10 Depth=1
	v_add_u32_e32 v7, s21, v3
	v_ashrrev_i32_e32 v3, 31, v2
	v_lshl_add_u64 v[8:9], v[2:3], 2, s[8:9]
	global_store_dword v[8:9], v7, off
	s_and_saveexec_b64 s[16:17], s[12:13]
	s_cbranch_execz .LBB22_8
; %bb.20:                               ;   in Loop: Header=BB22_10 Depth=1
	ds_read_b32 v7, v15
	v_mul_lo_u32 v20, s23, v2
	v_mul_lo_u32 v3, s6, v3
	v_mad_u64_u32 v[8:9], s[18:19], s6, v2, 0
	v_add3_u32 v9, v9, v3, v20
	v_lshl_add_u64 v[8:9], v[8:9], 2, v[0:1]
	s_waitcnt lgkmcnt(0)
	global_store_dword v[8:9], v7, off
	s_branch .LBB22_8
.LBB22_21:
	s_endpgm
	.section	.rodata,"a",@progbits
	.p2align	6, 0x0
	.amdhsa_kernel _ZN9rocsparseL44csr2gebsr_wavefront_per_row_multipass_kernelILi256ELi2ELi16ELi32EfEEv20rocsparse_direction_iiiiii21rocsparse_index_base_PKT3_PKiS7_S2_PS3_PiS9_
		.amdhsa_group_segment_fixed_size 1032
		.amdhsa_private_segment_fixed_size 0
		.amdhsa_kernarg_size 88
		.amdhsa_user_sgpr_count 2
		.amdhsa_user_sgpr_dispatch_ptr 0
		.amdhsa_user_sgpr_queue_ptr 0
		.amdhsa_user_sgpr_kernarg_segment_ptr 1
		.amdhsa_user_sgpr_dispatch_id 0
		.amdhsa_user_sgpr_kernarg_preload_length 0
		.amdhsa_user_sgpr_kernarg_preload_offset 0
		.amdhsa_user_sgpr_private_segment_size 0
		.amdhsa_uses_dynamic_stack 0
		.amdhsa_enable_private_segment 0
		.amdhsa_system_sgpr_workgroup_id_x 1
		.amdhsa_system_sgpr_workgroup_id_y 0
		.amdhsa_system_sgpr_workgroup_id_z 0
		.amdhsa_system_sgpr_workgroup_info 0
		.amdhsa_system_vgpr_workitem_id 0
		.amdhsa_next_free_vgpr 29
		.amdhsa_next_free_sgpr 26
		.amdhsa_accum_offset 32
		.amdhsa_reserve_vcc 1
		.amdhsa_float_round_mode_32 0
		.amdhsa_float_round_mode_16_64 0
		.amdhsa_float_denorm_mode_32 3
		.amdhsa_float_denorm_mode_16_64 3
		.amdhsa_dx10_clamp 1
		.amdhsa_ieee_mode 1
		.amdhsa_fp16_overflow 0
		.amdhsa_tg_split 0
		.amdhsa_exception_fp_ieee_invalid_op 0
		.amdhsa_exception_fp_denorm_src 0
		.amdhsa_exception_fp_ieee_div_zero 0
		.amdhsa_exception_fp_ieee_overflow 0
		.amdhsa_exception_fp_ieee_underflow 0
		.amdhsa_exception_fp_ieee_inexact 0
		.amdhsa_exception_int_div_zero 0
	.end_amdhsa_kernel
	.section	.text._ZN9rocsparseL44csr2gebsr_wavefront_per_row_multipass_kernelILi256ELi2ELi16ELi32EfEEv20rocsparse_direction_iiiiii21rocsparse_index_base_PKT3_PKiS7_S2_PS3_PiS9_,"axG",@progbits,_ZN9rocsparseL44csr2gebsr_wavefront_per_row_multipass_kernelILi256ELi2ELi16ELi32EfEEv20rocsparse_direction_iiiiii21rocsparse_index_base_PKT3_PKiS7_S2_PS3_PiS9_,comdat
.Lfunc_end22:
	.size	_ZN9rocsparseL44csr2gebsr_wavefront_per_row_multipass_kernelILi256ELi2ELi16ELi32EfEEv20rocsparse_direction_iiiiii21rocsparse_index_base_PKT3_PKiS7_S2_PS3_PiS9_, .Lfunc_end22-_ZN9rocsparseL44csr2gebsr_wavefront_per_row_multipass_kernelILi256ELi2ELi16ELi32EfEEv20rocsparse_direction_iiiiii21rocsparse_index_base_PKT3_PKiS7_S2_PS3_PiS9_
                                        ; -- End function
	.section	.AMDGPU.csdata,"",@progbits
; Kernel info:
; codeLenInByte = 1208
; NumSgprs: 32
; NumVgprs: 29
; NumAgprs: 0
; TotalNumVgprs: 29
; ScratchSize: 0
; MemoryBound: 0
; FloatMode: 240
; IeeeMode: 1
; LDSByteSize: 1032 bytes/workgroup (compile time only)
; SGPRBlocks: 3
; VGPRBlocks: 3
; NumSGPRsForWavesPerEU: 32
; NumVGPRsForWavesPerEU: 29
; AccumOffset: 32
; Occupancy: 8
; WaveLimiterHint : 0
; COMPUTE_PGM_RSRC2:SCRATCH_EN: 0
; COMPUTE_PGM_RSRC2:USER_SGPR: 2
; COMPUTE_PGM_RSRC2:TRAP_HANDLER: 0
; COMPUTE_PGM_RSRC2:TGID_X_EN: 1
; COMPUTE_PGM_RSRC2:TGID_Y_EN: 0
; COMPUTE_PGM_RSRC2:TGID_Z_EN: 0
; COMPUTE_PGM_RSRC2:TIDIG_COMP_CNT: 0
; COMPUTE_PGM_RSRC3_GFX90A:ACCUM_OFFSET: 7
; COMPUTE_PGM_RSRC3_GFX90A:TG_SPLIT: 0
	.section	.text._ZN9rocsparseL44csr2gebsr_wavefront_per_row_multipass_kernelILi256ELi2ELi32ELi64EfEEv20rocsparse_direction_iiiiii21rocsparse_index_base_PKT3_PKiS7_S2_PS3_PiS9_,"axG",@progbits,_ZN9rocsparseL44csr2gebsr_wavefront_per_row_multipass_kernelILi256ELi2ELi32ELi64EfEEv20rocsparse_direction_iiiiii21rocsparse_index_base_PKT3_PKiS7_S2_PS3_PiS9_,comdat
	.globl	_ZN9rocsparseL44csr2gebsr_wavefront_per_row_multipass_kernelILi256ELi2ELi32ELi64EfEEv20rocsparse_direction_iiiiii21rocsparse_index_base_PKT3_PKiS7_S2_PS3_PiS9_ ; -- Begin function _ZN9rocsparseL44csr2gebsr_wavefront_per_row_multipass_kernelILi256ELi2ELi32ELi64EfEEv20rocsparse_direction_iiiiii21rocsparse_index_base_PKT3_PKiS7_S2_PS3_PiS9_
	.p2align	8
	.type	_ZN9rocsparseL44csr2gebsr_wavefront_per_row_multipass_kernelILi256ELi2ELi32ELi64EfEEv20rocsparse_direction_iiiiii21rocsparse_index_base_PKT3_PKiS7_S2_PS3_PiS9_,@function
_ZN9rocsparseL44csr2gebsr_wavefront_per_row_multipass_kernelILi256ELi2ELi32ELi64EfEEv20rocsparse_direction_iiiiii21rocsparse_index_base_PKT3_PKiS7_S2_PS3_PiS9_: ; @_ZN9rocsparseL44csr2gebsr_wavefront_per_row_multipass_kernelILi256ELi2ELi32ELi64EfEEv20rocsparse_direction_iiiiii21rocsparse_index_base_PKT3_PKiS7_S2_PS3_PiS9_
; %bb.0:
	s_load_dwordx2 s[14:15], s[0:1], 0x0
	s_load_dwordx4 s[4:7], s[0:1], 0xc
	s_load_dword s22, s[0:1], 0x1c
	s_load_dwordx2 s[8:9], s[0:1], 0x28
	v_lshrrev_b32_e32 v10, 6, v0
	v_bfe_u32 v8, v0, 5, 1
	v_lshl_or_b32 v4, s2, 2, v10
	s_waitcnt lgkmcnt(0)
	v_mad_u64_u32 v[2:3], s[2:3], v4, s6, v[8:9]
	v_cmp_gt_i32_e64 s[2:3], s15, v2
	v_cmp_gt_i32_e32 vcc, s6, v8
	s_and_b64 s[2:3], vcc, s[2:3]
	v_mov_b32_e32 v11, 0
	v_mov_b32_e32 v6, 0
	s_and_saveexec_b64 s[10:11], s[2:3]
	s_cbranch_execz .LBB23_2
; %bb.1:
	v_ashrrev_i32_e32 v3, 31, v2
	v_lshl_add_u64 v[6:7], v[2:3], 2, s[8:9]
	global_load_dword v1, v[6:7], off
	s_waitcnt vmcnt(0)
	v_subrev_u32_e32 v6, s22, v1
.LBB23_2:
	s_or_b64 exec, exec, s[10:11]
	s_and_saveexec_b64 s[10:11], s[2:3]
	s_cbranch_execz .LBB23_4
; %bb.3:
	v_ashrrev_i32_e32 v3, 31, v2
	v_lshl_add_u64 v[2:3], v[2:3], 2, s[8:9]
	global_load_dword v1, v[2:3], off offset:4
	s_waitcnt vmcnt(0)
	v_subrev_u32_e32 v11, s22, v1
.LBB23_4:
	s_or_b64 exec, exec, s[10:11]
	s_load_dword s23, s[0:1], 0x38
	v_cmp_gt_i32_e64 s[2:3], s4, v4
	v_mov_b32_e32 v2, 0
	s_and_saveexec_b64 s[8:9], s[2:3]
	s_cbranch_execz .LBB23_6
; %bb.5:
	s_load_dwordx2 s[2:3], s[0:1], 0x48
	v_ashrrev_i32_e32 v5, 31, v4
	s_waitcnt lgkmcnt(0)
	v_lshl_add_u64 v[2:3], v[4:5], 2, s[2:3]
	global_load_dword v1, v[2:3], off
	s_waitcnt vmcnt(0)
	v_subrev_u32_e32 v2, s23, v1
.LBB23_6:
	s_or_b64 exec, exec, s[8:9]
	s_cmp_lt_i32 s5, 1
	s_cbranch_scc1 .LBB23_21
; %bb.7:
	v_and_b32_e32 v4, 31, v0
	s_load_dwordx2 s[2:3], s[0:1], 0x20
	s_load_dwordx2 s[8:9], s[0:1], 0x50
	;; [unrolled: 1-line block ×4, first 2 shown]
	v_cmp_gt_u32_e64 s[0:1], s7, v4
	s_and_b64 s[12:13], vcc, s[0:1]
	s_cmp_eq_u32 s14, 0
	s_cselect_b64 vcc, -1, 0
	s_abs_i32 s4, s7
	v_cvt_f32_u32_e32 v7, s4
	v_and_b32_e32 v0, 0xc0, v0
	v_lshl_or_b32 v12, v8, 5, v0
	v_mbcnt_lo_u32_b32 v0, -1, 0
	v_mbcnt_hi_u32_b32 v0, -1, v0
	v_lshlrev_b32_e32 v3, 2, v0
	v_or_b32_e32 v0, v12, v4
	v_mov_b32_e32 v5, 0
	v_rcp_iflag_f32_e32 v7, v7
	v_lshlrev_b32_e32 v15, 2, v0
	v_mul_lo_u32 v0, v4, s6
	v_mov_b32_e32 v1, v5
	v_lshlrev_b32_e32 v16, 2, v8
	v_mul_lo_u32 v8, v8, s7
	s_waitcnt lgkmcnt(0)
	v_lshl_add_u64 v[0:1], v[0:1], 2, s[16:17]
	v_mov_b32_e32 v17, v5
	v_ashrrev_i32_e32 v9, 31, v8
	v_lshl_add_u64 v[0:1], v[0:1], 0, v[16:17]
	v_lshl_add_u64 v[8:9], v[8:9], 2, s[16:17]
	v_lshlrev_b32_e32 v16, 2, v4
	v_or_b32_e32 v14, 0x7c, v3
	v_lshl_add_u64 v[8:9], v[8:9], 0, v[16:17]
	v_or_b32_e32 v16, 0xfc, v3
	v_mul_f32_e32 v3, 0x4f7ffffe, v7
	v_cvt_u32_f32_e32 v3, v3
	s_ashr_i32 s24, s7, 31
	s_mul_hi_u32 s0, s7, s6
	s_mul_i32 s1, s24, s6
	s_add_i32 s25, s0, s1
	s_sub_i32 s0, 0, s4
	v_mul_lo_u32 v7, s0, v3
	v_mul_hi_u32 v7, v3, v7
	v_mov_b32_e32 v13, 0
	s_mul_i32 s6, s7, s6
	v_cndmask_b32_e32 v1, v1, v9, vcc
	v_cndmask_b32_e32 v0, v0, v8, vcc
	v_add_u32_e32 v17, v3, v7
	s_mov_b64 s[14:15], 0
	s_mov_b64 s[16:17], 0x80
	v_mov_b32_e32 v18, 1
	v_mov_b32_e32 v3, 0
	s_branch .LBB23_10
.LBB23_8:                               ;   in Loop: Header=BB23_10 Depth=1
	s_or_b64 exec, exec, s[18:19]
	v_mov_b32_e32 v7, 1
.LBB23_9:                               ;   in Loop: Header=BB23_10 Depth=1
	s_or_b64 exec, exec, s[0:1]
	v_mov_b32_dpp v3, v19 row_shr:1 row_mask:0xf bank_mask:0xf
	v_min_i32_e32 v3, v3, v19
	v_add_u32_e32 v2, v7, v2
	s_waitcnt lgkmcnt(0)
	v_mov_b32_dpp v8, v3 row_shr:2 row_mask:0xf bank_mask:0xf
	v_min_i32_e32 v3, v8, v3
	s_nop 1
	v_mov_b32_dpp v8, v3 row_shr:4 row_mask:0xf bank_mask:0xe
	v_min_i32_e32 v3, v8, v3
	s_nop 1
	;; [unrolled: 3-line block ×3, first 2 shown]
	v_mov_b32_dpp v8, v3 row_bcast:15 row_mask:0xa bank_mask:0xf
	v_min_i32_e32 v3, v8, v3
	s_nop 1
	v_mov_b32_dpp v8, v3 row_bcast:31 row_mask:0xc bank_mask:0xf
	v_min_i32_e32 v3, v8, v3
	ds_bpermute_b32 v3, v16, v3
	s_waitcnt lgkmcnt(0)
	v_cmp_le_i32_e32 vcc, s5, v3
	s_or_b64 s[14:15], vcc, s[14:15]
	s_andn2_b64 exec, exec, s[14:15]
	s_cbranch_execz .LBB23_21
.LBB23_10:                              ; =>This Loop Header: Depth=1
                                        ;     Child Loop BB23_13 Depth 2
	v_add_u32_e32 v20, v6, v4
	v_cmp_lt_i32_e32 vcc, v20, v11
	v_mov_b32_e32 v19, s5
	v_mov_b32_e32 v22, v11
	ds_write_b8 v10, v13 offset:1024
	ds_write_b32 v15, v5
	s_waitcnt lgkmcnt(0)
	s_and_saveexec_b64 s[18:19], vcc
	s_cbranch_execz .LBB23_18
; %bb.11:                               ;   in Loop: Header=BB23_10 Depth=1
	v_ashrrev_i32_e32 v7, 31, v6
	v_lshl_add_u64 v[6:7], v[4:5], 0, v[6:7]
	v_lshlrev_b64 v[8:9], 2, v[6:7]
	v_mul_lo_u32 v21, v3, s7
	v_lshl_add_u64 v[6:7], s[10:11], 0, v[8:9]
	v_lshl_add_u64 v[8:9], s[2:3], 0, v[8:9]
	s_mov_b64 s[20:21], 0
	v_mov_b32_e32 v19, s5
	v_mov_b32_e32 v22, v11
	s_branch .LBB23_13
.LBB23_12:                              ;   in Loop: Header=BB23_13 Depth=2
	s_or_b64 exec, exec, s[0:1]
	v_add_u32_e32 v20, 32, v20
	v_cmp_ge_i32_e64 s[0:1], v20, v11
	s_xor_b64 s[26:27], vcc, -1
	s_or_b64 s[0:1], s[26:27], s[0:1]
	s_and_b64 s[0:1], exec, s[0:1]
	v_lshl_add_u64 v[6:7], v[6:7], 0, s[16:17]
	s_or_b64 s[20:21], s[0:1], s[20:21]
	v_lshl_add_u64 v[8:9], v[8:9], 0, s[16:17]
	s_andn2_b64 exec, exec, s[20:21]
	s_cbranch_execz .LBB23_17
.LBB23_13:                              ;   Parent Loop BB23_10 Depth=1
                                        ; =>  This Inner Loop Header: Depth=2
	global_load_dword v23, v[6:7], off
	s_waitcnt vmcnt(0)
	v_subrev_u32_e32 v23, s22, v23
	v_sub_u32_e32 v25, 0, v23
	v_max_i32_e32 v25, v23, v25
	v_mul_hi_u32 v26, v25, v17
	v_mul_lo_u32 v27, v26, s4
	v_sub_u32_e32 v25, v25, v27
	v_add_u32_e32 v28, 1, v26
	v_cmp_le_u32_e32 vcc, s4, v25
	v_subrev_u32_e32 v27, s4, v25
	v_ashrrev_i32_e32 v24, 31, v23
	v_cndmask_b32_e32 v26, v26, v28, vcc
	v_cndmask_b32_e32 v25, v25, v27, vcc
	v_add_u32_e32 v27, 1, v26
	v_cmp_le_u32_e32 vcc, s4, v25
	v_xor_b32_e32 v24, s24, v24
	s_nop 0
	v_cndmask_b32_e32 v25, v26, v27, vcc
	v_xor_b32_e32 v25, v25, v24
	v_sub_u32_e32 v25, v25, v24
	v_cmp_eq_u32_e32 vcc, v25, v3
	v_cmp_ne_u32_e64 s[0:1], v25, v3
	v_mov_b32_e32 v24, v22
	s_and_saveexec_b64 s[26:27], s[0:1]
	s_xor_b64 s[0:1], exec, s[26:27]
; %bb.14:                               ;   in Loop: Header=BB23_13 Depth=2
	v_min_i32_e32 v19, v25, v19
                                        ; implicit-def: $vgpr23
                                        ; implicit-def: $vgpr24
; %bb.15:                               ;   in Loop: Header=BB23_13 Depth=2
	s_or_saveexec_b64 s[0:1], s[0:1]
	v_mov_b32_e32 v22, v20
	s_xor_b64 exec, exec, s[0:1]
	s_cbranch_execz .LBB23_12
; %bb.16:                               ;   in Loop: Header=BB23_13 Depth=2
	global_load_dword v22, v[8:9], off
	v_sub_u32_e32 v23, v23, v21
	v_add_lshl_u32 v23, v12, v23, 2
	ds_write_b8 v10, v18 offset:1024
	s_waitcnt vmcnt(0)
	ds_write_b32 v23, v22
	v_mov_b32_e32 v22, v24
	s_branch .LBB23_12
.LBB23_17:                              ;   in Loop: Header=BB23_10 Depth=1
	s_or_b64 exec, exec, s[20:21]
.LBB23_18:                              ;   in Loop: Header=BB23_10 Depth=1
	s_or_b64 exec, exec, s[18:19]
	v_mov_b32_dpp v6, v22 row_shr:1 row_mask:0xf bank_mask:0xf
	v_min_i32_e32 v6, v6, v22
	s_waitcnt lgkmcnt(0)
	s_nop 0
	v_mov_b32_dpp v7, v6 row_shr:2 row_mask:0xf bank_mask:0xf
	v_min_i32_e32 v6, v7, v6
	s_nop 1
	v_mov_b32_dpp v7, v6 row_shr:4 row_mask:0xf bank_mask:0xe
	v_min_i32_e32 v6, v7, v6
	;; [unrolled: 3-line block ×3, first 2 shown]
	ds_read_u8 v7, v10 offset:1024
	s_waitcnt lgkmcnt(0)
	v_and_b32_e32 v7, 1, v7
	v_mov_b32_dpp v8, v6 row_bcast:15 row_mask:0xa bank_mask:0xf
	v_min_i32_e32 v6, v8, v6
	ds_bpermute_b32 v6, v14, v6
	v_cmp_eq_u32_e32 vcc, 1, v7
	v_mov_b32_e32 v7, 0
	s_and_saveexec_b64 s[0:1], vcc
	s_cbranch_execz .LBB23_9
; %bb.19:                               ;   in Loop: Header=BB23_10 Depth=1
	v_add_u32_e32 v7, s23, v3
	v_ashrrev_i32_e32 v3, 31, v2
	v_lshl_add_u64 v[8:9], v[2:3], 2, s[8:9]
	global_store_dword v[8:9], v7, off
	s_and_saveexec_b64 s[18:19], s[12:13]
	s_cbranch_execz .LBB23_8
; %bb.20:                               ;   in Loop: Header=BB23_10 Depth=1
	ds_read_b32 v7, v15
	v_mul_lo_u32 v20, s25, v2
	v_mul_lo_u32 v3, s6, v3
	v_mad_u64_u32 v[8:9], s[20:21], s6, v2, 0
	v_add3_u32 v9, v9, v3, v20
	v_lshl_add_u64 v[8:9], v[8:9], 2, v[0:1]
	s_waitcnt lgkmcnt(0)
	global_store_dword v[8:9], v7, off
	s_branch .LBB23_8
.LBB23_21:
	s_endpgm
	.section	.rodata,"a",@progbits
	.p2align	6, 0x0
	.amdhsa_kernel _ZN9rocsparseL44csr2gebsr_wavefront_per_row_multipass_kernelILi256ELi2ELi32ELi64EfEEv20rocsparse_direction_iiiiii21rocsparse_index_base_PKT3_PKiS7_S2_PS3_PiS9_
		.amdhsa_group_segment_fixed_size 1028
		.amdhsa_private_segment_fixed_size 0
		.amdhsa_kernarg_size 88
		.amdhsa_user_sgpr_count 2
		.amdhsa_user_sgpr_dispatch_ptr 0
		.amdhsa_user_sgpr_queue_ptr 0
		.amdhsa_user_sgpr_kernarg_segment_ptr 1
		.amdhsa_user_sgpr_dispatch_id 0
		.amdhsa_user_sgpr_kernarg_preload_length 0
		.amdhsa_user_sgpr_kernarg_preload_offset 0
		.amdhsa_user_sgpr_private_segment_size 0
		.amdhsa_uses_dynamic_stack 0
		.amdhsa_enable_private_segment 0
		.amdhsa_system_sgpr_workgroup_id_x 1
		.amdhsa_system_sgpr_workgroup_id_y 0
		.amdhsa_system_sgpr_workgroup_id_z 0
		.amdhsa_system_sgpr_workgroup_info 0
		.amdhsa_system_vgpr_workitem_id 0
		.amdhsa_next_free_vgpr 29
		.amdhsa_next_free_sgpr 28
		.amdhsa_accum_offset 32
		.amdhsa_reserve_vcc 1
		.amdhsa_float_round_mode_32 0
		.amdhsa_float_round_mode_16_64 0
		.amdhsa_float_denorm_mode_32 3
		.amdhsa_float_denorm_mode_16_64 3
		.amdhsa_dx10_clamp 1
		.amdhsa_ieee_mode 1
		.amdhsa_fp16_overflow 0
		.amdhsa_tg_split 0
		.amdhsa_exception_fp_ieee_invalid_op 0
		.amdhsa_exception_fp_denorm_src 0
		.amdhsa_exception_fp_ieee_div_zero 0
		.amdhsa_exception_fp_ieee_overflow 0
		.amdhsa_exception_fp_ieee_underflow 0
		.amdhsa_exception_fp_ieee_inexact 0
		.amdhsa_exception_int_div_zero 0
	.end_amdhsa_kernel
	.section	.text._ZN9rocsparseL44csr2gebsr_wavefront_per_row_multipass_kernelILi256ELi2ELi32ELi64EfEEv20rocsparse_direction_iiiiii21rocsparse_index_base_PKT3_PKiS7_S2_PS3_PiS9_,"axG",@progbits,_ZN9rocsparseL44csr2gebsr_wavefront_per_row_multipass_kernelILi256ELi2ELi32ELi64EfEEv20rocsparse_direction_iiiiii21rocsparse_index_base_PKT3_PKiS7_S2_PS3_PiS9_,comdat
.Lfunc_end23:
	.size	_ZN9rocsparseL44csr2gebsr_wavefront_per_row_multipass_kernelILi256ELi2ELi32ELi64EfEEv20rocsparse_direction_iiiiii21rocsparse_index_base_PKT3_PKiS7_S2_PS3_PiS9_, .Lfunc_end23-_ZN9rocsparseL44csr2gebsr_wavefront_per_row_multipass_kernelILi256ELi2ELi32ELi64EfEEv20rocsparse_direction_iiiiii21rocsparse_index_base_PKT3_PKiS7_S2_PS3_PiS9_
                                        ; -- End function
	.section	.AMDGPU.csdata,"",@progbits
; Kernel info:
; codeLenInByte = 1252
; NumSgprs: 34
; NumVgprs: 29
; NumAgprs: 0
; TotalNumVgprs: 29
; ScratchSize: 0
; MemoryBound: 0
; FloatMode: 240
; IeeeMode: 1
; LDSByteSize: 1028 bytes/workgroup (compile time only)
; SGPRBlocks: 4
; VGPRBlocks: 3
; NumSGPRsForWavesPerEU: 34
; NumVGPRsForWavesPerEU: 29
; AccumOffset: 32
; Occupancy: 8
; WaveLimiterHint : 0
; COMPUTE_PGM_RSRC2:SCRATCH_EN: 0
; COMPUTE_PGM_RSRC2:USER_SGPR: 2
; COMPUTE_PGM_RSRC2:TRAP_HANDLER: 0
; COMPUTE_PGM_RSRC2:TGID_X_EN: 1
; COMPUTE_PGM_RSRC2:TGID_Y_EN: 0
; COMPUTE_PGM_RSRC2:TGID_Z_EN: 0
; COMPUTE_PGM_RSRC2:TIDIG_COMP_CNT: 0
; COMPUTE_PGM_RSRC3_GFX90A:ACCUM_OFFSET: 7
; COMPUTE_PGM_RSRC3_GFX90A:TG_SPLIT: 0
	.section	.text._ZN9rocsparseL44csr2gebsr_wavefront_per_row_multipass_kernelILi256ELi2ELi32ELi32EfEEv20rocsparse_direction_iiiiii21rocsparse_index_base_PKT3_PKiS7_S2_PS3_PiS9_,"axG",@progbits,_ZN9rocsparseL44csr2gebsr_wavefront_per_row_multipass_kernelILi256ELi2ELi32ELi32EfEEv20rocsparse_direction_iiiiii21rocsparse_index_base_PKT3_PKiS7_S2_PS3_PiS9_,comdat
	.globl	_ZN9rocsparseL44csr2gebsr_wavefront_per_row_multipass_kernelILi256ELi2ELi32ELi32EfEEv20rocsparse_direction_iiiiii21rocsparse_index_base_PKT3_PKiS7_S2_PS3_PiS9_ ; -- Begin function _ZN9rocsparseL44csr2gebsr_wavefront_per_row_multipass_kernelILi256ELi2ELi32ELi32EfEEv20rocsparse_direction_iiiiii21rocsparse_index_base_PKT3_PKiS7_S2_PS3_PiS9_
	.p2align	8
	.type	_ZN9rocsparseL44csr2gebsr_wavefront_per_row_multipass_kernelILi256ELi2ELi32ELi32EfEEv20rocsparse_direction_iiiiii21rocsparse_index_base_PKT3_PKiS7_S2_PS3_PiS9_,@function
_ZN9rocsparseL44csr2gebsr_wavefront_per_row_multipass_kernelILi256ELi2ELi32ELi32EfEEv20rocsparse_direction_iiiiii21rocsparse_index_base_PKT3_PKiS7_S2_PS3_PiS9_: ; @_ZN9rocsparseL44csr2gebsr_wavefront_per_row_multipass_kernelILi256ELi2ELi32ELi32EfEEv20rocsparse_direction_iiiiii21rocsparse_index_base_PKT3_PKiS7_S2_PS3_PiS9_
; %bb.0:
	s_load_dwordx2 s[14:15], s[0:1], 0x0
	s_load_dwordx4 s[4:7], s[0:1], 0xc
	s_load_dword s24, s[0:1], 0x1c
	s_load_dwordx2 s[8:9], s[0:1], 0x28
	v_lshrrev_b32_e32 v18, 5, v0
	v_bfe_u32 v6, v0, 4, 1
	v_lshl_or_b32 v4, s2, 3, v18
	s_waitcnt lgkmcnt(0)
	v_mad_u64_u32 v[2:3], s[2:3], v4, s6, v[6:7]
	v_cmp_gt_i32_e64 s[2:3], s15, v2
	v_cmp_gt_i32_e32 vcc, s6, v6
	s_and_b64 s[2:3], vcc, s[2:3]
	v_mov_b32_e32 v19, 0
	v_mov_b32_e32 v12, 0
	s_and_saveexec_b64 s[10:11], s[2:3]
	s_cbranch_execz .LBB24_2
; %bb.1:
	v_ashrrev_i32_e32 v3, 31, v2
	v_lshl_add_u64 v[8:9], v[2:3], 2, s[8:9]
	global_load_dword v1, v[8:9], off
	s_waitcnt vmcnt(0)
	v_subrev_u32_e32 v12, s24, v1
.LBB24_2:
	s_or_b64 exec, exec, s[10:11]
	s_and_saveexec_b64 s[10:11], s[2:3]
	s_cbranch_execz .LBB24_4
; %bb.3:
	v_ashrrev_i32_e32 v3, 31, v2
	v_lshl_add_u64 v[2:3], v[2:3], 2, s[8:9]
	global_load_dword v1, v[2:3], off offset:4
	s_waitcnt vmcnt(0)
	v_subrev_u32_e32 v19, s24, v1
.LBB24_4:
	s_or_b64 exec, exec, s[10:11]
	s_load_dword s25, s[0:1], 0x38
	v_cmp_gt_i32_e64 s[2:3], s4, v4
	v_mov_b32_e32 v2, 0
	s_and_saveexec_b64 s[8:9], s[2:3]
	s_cbranch_execz .LBB24_6
; %bb.5:
	s_load_dwordx2 s[2:3], s[0:1], 0x48
	v_ashrrev_i32_e32 v5, 31, v4
	s_waitcnt lgkmcnt(0)
	v_lshl_add_u64 v[2:3], v[4:5], 2, s[2:3]
	global_load_dword v1, v[2:3], off
	s_waitcnt vmcnt(0)
	v_subrev_u32_e32 v2, s25, v1
.LBB24_6:
	s_or_b64 exec, exec, s[8:9]
	s_cmp_lt_i32 s5, 1
	s_cbranch_scc1 .LBB24_30
; %bb.7:
	v_lshlrev_b32_e32 v1, 6, v18
	v_lshl_or_b32 v20, v6, 5, v1
	v_mbcnt_lo_u32_b32 v1, -1, 0
	v_mbcnt_hi_u32_b32 v1, -1, v1
	s_cmp_lg_u32 s14, 0
	v_lshlrev_b32_e32 v3, 2, v1
	s_cselect_b64 s[14:15], -1, 0
	s_abs_i32 s28, s7
	v_or_b32_e32 v22, 60, v3
	v_or_b32_e32 v23, 0x7c, v3
	v_cvt_f32_u32_e32 v3, s28
	s_load_dwordx2 s[8:9], s[0:1], 0x20
	s_load_dwordx2 s[10:11], s[0:1], 0x50
	;; [unrolled: 1-line block ×4, first 2 shown]
	s_ashr_i32 s4, s7, 31
	v_and_b32_e32 v0, 15, v0
	v_rcp_iflag_f32_e32 v3, v3
	s_mul_hi_u32 s0, s7, s6
	s_mul_i32 s1, s4, s6
	s_add_i32 s26, s0, s1
	v_mul_f32_e32 v3, 0x4f7ffffe, v3
	v_cvt_u32_f32_e32 v3, v3
	v_lshlrev_b32_e32 v4, 2, v6
	v_mul_lo_u32 v6, v6, s7
	v_cmp_gt_u32_e64 s[0:1], s7, v0
	v_or_b32_e32 v10, v20, v0
	v_mov_b32_e32 v1, 0
	v_ashrrev_i32_e32 v7, 31, v6
	s_and_b64 s[16:17], s[0:1], vcc
	s_sub_i32 s0, 0, s28
	v_mov_b32_e32 v5, v1
	s_waitcnt lgkmcnt(0)
	v_lshl_add_u64 v[6:7], v[6:7], 2, s[2:3]
	v_lshlrev_b32_e32 v8, 2, v0
	v_mov_b32_e32 v9, v1
	v_lshlrev_b32_e32 v24, 2, v10
	v_or_b32_e32 v10, 16, v0
	v_mul_lo_u32 v13, s0, v3
	v_lshl_add_u64 v[4:5], s[2:3], 0, v[4:5]
	v_lshl_add_u64 v[6:7], v[6:7], 0, v[8:9]
	v_mul_lo_u32 v8, v0, s6
	v_cmp_gt_u32_e64 s[2:3], s7, v10
	v_mul_hi_u32 v13, v3, v13
	v_mov_b32_e32 v21, 0
	s_mul_i32 s27, s7, s6
	v_lshl_add_u32 v10, s6, 4, v8
	v_mov_b32_e32 v11, v1
	v_or_b32_e32 v25, 64, v24
	s_and_b64 s[2:3], vcc, s[2:3]
	v_add_u32_e32 v26, v3, v13
	s_mov_b64 s[18:19], 0
	v_mov_b32_e32 v27, 1
	v_mov_b32_e32 v3, 0
	s_branch .LBB24_11
.LBB24_8:                               ;   in Loop: Header=BB24_11 Depth=1
	v_mov_b32_e32 v13, s6
.LBB24_9:                               ;   in Loop: Header=BB24_11 Depth=1
	s_or_b64 exec, exec, s[20:21]
.LBB24_10:                              ;   in Loop: Header=BB24_11 Depth=1
	s_or_b64 exec, exec, s[0:1]
	v_mov_b32_dpp v3, v28 row_shr:1 row_mask:0xf bank_mask:0xf
	v_min_i32_e32 v3, v3, v28
	v_add_u32_e32 v2, v13, v2
	s_waitcnt lgkmcnt(0)
	v_mov_b32_dpp v14, v3 row_shr:2 row_mask:0xf bank_mask:0xf
	v_min_i32_e32 v3, v14, v3
	s_nop 1
	v_mov_b32_dpp v14, v3 row_shr:4 row_mask:0xf bank_mask:0xe
	v_min_i32_e32 v3, v14, v3
	s_nop 1
	;; [unrolled: 3-line block ×3, first 2 shown]
	v_mov_b32_dpp v14, v3 row_bcast:15 row_mask:0xa bank_mask:0xf
	v_min_i32_e32 v3, v14, v3
	ds_bpermute_b32 v3, v23, v3
	s_waitcnt lgkmcnt(0)
	v_cmp_le_i32_e32 vcc, s5, v3
	s_or_b64 s[18:19], vcc, s[18:19]
	s_andn2_b64 exec, exec, s[18:19]
	s_cbranch_execz .LBB24_30
.LBB24_11:                              ; =>This Loop Header: Depth=1
                                        ;     Child Loop BB24_14 Depth 2
	v_add_u32_e32 v16, v12, v0
	v_cmp_lt_i32_e32 vcc, v16, v19
	v_mov_b32_e32 v28, s5
	v_mov_b32_e32 v29, v19
	ds_write_b8 v18, v21 offset:2048
	ds_write_b32 v24, v1
	ds_write_b32 v25, v1
	s_waitcnt lgkmcnt(0)
	s_and_saveexec_b64 s[20:21], vcc
	s_cbranch_execz .LBB24_19
; %bb.12:                               ;   in Loop: Header=BB24_11 Depth=1
	v_ashrrev_i32_e32 v13, 31, v12
	v_lshl_add_u64 v[12:13], v[0:1], 0, v[12:13]
	v_lshlrev_b64 v[14:15], 2, v[12:13]
	v_mul_lo_u32 v17, v3, s7
	v_lshl_add_u64 v[12:13], s[12:13], 0, v[14:15]
	v_lshl_add_u64 v[14:15], s[8:9], 0, v[14:15]
	s_mov_b64 s[22:23], 0
	v_mov_b32_e32 v28, s5
	v_mov_b32_e32 v29, v19
	s_branch .LBB24_14
.LBB24_13:                              ;   in Loop: Header=BB24_14 Depth=2
	s_or_b64 exec, exec, s[0:1]
	v_add_u32_e32 v16, 16, v16
	v_cmp_ge_i32_e64 s[0:1], v16, v19
	s_xor_b64 s[30:31], vcc, -1
	s_or_b64 s[0:1], s[30:31], s[0:1]
	s_and_b64 s[0:1], exec, s[0:1]
	v_lshl_add_u64 v[12:13], v[12:13], 0, 64
	s_or_b64 s[22:23], s[0:1], s[22:23]
	v_lshl_add_u64 v[14:15], v[14:15], 0, 64
	s_andn2_b64 exec, exec, s[22:23]
	s_cbranch_execz .LBB24_18
.LBB24_14:                              ;   Parent Loop BB24_11 Depth=1
                                        ; =>  This Inner Loop Header: Depth=2
	global_load_dword v30, v[12:13], off
	s_waitcnt vmcnt(0)
	v_subrev_u32_e32 v30, s24, v30
	v_sub_u32_e32 v32, 0, v30
	v_max_i32_e32 v32, v30, v32
	v_mul_hi_u32 v33, v32, v26
	v_mul_lo_u32 v34, v33, s28
	v_sub_u32_e32 v32, v32, v34
	v_add_u32_e32 v35, 1, v33
	v_cmp_le_u32_e32 vcc, s28, v32
	v_subrev_u32_e32 v34, s28, v32
	v_ashrrev_i32_e32 v31, 31, v30
	v_cndmask_b32_e32 v33, v33, v35, vcc
	v_cndmask_b32_e32 v32, v32, v34, vcc
	v_add_u32_e32 v34, 1, v33
	v_cmp_le_u32_e32 vcc, s28, v32
	v_xor_b32_e32 v31, s4, v31
	s_nop 0
	v_cndmask_b32_e32 v32, v33, v34, vcc
	v_xor_b32_e32 v32, v32, v31
	v_sub_u32_e32 v32, v32, v31
	v_cmp_eq_u32_e32 vcc, v32, v3
	v_cmp_ne_u32_e64 s[0:1], v32, v3
	v_mov_b32_e32 v31, v29
	s_and_saveexec_b64 s[30:31], s[0:1]
	s_xor_b64 s[0:1], exec, s[30:31]
; %bb.15:                               ;   in Loop: Header=BB24_14 Depth=2
	v_min_i32_e32 v28, v32, v28
                                        ; implicit-def: $vgpr30
                                        ; implicit-def: $vgpr31
; %bb.16:                               ;   in Loop: Header=BB24_14 Depth=2
	s_or_saveexec_b64 s[0:1], s[0:1]
	v_mov_b32_e32 v29, v16
	s_xor_b64 exec, exec, s[0:1]
	s_cbranch_execz .LBB24_13
; %bb.17:                               ;   in Loop: Header=BB24_14 Depth=2
	global_load_dword v29, v[14:15], off
	v_sub_u32_e32 v30, v30, v17
	v_add_lshl_u32 v30, v20, v30, 2
	ds_write_b8 v18, v27 offset:2048
	s_waitcnt vmcnt(0)
	ds_write_b32 v30, v29
	v_mov_b32_e32 v29, v31
	s_branch .LBB24_13
.LBB24_18:                              ;   in Loop: Header=BB24_11 Depth=1
	s_or_b64 exec, exec, s[22:23]
.LBB24_19:                              ;   in Loop: Header=BB24_11 Depth=1
	s_or_b64 exec, exec, s[20:21]
	v_mov_b32_dpp v12, v29 row_shr:1 row_mask:0xf bank_mask:0xf
	v_min_i32_e32 v12, v12, v29
	s_waitcnt lgkmcnt(0)
	s_nop 0
	v_mov_b32_dpp v13, v12 row_shr:2 row_mask:0xf bank_mask:0xf
	v_min_i32_e32 v12, v13, v12
	s_nop 1
	v_mov_b32_dpp v13, v12 row_shr:4 row_mask:0xf bank_mask:0xe
	v_min_i32_e32 v12, v13, v12
	ds_read_u8 v13, v18 offset:2048
	s_waitcnt lgkmcnt(0)
	v_and_b32_e32 v13, 1, v13
	v_mov_b32_dpp v14, v12 row_shr:8 row_mask:0xf bank_mask:0xc
	v_min_i32_e32 v12, v14, v12
	ds_bpermute_b32 v12, v22, v12
	v_cmp_eq_u32_e32 vcc, 1, v13
	v_mov_b32_e32 v13, 0
	s_and_saveexec_b64 s[0:1], vcc
	s_cbranch_execz .LBB24_10
; %bb.20:                               ;   in Loop: Header=BB24_11 Depth=1
	v_add_u32_e32 v13, s25, v3
	v_ashrrev_i32_e32 v3, 31, v2
	v_lshl_add_u64 v[14:15], v[2:3], 2, s[10:11]
	global_store_dword v[14:15], v13, off
	v_mul_lo_u32 v13, s26, v2
	v_mul_lo_u32 v3, s27, v3
	v_mad_u64_u32 v[14:15], s[20:21], s27, v2, 0
	v_add3_u32 v15, v15, v3, v13
	v_lshlrev_b64 v[14:15], 2, v[14:15]
	v_lshl_add_u64 v[16:17], v[4:5], 0, v[14:15]
	v_lshl_add_u64 v[14:15], v[6:7], 0, v[14:15]
	s_and_saveexec_b64 s[20:21], s[16:17]
	s_cbranch_execz .LBB24_24
; %bb.21:                               ;   in Loop: Header=BB24_11 Depth=1
	s_and_b64 vcc, exec, s[14:15]
	s_cbranch_vccz .LBB24_27
; %bb.22:                               ;   in Loop: Header=BB24_11 Depth=1
	ds_read_b32 v3, v24
	v_lshl_add_u64 v[30:31], v[8:9], 2, v[16:17]
	s_waitcnt lgkmcnt(0)
	global_store_dword v[30:31], v3, off
	s_cbranch_execnz .LBB24_24
.LBB24_23:                              ;   in Loop: Header=BB24_11 Depth=1
	ds_read_b32 v3, v24
	s_waitcnt lgkmcnt(0)
	global_store_dword v[14:15], v3, off
.LBB24_24:                              ;   in Loop: Header=BB24_11 Depth=1
	s_or_b64 exec, exec, s[20:21]
	v_mov_b32_e32 v13, 1
	s_and_saveexec_b64 s[20:21], s[2:3]
	s_cbranch_execz .LBB24_9
; %bb.25:                               ;   in Loop: Header=BB24_11 Depth=1
	s_andn2_b64 vcc, exec, s[14:15]
	s_cbranch_vccnz .LBB24_28
; %bb.26:                               ;   in Loop: Header=BB24_11 Depth=1
	ds_read_b32 v3, v24 offset:64
	v_lshl_add_u64 v[16:17], v[10:11], 2, v[16:17]
	s_mov_b32 s6, 1
	s_waitcnt lgkmcnt(0)
	global_store_dword v[16:17], v3, off
	s_cbranch_execnz .LBB24_8
	s_branch .LBB24_29
.LBB24_27:                              ;   in Loop: Header=BB24_11 Depth=1
	s_branch .LBB24_23
.LBB24_28:                              ;   in Loop: Header=BB24_11 Depth=1
                                        ; implicit-def: $sgpr6
.LBB24_29:                              ;   in Loop: Header=BB24_11 Depth=1
	ds_read_b32 v3, v24 offset:64
	s_mov_b32 s6, 1
	s_waitcnt lgkmcnt(0)
	global_store_dword v[14:15], v3, off offset:64
	s_branch .LBB24_8
.LBB24_30:
	s_endpgm
	.section	.rodata,"a",@progbits
	.p2align	6, 0x0
	.amdhsa_kernel _ZN9rocsparseL44csr2gebsr_wavefront_per_row_multipass_kernelILi256ELi2ELi32ELi32EfEEv20rocsparse_direction_iiiiii21rocsparse_index_base_PKT3_PKiS7_S2_PS3_PiS9_
		.amdhsa_group_segment_fixed_size 2056
		.amdhsa_private_segment_fixed_size 0
		.amdhsa_kernarg_size 88
		.amdhsa_user_sgpr_count 2
		.amdhsa_user_sgpr_dispatch_ptr 0
		.amdhsa_user_sgpr_queue_ptr 0
		.amdhsa_user_sgpr_kernarg_segment_ptr 1
		.amdhsa_user_sgpr_dispatch_id 0
		.amdhsa_user_sgpr_kernarg_preload_length 0
		.amdhsa_user_sgpr_kernarg_preload_offset 0
		.amdhsa_user_sgpr_private_segment_size 0
		.amdhsa_uses_dynamic_stack 0
		.amdhsa_enable_private_segment 0
		.amdhsa_system_sgpr_workgroup_id_x 1
		.amdhsa_system_sgpr_workgroup_id_y 0
		.amdhsa_system_sgpr_workgroup_id_z 0
		.amdhsa_system_sgpr_workgroup_info 0
		.amdhsa_system_vgpr_workitem_id 0
		.amdhsa_next_free_vgpr 36
		.amdhsa_next_free_sgpr 32
		.amdhsa_accum_offset 36
		.amdhsa_reserve_vcc 1
		.amdhsa_float_round_mode_32 0
		.amdhsa_float_round_mode_16_64 0
		.amdhsa_float_denorm_mode_32 3
		.amdhsa_float_denorm_mode_16_64 3
		.amdhsa_dx10_clamp 1
		.amdhsa_ieee_mode 1
		.amdhsa_fp16_overflow 0
		.amdhsa_tg_split 0
		.amdhsa_exception_fp_ieee_invalid_op 0
		.amdhsa_exception_fp_denorm_src 0
		.amdhsa_exception_fp_ieee_div_zero 0
		.amdhsa_exception_fp_ieee_overflow 0
		.amdhsa_exception_fp_ieee_underflow 0
		.amdhsa_exception_fp_ieee_inexact 0
		.amdhsa_exception_int_div_zero 0
	.end_amdhsa_kernel
	.section	.text._ZN9rocsparseL44csr2gebsr_wavefront_per_row_multipass_kernelILi256ELi2ELi32ELi32EfEEv20rocsparse_direction_iiiiii21rocsparse_index_base_PKT3_PKiS7_S2_PS3_PiS9_,"axG",@progbits,_ZN9rocsparseL44csr2gebsr_wavefront_per_row_multipass_kernelILi256ELi2ELi32ELi32EfEEv20rocsparse_direction_iiiiii21rocsparse_index_base_PKT3_PKiS7_S2_PS3_PiS9_,comdat
.Lfunc_end24:
	.size	_ZN9rocsparseL44csr2gebsr_wavefront_per_row_multipass_kernelILi256ELi2ELi32ELi32EfEEv20rocsparse_direction_iiiiii21rocsparse_index_base_PKT3_PKiS7_S2_PS3_PiS9_, .Lfunc_end24-_ZN9rocsparseL44csr2gebsr_wavefront_per_row_multipass_kernelILi256ELi2ELi32ELi32EfEEv20rocsparse_direction_iiiiii21rocsparse_index_base_PKT3_PKiS7_S2_PS3_PiS9_
                                        ; -- End function
	.section	.AMDGPU.csdata,"",@progbits
; Kernel info:
; codeLenInByte = 1376
; NumSgprs: 38
; NumVgprs: 36
; NumAgprs: 0
; TotalNumVgprs: 36
; ScratchSize: 0
; MemoryBound: 0
; FloatMode: 240
; IeeeMode: 1
; LDSByteSize: 2056 bytes/workgroup (compile time only)
; SGPRBlocks: 4
; VGPRBlocks: 4
; NumSGPRsForWavesPerEU: 38
; NumVGPRsForWavesPerEU: 36
; AccumOffset: 36
; Occupancy: 8
; WaveLimiterHint : 0
; COMPUTE_PGM_RSRC2:SCRATCH_EN: 0
; COMPUTE_PGM_RSRC2:USER_SGPR: 2
; COMPUTE_PGM_RSRC2:TRAP_HANDLER: 0
; COMPUTE_PGM_RSRC2:TGID_X_EN: 1
; COMPUTE_PGM_RSRC2:TGID_Y_EN: 0
; COMPUTE_PGM_RSRC2:TGID_Z_EN: 0
; COMPUTE_PGM_RSRC2:TIDIG_COMP_CNT: 0
; COMPUTE_PGM_RSRC3_GFX90A:ACCUM_OFFSET: 8
; COMPUTE_PGM_RSRC3_GFX90A:TG_SPLIT: 0
	.section	.text._ZN9rocsparseL44csr2gebsr_wavefront_per_row_multipass_kernelILi256ELi2ELi64ELi64EfEEv20rocsparse_direction_iiiiii21rocsparse_index_base_PKT3_PKiS7_S2_PS3_PiS9_,"axG",@progbits,_ZN9rocsparseL44csr2gebsr_wavefront_per_row_multipass_kernelILi256ELi2ELi64ELi64EfEEv20rocsparse_direction_iiiiii21rocsparse_index_base_PKT3_PKiS7_S2_PS3_PiS9_,comdat
	.globl	_ZN9rocsparseL44csr2gebsr_wavefront_per_row_multipass_kernelILi256ELi2ELi64ELi64EfEEv20rocsparse_direction_iiiiii21rocsparse_index_base_PKT3_PKiS7_S2_PS3_PiS9_ ; -- Begin function _ZN9rocsparseL44csr2gebsr_wavefront_per_row_multipass_kernelILi256ELi2ELi64ELi64EfEEv20rocsparse_direction_iiiiii21rocsparse_index_base_PKT3_PKiS7_S2_PS3_PiS9_
	.p2align	8
	.type	_ZN9rocsparseL44csr2gebsr_wavefront_per_row_multipass_kernelILi256ELi2ELi64ELi64EfEEv20rocsparse_direction_iiiiii21rocsparse_index_base_PKT3_PKiS7_S2_PS3_PiS9_,@function
_ZN9rocsparseL44csr2gebsr_wavefront_per_row_multipass_kernelILi256ELi2ELi64ELi64EfEEv20rocsparse_direction_iiiiii21rocsparse_index_base_PKT3_PKiS7_S2_PS3_PiS9_: ; @_ZN9rocsparseL44csr2gebsr_wavefront_per_row_multipass_kernelILi256ELi2ELi64ELi64EfEEv20rocsparse_direction_iiiiii21rocsparse_index_base_PKT3_PKiS7_S2_PS3_PiS9_
; %bb.0:
	s_load_dwordx2 s[14:15], s[0:1], 0x0
	s_load_dwordx4 s[4:7], s[0:1], 0xc
	s_load_dword s26, s[0:1], 0x1c
	s_load_dwordx2 s[8:9], s[0:1], 0x28
	v_lshrrev_b32_e32 v18, 6, v0
	v_bfe_u32 v6, v0, 5, 1
	v_lshl_or_b32 v4, s2, 2, v18
	s_waitcnt lgkmcnt(0)
	v_mad_u64_u32 v[2:3], s[2:3], v4, s6, v[6:7]
	v_cmp_gt_i32_e64 s[2:3], s15, v2
	v_cmp_gt_i32_e32 vcc, s6, v6
	s_and_b64 s[2:3], vcc, s[2:3]
	v_mov_b32_e32 v19, 0
	v_mov_b32_e32 v12, 0
	s_and_saveexec_b64 s[10:11], s[2:3]
	s_cbranch_execz .LBB25_2
; %bb.1:
	v_ashrrev_i32_e32 v3, 31, v2
	v_lshl_add_u64 v[8:9], v[2:3], 2, s[8:9]
	global_load_dword v1, v[8:9], off
	s_waitcnt vmcnt(0)
	v_subrev_u32_e32 v12, s26, v1
.LBB25_2:
	s_or_b64 exec, exec, s[10:11]
	s_and_saveexec_b64 s[10:11], s[2:3]
	s_cbranch_execz .LBB25_4
; %bb.3:
	v_ashrrev_i32_e32 v3, 31, v2
	v_lshl_add_u64 v[2:3], v[2:3], 2, s[8:9]
	global_load_dword v1, v[2:3], off offset:4
	s_waitcnt vmcnt(0)
	v_subrev_u32_e32 v19, s26, v1
.LBB25_4:
	s_or_b64 exec, exec, s[10:11]
	s_load_dword s27, s[0:1], 0x38
	v_cmp_gt_i32_e64 s[2:3], s4, v4
	v_mov_b32_e32 v2, 0
	s_and_saveexec_b64 s[8:9], s[2:3]
	s_cbranch_execz .LBB25_6
; %bb.5:
	s_load_dwordx2 s[2:3], s[0:1], 0x48
	v_ashrrev_i32_e32 v5, 31, v4
	s_waitcnt lgkmcnt(0)
	v_lshl_add_u64 v[2:3], v[4:5], 2, s[2:3]
	global_load_dword v1, v[2:3], off
	s_waitcnt vmcnt(0)
	v_subrev_u32_e32 v2, s27, v1
.LBB25_6:
	s_or_b64 exec, exec, s[8:9]
	s_cmp_lt_i32 s5, 1
	s_cbranch_scc1 .LBB25_30
; %bb.7:
	v_lshlrev_b32_e32 v1, 7, v18
	v_lshl_or_b32 v20, v6, 6, v1
	v_mbcnt_lo_u32_b32 v1, -1, 0
	v_mbcnt_hi_u32_b32 v1, -1, v1
	s_cmp_lg_u32 s14, 0
	v_lshlrev_b32_e32 v3, 2, v1
	s_cselect_b64 s[14:15], -1, 0
	s_abs_i32 s30, s7
	v_or_b32_e32 v22, 0x7c, v3
	v_or_b32_e32 v23, 0xfc, v3
	v_cvt_f32_u32_e32 v3, s30
	s_load_dwordx2 s[8:9], s[0:1], 0x20
	s_load_dwordx2 s[10:11], s[0:1], 0x50
	;; [unrolled: 1-line block ×4, first 2 shown]
	s_ashr_i32 s4, s7, 31
	v_and_b32_e32 v0, 31, v0
	v_rcp_iflag_f32_e32 v3, v3
	s_mul_hi_u32 s0, s7, s6
	s_mul_i32 s1, s4, s6
	s_add_i32 s28, s0, s1
	v_mul_f32_e32 v3, 0x4f7ffffe, v3
	v_cvt_u32_f32_e32 v3, v3
	v_lshlrev_b32_e32 v4, 2, v6
	v_mul_lo_u32 v6, v6, s7
	v_cmp_gt_u32_e64 s[0:1], s7, v0
	v_or_b32_e32 v10, v20, v0
	v_mov_b32_e32 v1, 0
	v_ashrrev_i32_e32 v7, 31, v6
	s_and_b64 s[16:17], s[0:1], vcc
	s_sub_i32 s0, 0, s30
	v_mov_b32_e32 v5, v1
	s_waitcnt lgkmcnt(0)
	v_lshl_add_u64 v[6:7], v[6:7], 2, s[2:3]
	v_lshlrev_b32_e32 v8, 2, v0
	v_mov_b32_e32 v9, v1
	v_lshlrev_b32_e32 v24, 2, v10
	v_or_b32_e32 v10, 32, v0
	v_mul_lo_u32 v13, s0, v3
	v_lshl_add_u64 v[4:5], s[2:3], 0, v[4:5]
	v_lshl_add_u64 v[6:7], v[6:7], 0, v[8:9]
	v_mul_lo_u32 v8, v0, s6
	v_cmp_gt_u32_e64 s[2:3], s7, v10
	v_mul_hi_u32 v13, v3, v13
	v_mov_b32_e32 v21, 0
	s_mul_i32 s29, s7, s6
	v_lshl_add_u32 v10, s6, 5, v8
	v_mov_b32_e32 v11, v1
	v_or_b32_e32 v25, 0x80, v24
	s_and_b64 s[2:3], vcc, s[2:3]
	v_add_u32_e32 v26, v3, v13
	s_mov_b64 s[18:19], 0
	s_mov_b64 s[20:21], 0x80
	v_mov_b32_e32 v27, 1
	v_mov_b32_e32 v3, 0
	s_branch .LBB25_11
.LBB25_8:                               ;   in Loop: Header=BB25_11 Depth=1
	v_mov_b32_e32 v13, s6
.LBB25_9:                               ;   in Loop: Header=BB25_11 Depth=1
	s_or_b64 exec, exec, s[22:23]
.LBB25_10:                              ;   in Loop: Header=BB25_11 Depth=1
	s_or_b64 exec, exec, s[0:1]
	v_mov_b32_dpp v3, v28 row_shr:1 row_mask:0xf bank_mask:0xf
	v_min_i32_e32 v3, v3, v28
	v_add_u32_e32 v2, v13, v2
	s_waitcnt lgkmcnt(0)
	v_mov_b32_dpp v14, v3 row_shr:2 row_mask:0xf bank_mask:0xf
	v_min_i32_e32 v3, v14, v3
	s_nop 1
	v_mov_b32_dpp v14, v3 row_shr:4 row_mask:0xf bank_mask:0xe
	v_min_i32_e32 v3, v14, v3
	s_nop 1
	;; [unrolled: 3-line block ×3, first 2 shown]
	v_mov_b32_dpp v14, v3 row_bcast:15 row_mask:0xa bank_mask:0xf
	v_min_i32_e32 v3, v14, v3
	s_nop 1
	v_mov_b32_dpp v14, v3 row_bcast:31 row_mask:0xc bank_mask:0xf
	v_min_i32_e32 v3, v14, v3
	ds_bpermute_b32 v3, v23, v3
	s_waitcnt lgkmcnt(0)
	v_cmp_le_i32_e32 vcc, s5, v3
	s_or_b64 s[18:19], vcc, s[18:19]
	s_andn2_b64 exec, exec, s[18:19]
	s_cbranch_execz .LBB25_30
.LBB25_11:                              ; =>This Loop Header: Depth=1
                                        ;     Child Loop BB25_14 Depth 2
	v_add_u32_e32 v16, v12, v0
	v_cmp_lt_i32_e32 vcc, v16, v19
	v_mov_b32_e32 v28, s5
	v_mov_b32_e32 v29, v19
	ds_write_b8 v18, v21 offset:2048
	ds_write_b32 v24, v1
	ds_write_b32 v25, v1
	s_waitcnt lgkmcnt(0)
	s_and_saveexec_b64 s[22:23], vcc
	s_cbranch_execz .LBB25_19
; %bb.12:                               ;   in Loop: Header=BB25_11 Depth=1
	v_ashrrev_i32_e32 v13, 31, v12
	v_lshl_add_u64 v[12:13], v[0:1], 0, v[12:13]
	v_lshlrev_b64 v[14:15], 2, v[12:13]
	v_mul_lo_u32 v17, v3, s7
	v_lshl_add_u64 v[12:13], s[12:13], 0, v[14:15]
	v_lshl_add_u64 v[14:15], s[8:9], 0, v[14:15]
	s_mov_b64 s[24:25], 0
	v_mov_b32_e32 v28, s5
	v_mov_b32_e32 v29, v19
	s_branch .LBB25_14
.LBB25_13:                              ;   in Loop: Header=BB25_14 Depth=2
	s_or_b64 exec, exec, s[0:1]
	v_add_u32_e32 v16, 32, v16
	v_cmp_ge_i32_e64 s[0:1], v16, v19
	s_xor_b64 s[34:35], vcc, -1
	s_or_b64 s[0:1], s[34:35], s[0:1]
	s_and_b64 s[0:1], exec, s[0:1]
	v_lshl_add_u64 v[12:13], v[12:13], 0, s[20:21]
	s_or_b64 s[24:25], s[0:1], s[24:25]
	v_lshl_add_u64 v[14:15], v[14:15], 0, s[20:21]
	s_andn2_b64 exec, exec, s[24:25]
	s_cbranch_execz .LBB25_18
.LBB25_14:                              ;   Parent Loop BB25_11 Depth=1
                                        ; =>  This Inner Loop Header: Depth=2
	global_load_dword v30, v[12:13], off
	s_waitcnt vmcnt(0)
	v_subrev_u32_e32 v30, s26, v30
	v_sub_u32_e32 v32, 0, v30
	v_max_i32_e32 v32, v30, v32
	v_mul_hi_u32 v33, v32, v26
	v_mul_lo_u32 v34, v33, s30
	v_sub_u32_e32 v32, v32, v34
	v_add_u32_e32 v35, 1, v33
	v_cmp_le_u32_e32 vcc, s30, v32
	v_subrev_u32_e32 v34, s30, v32
	v_ashrrev_i32_e32 v31, 31, v30
	v_cndmask_b32_e32 v33, v33, v35, vcc
	v_cndmask_b32_e32 v32, v32, v34, vcc
	v_add_u32_e32 v34, 1, v33
	v_cmp_le_u32_e32 vcc, s30, v32
	v_xor_b32_e32 v31, s4, v31
	s_nop 0
	v_cndmask_b32_e32 v32, v33, v34, vcc
	v_xor_b32_e32 v32, v32, v31
	v_sub_u32_e32 v32, v32, v31
	v_cmp_eq_u32_e32 vcc, v32, v3
	v_cmp_ne_u32_e64 s[0:1], v32, v3
	v_mov_b32_e32 v31, v29
	s_and_saveexec_b64 s[34:35], s[0:1]
	s_xor_b64 s[0:1], exec, s[34:35]
; %bb.15:                               ;   in Loop: Header=BB25_14 Depth=2
	v_min_i32_e32 v28, v32, v28
                                        ; implicit-def: $vgpr30
                                        ; implicit-def: $vgpr31
; %bb.16:                               ;   in Loop: Header=BB25_14 Depth=2
	s_or_saveexec_b64 s[0:1], s[0:1]
	v_mov_b32_e32 v29, v16
	s_xor_b64 exec, exec, s[0:1]
	s_cbranch_execz .LBB25_13
; %bb.17:                               ;   in Loop: Header=BB25_14 Depth=2
	global_load_dword v29, v[14:15], off
	v_sub_u32_e32 v30, v30, v17
	v_add_lshl_u32 v30, v20, v30, 2
	ds_write_b8 v18, v27 offset:2048
	s_waitcnt vmcnt(0)
	ds_write_b32 v30, v29
	v_mov_b32_e32 v29, v31
	s_branch .LBB25_13
.LBB25_18:                              ;   in Loop: Header=BB25_11 Depth=1
	s_or_b64 exec, exec, s[24:25]
.LBB25_19:                              ;   in Loop: Header=BB25_11 Depth=1
	s_or_b64 exec, exec, s[22:23]
	v_mov_b32_dpp v12, v29 row_shr:1 row_mask:0xf bank_mask:0xf
	v_min_i32_e32 v12, v12, v29
	s_waitcnt lgkmcnt(0)
	s_nop 0
	v_mov_b32_dpp v13, v12 row_shr:2 row_mask:0xf bank_mask:0xf
	v_min_i32_e32 v12, v13, v12
	s_nop 1
	v_mov_b32_dpp v13, v12 row_shr:4 row_mask:0xf bank_mask:0xe
	v_min_i32_e32 v12, v13, v12
	;; [unrolled: 3-line block ×3, first 2 shown]
	ds_read_u8 v13, v18 offset:2048
	s_waitcnt lgkmcnt(0)
	v_and_b32_e32 v13, 1, v13
	v_mov_b32_dpp v14, v12 row_bcast:15 row_mask:0xa bank_mask:0xf
	v_min_i32_e32 v12, v14, v12
	ds_bpermute_b32 v12, v22, v12
	v_cmp_eq_u32_e32 vcc, 1, v13
	v_mov_b32_e32 v13, 0
	s_and_saveexec_b64 s[0:1], vcc
	s_cbranch_execz .LBB25_10
; %bb.20:                               ;   in Loop: Header=BB25_11 Depth=1
	v_add_u32_e32 v13, s27, v3
	v_ashrrev_i32_e32 v3, 31, v2
	v_lshl_add_u64 v[14:15], v[2:3], 2, s[10:11]
	global_store_dword v[14:15], v13, off
	v_mul_lo_u32 v13, s28, v2
	v_mul_lo_u32 v3, s29, v3
	v_mad_u64_u32 v[14:15], s[22:23], s29, v2, 0
	v_add3_u32 v15, v15, v3, v13
	v_lshlrev_b64 v[14:15], 2, v[14:15]
	v_lshl_add_u64 v[16:17], v[4:5], 0, v[14:15]
	v_lshl_add_u64 v[14:15], v[6:7], 0, v[14:15]
	s_and_saveexec_b64 s[22:23], s[16:17]
	s_cbranch_execz .LBB25_24
; %bb.21:                               ;   in Loop: Header=BB25_11 Depth=1
	s_and_b64 vcc, exec, s[14:15]
	s_cbranch_vccz .LBB25_27
; %bb.22:                               ;   in Loop: Header=BB25_11 Depth=1
	ds_read_b32 v3, v24
	v_lshl_add_u64 v[30:31], v[8:9], 2, v[16:17]
	s_waitcnt lgkmcnt(0)
	global_store_dword v[30:31], v3, off
	s_cbranch_execnz .LBB25_24
.LBB25_23:                              ;   in Loop: Header=BB25_11 Depth=1
	ds_read_b32 v3, v24
	s_waitcnt lgkmcnt(0)
	global_store_dword v[14:15], v3, off
.LBB25_24:                              ;   in Loop: Header=BB25_11 Depth=1
	s_or_b64 exec, exec, s[22:23]
	v_mov_b32_e32 v13, 1
	s_and_saveexec_b64 s[22:23], s[2:3]
	s_cbranch_execz .LBB25_9
; %bb.25:                               ;   in Loop: Header=BB25_11 Depth=1
	s_andn2_b64 vcc, exec, s[14:15]
	s_cbranch_vccnz .LBB25_28
; %bb.26:                               ;   in Loop: Header=BB25_11 Depth=1
	ds_read_b32 v3, v24 offset:128
	v_lshl_add_u64 v[16:17], v[10:11], 2, v[16:17]
	s_mov_b32 s6, 1
	s_waitcnt lgkmcnt(0)
	global_store_dword v[16:17], v3, off
	s_cbranch_execnz .LBB25_8
	s_branch .LBB25_29
.LBB25_27:                              ;   in Loop: Header=BB25_11 Depth=1
	s_branch .LBB25_23
.LBB25_28:                              ;   in Loop: Header=BB25_11 Depth=1
                                        ; implicit-def: $sgpr6
.LBB25_29:                              ;   in Loop: Header=BB25_11 Depth=1
	ds_read_b32 v3, v24 offset:128
	s_mov_b32 s6, 1
	s_waitcnt lgkmcnt(0)
	global_store_dword v[14:15], v3, off offset:128
	s_branch .LBB25_8
.LBB25_30:
	s_endpgm
	.section	.rodata,"a",@progbits
	.p2align	6, 0x0
	.amdhsa_kernel _ZN9rocsparseL44csr2gebsr_wavefront_per_row_multipass_kernelILi256ELi2ELi64ELi64EfEEv20rocsparse_direction_iiiiii21rocsparse_index_base_PKT3_PKiS7_S2_PS3_PiS9_
		.amdhsa_group_segment_fixed_size 2052
		.amdhsa_private_segment_fixed_size 0
		.amdhsa_kernarg_size 88
		.amdhsa_user_sgpr_count 2
		.amdhsa_user_sgpr_dispatch_ptr 0
		.amdhsa_user_sgpr_queue_ptr 0
		.amdhsa_user_sgpr_kernarg_segment_ptr 1
		.amdhsa_user_sgpr_dispatch_id 0
		.amdhsa_user_sgpr_kernarg_preload_length 0
		.amdhsa_user_sgpr_kernarg_preload_offset 0
		.amdhsa_user_sgpr_private_segment_size 0
		.amdhsa_uses_dynamic_stack 0
		.amdhsa_enable_private_segment 0
		.amdhsa_system_sgpr_workgroup_id_x 1
		.amdhsa_system_sgpr_workgroup_id_y 0
		.amdhsa_system_sgpr_workgroup_id_z 0
		.amdhsa_system_sgpr_workgroup_info 0
		.amdhsa_system_vgpr_workitem_id 0
		.amdhsa_next_free_vgpr 36
		.amdhsa_next_free_sgpr 36
		.amdhsa_accum_offset 36
		.amdhsa_reserve_vcc 1
		.amdhsa_float_round_mode_32 0
		.amdhsa_float_round_mode_16_64 0
		.amdhsa_float_denorm_mode_32 3
		.amdhsa_float_denorm_mode_16_64 3
		.amdhsa_dx10_clamp 1
		.amdhsa_ieee_mode 1
		.amdhsa_fp16_overflow 0
		.amdhsa_tg_split 0
		.amdhsa_exception_fp_ieee_invalid_op 0
		.amdhsa_exception_fp_denorm_src 0
		.amdhsa_exception_fp_ieee_div_zero 0
		.amdhsa_exception_fp_ieee_overflow 0
		.amdhsa_exception_fp_ieee_underflow 0
		.amdhsa_exception_fp_ieee_inexact 0
		.amdhsa_exception_int_div_zero 0
	.end_amdhsa_kernel
	.section	.text._ZN9rocsparseL44csr2gebsr_wavefront_per_row_multipass_kernelILi256ELi2ELi64ELi64EfEEv20rocsparse_direction_iiiiii21rocsparse_index_base_PKT3_PKiS7_S2_PS3_PiS9_,"axG",@progbits,_ZN9rocsparseL44csr2gebsr_wavefront_per_row_multipass_kernelILi256ELi2ELi64ELi64EfEEv20rocsparse_direction_iiiiii21rocsparse_index_base_PKT3_PKiS7_S2_PS3_PiS9_,comdat
.Lfunc_end25:
	.size	_ZN9rocsparseL44csr2gebsr_wavefront_per_row_multipass_kernelILi256ELi2ELi64ELi64EfEEv20rocsparse_direction_iiiiii21rocsparse_index_base_PKT3_PKiS7_S2_PS3_PiS9_, .Lfunc_end25-_ZN9rocsparseL44csr2gebsr_wavefront_per_row_multipass_kernelILi256ELi2ELi64ELi64EfEEv20rocsparse_direction_iiiiii21rocsparse_index_base_PKT3_PKiS7_S2_PS3_PiS9_
                                        ; -- End function
	.section	.AMDGPU.csdata,"",@progbits
; Kernel info:
; codeLenInByte = 1424
; NumSgprs: 42
; NumVgprs: 36
; NumAgprs: 0
; TotalNumVgprs: 36
; ScratchSize: 0
; MemoryBound: 0
; FloatMode: 240
; IeeeMode: 1
; LDSByteSize: 2052 bytes/workgroup (compile time only)
; SGPRBlocks: 5
; VGPRBlocks: 4
; NumSGPRsForWavesPerEU: 42
; NumVGPRsForWavesPerEU: 36
; AccumOffset: 36
; Occupancy: 8
; WaveLimiterHint : 0
; COMPUTE_PGM_RSRC2:SCRATCH_EN: 0
; COMPUTE_PGM_RSRC2:USER_SGPR: 2
; COMPUTE_PGM_RSRC2:TRAP_HANDLER: 0
; COMPUTE_PGM_RSRC2:TGID_X_EN: 1
; COMPUTE_PGM_RSRC2:TGID_Y_EN: 0
; COMPUTE_PGM_RSRC2:TGID_Z_EN: 0
; COMPUTE_PGM_RSRC2:TIDIG_COMP_CNT: 0
; COMPUTE_PGM_RSRC3_GFX90A:ACCUM_OFFSET: 8
; COMPUTE_PGM_RSRC3_GFX90A:TG_SPLIT: 0
	.section	.text._ZN9rocsparseL44csr2gebsr_wavefront_per_row_multipass_kernelILi256ELi2ELi64ELi32EfEEv20rocsparse_direction_iiiiii21rocsparse_index_base_PKT3_PKiS7_S2_PS3_PiS9_,"axG",@progbits,_ZN9rocsparseL44csr2gebsr_wavefront_per_row_multipass_kernelILi256ELi2ELi64ELi32EfEEv20rocsparse_direction_iiiiii21rocsparse_index_base_PKT3_PKiS7_S2_PS3_PiS9_,comdat
	.globl	_ZN9rocsparseL44csr2gebsr_wavefront_per_row_multipass_kernelILi256ELi2ELi64ELi32EfEEv20rocsparse_direction_iiiiii21rocsparse_index_base_PKT3_PKiS7_S2_PS3_PiS9_ ; -- Begin function _ZN9rocsparseL44csr2gebsr_wavefront_per_row_multipass_kernelILi256ELi2ELi64ELi32EfEEv20rocsparse_direction_iiiiii21rocsparse_index_base_PKT3_PKiS7_S2_PS3_PiS9_
	.p2align	8
	.type	_ZN9rocsparseL44csr2gebsr_wavefront_per_row_multipass_kernelILi256ELi2ELi64ELi32EfEEv20rocsparse_direction_iiiiii21rocsparse_index_base_PKT3_PKiS7_S2_PS3_PiS9_,@function
_ZN9rocsparseL44csr2gebsr_wavefront_per_row_multipass_kernelILi256ELi2ELi64ELi32EfEEv20rocsparse_direction_iiiiii21rocsparse_index_base_PKT3_PKiS7_S2_PS3_PiS9_: ; @_ZN9rocsparseL44csr2gebsr_wavefront_per_row_multipass_kernelILi256ELi2ELi64ELi32EfEEv20rocsparse_direction_iiiiii21rocsparse_index_base_PKT3_PKiS7_S2_PS3_PiS9_
; %bb.0:
	s_load_dwordx2 s[4:5], s[0:1], 0x0
	s_load_dwordx4 s[8:11], s[0:1], 0xc
	s_load_dword s30, s[0:1], 0x1c
	s_load_dwordx2 s[6:7], s[0:1], 0x28
	v_lshrrev_b32_e32 v22, 5, v0
	v_bfe_u32 v6, v0, 4, 1
	v_lshl_or_b32 v4, s2, 3, v22
	s_waitcnt lgkmcnt(0)
	v_mad_u64_u32 v[2:3], s[2:3], v4, s10, v[6:7]
	v_cmp_gt_i32_e64 s[2:3], s5, v2
	v_cmp_gt_i32_e32 vcc, s10, v6
	s_and_b64 s[2:3], vcc, s[2:3]
	v_mov_b32_e32 v23, 0
	v_mov_b32_e32 v16, 0
	s_and_saveexec_b64 s[12:13], s[2:3]
	s_cbranch_execz .LBB26_2
; %bb.1:
	v_ashrrev_i32_e32 v3, 31, v2
	v_lshl_add_u64 v[8:9], v[2:3], 2, s[6:7]
	global_load_dword v1, v[8:9], off
	s_waitcnt vmcnt(0)
	v_subrev_u32_e32 v16, s30, v1
.LBB26_2:
	s_or_b64 exec, exec, s[12:13]
	s_and_saveexec_b64 s[12:13], s[2:3]
	s_cbranch_execz .LBB26_4
; %bb.3:
	v_ashrrev_i32_e32 v3, 31, v2
	v_lshl_add_u64 v[2:3], v[2:3], 2, s[6:7]
	global_load_dword v1, v[2:3], off offset:4
	s_waitcnt vmcnt(0)
	v_subrev_u32_e32 v23, s30, v1
.LBB26_4:
	s_or_b64 exec, exec, s[12:13]
	s_load_dword s31, s[0:1], 0x38
	v_cmp_gt_i32_e64 s[2:3], s8, v4
	v_mov_b32_e32 v2, 0
	s_and_saveexec_b64 s[6:7], s[2:3]
	s_cbranch_execz .LBB26_6
; %bb.5:
	s_load_dwordx2 s[2:3], s[0:1], 0x48
	v_ashrrev_i32_e32 v5, 31, v4
	s_waitcnt lgkmcnt(0)
	v_lshl_add_u64 v[2:3], v[4:5], 2, s[2:3]
	global_load_dword v1, v[2:3], off
	s_waitcnt vmcnt(0)
	v_subrev_u32_e32 v2, s31, v1
.LBB26_6:
	s_or_b64 exec, exec, s[6:7]
	s_cmp_lt_i32 s9, 1
	s_cbranch_scc1 .LBB26_40
; %bb.7:
	s_load_dwordx2 s[12:13], s[0:1], 0x20
	s_load_dwordx2 s[14:15], s[0:1], 0x50
	;; [unrolled: 1-line block ×4, first 2 shown]
	v_lshlrev_b32_e32 v1, 7, v22
	v_lshl_or_b32 v24, v6, 6, v1
	v_mbcnt_lo_u32_b32 v1, -1, 0
	v_mbcnt_hi_u32_b32 v1, -1, v1
	v_lshlrev_b32_e32 v4, 2, v6
	v_mul_lo_u32 v6, v6, s11
	v_and_b32_e32 v0, 15, v0
	v_lshlrev_b32_e32 v3, 2, v1
	s_cmp_lg_u32 s4, 0
	v_mov_b32_e32 v1, 0
	v_ashrrev_i32_e32 v7, 31, v6
	s_cselect_b64 s[18:19], -1, 0
	s_ashr_i32 s8, s11, 31
	s_waitcnt lgkmcnt(0)
	v_lshl_add_u64 v[6:7], v[6:7], 2, s[2:3]
	v_lshlrev_b32_e32 v8, 2, v0
	v_mov_b32_e32 v9, v1
	v_or_b32_e32 v10, v24, v0
	s_mul_hi_u32 s0, s11, s10
	s_mul_i32 s1, s8, s10
	s_mul_i32 s34, s11, s10
	v_lshl_add_u64 v[6:7], v[6:7], 0, v[8:9]
	v_mul_lo_u32 v8, v0, s10
	s_lshl_b32 s10, s10, 4
	v_or_b32_e32 v26, 60, v3
	v_mov_b32_e32 v5, v1
	v_or_b32_e32 v27, 0x7c, v3
	v_lshlrev_b32_e32 v28, 2, v10
	v_or_b32_e32 v3, 16, v0
	v_add_u32_e32 v10, s10, v8
	v_lshl_add_u64 v[4:5], s[2:3], 0, v[4:5]
	v_cmp_gt_u32_e64 s[2:3], s11, v3
	v_or_b32_e32 v3, 32, v0
	v_add_u32_e32 v12, s10, v10
	v_cmp_gt_u32_e64 s[4:5], s11, v3
	v_or_b32_e32 v3, 48, v0
	v_add_u32_e32 v14, s10, v12
	s_abs_i32 s10, s11
	v_cmp_gt_u32_e64 s[6:7], s11, v3
	v_cvt_f32_u32_e32 v3, s10
	s_add_i32 s33, s0, s1
	v_cmp_gt_u32_e64 s[0:1], s11, v0
	s_and_b64 s[20:21], s[0:1], vcc
	v_rcp_iflag_f32_e32 v3, v3
	s_sub_i32 s0, 0, s10
	v_mov_b32_e32 v25, 0
	v_mov_b32_e32 v11, v1
	v_mul_f32_e32 v3, 0x4f7ffffe, v3
	v_cvt_u32_f32_e32 v3, v3
	v_mov_b32_e32 v13, v1
	v_mov_b32_e32 v15, v1
	v_or_b32_e32 v29, 64, v28
	v_mul_lo_u32 v17, s0, v3
	v_mul_hi_u32 v17, v3, v17
	v_or_b32_e32 v30, 0x80, v28
	v_or_b32_e32 v31, 0xc0, v28
	s_and_b64 s[2:3], vcc, s[2:3]
	s_and_b64 s[4:5], vcc, s[4:5]
	s_and_b64 s[6:7], vcc, s[6:7]
	v_add_u32_e32 v32, v3, v17
	s_mov_b64 s[22:23], 0
	v_mov_b32_e32 v33, 1
	v_mov_b32_e32 v3, 0
	s_branch .LBB26_11
.LBB26_8:                               ;   in Loop: Header=BB26_11 Depth=1
	v_mov_b32_e32 v17, s28
.LBB26_9:                               ;   in Loop: Header=BB26_11 Depth=1
	s_or_b64 exec, exec, s[26:27]
.LBB26_10:                              ;   in Loop: Header=BB26_11 Depth=1
	s_or_b64 exec, exec, s[24:25]
	v_mov_b32_dpp v3, v34 row_shr:1 row_mask:0xf bank_mask:0xf
	v_min_i32_e32 v3, v3, v34
	v_add_u32_e32 v2, v17, v2
	s_waitcnt lgkmcnt(0)
	v_mov_b32_dpp v18, v3 row_shr:2 row_mask:0xf bank_mask:0xf
	v_min_i32_e32 v3, v18, v3
	s_nop 1
	v_mov_b32_dpp v18, v3 row_shr:4 row_mask:0xf bank_mask:0xe
	v_min_i32_e32 v3, v18, v3
	s_nop 1
	;; [unrolled: 3-line block ×3, first 2 shown]
	v_mov_b32_dpp v18, v3 row_bcast:15 row_mask:0xa bank_mask:0xf
	v_min_i32_e32 v3, v18, v3
	ds_bpermute_b32 v3, v27, v3
	s_waitcnt lgkmcnt(0)
	v_cmp_le_i32_e32 vcc, s9, v3
	s_or_b64 s[22:23], vcc, s[22:23]
	s_andn2_b64 exec, exec, s[22:23]
	s_cbranch_execz .LBB26_40
.LBB26_11:                              ; =>This Loop Header: Depth=1
                                        ;     Child Loop BB26_14 Depth 2
	v_add_u32_e32 v20, v16, v0
	v_cmp_lt_i32_e32 vcc, v20, v23
	v_mov_b32_e32 v34, s9
	v_mov_b32_e32 v35, v23
	ds_write_b8 v22, v25 offset:4096
	ds_write_b32 v28, v1
	ds_write_b32 v29, v1
	;; [unrolled: 1-line block ×4, first 2 shown]
	s_waitcnt lgkmcnt(0)
	s_and_saveexec_b64 s[24:25], vcc
	s_cbranch_execz .LBB26_19
; %bb.12:                               ;   in Loop: Header=BB26_11 Depth=1
	v_ashrrev_i32_e32 v17, 31, v16
	v_lshl_add_u64 v[16:17], v[0:1], 0, v[16:17]
	v_lshlrev_b64 v[18:19], 2, v[16:17]
	v_mul_lo_u32 v21, v3, s11
	v_lshl_add_u64 v[16:17], s[16:17], 0, v[18:19]
	v_lshl_add_u64 v[18:19], s[12:13], 0, v[18:19]
	s_mov_b64 s[26:27], 0
	v_mov_b32_e32 v34, s9
	v_mov_b32_e32 v35, v23
	s_branch .LBB26_14
.LBB26_13:                              ;   in Loop: Header=BB26_14 Depth=2
	s_or_b64 exec, exec, s[0:1]
	v_add_u32_e32 v20, 16, v20
	v_cmp_ge_i32_e64 s[0:1], v20, v23
	s_xor_b64 s[28:29], vcc, -1
	s_or_b64 s[0:1], s[28:29], s[0:1]
	s_and_b64 s[0:1], exec, s[0:1]
	v_lshl_add_u64 v[16:17], v[16:17], 0, 64
	s_or_b64 s[26:27], s[0:1], s[26:27]
	v_lshl_add_u64 v[18:19], v[18:19], 0, 64
	s_andn2_b64 exec, exec, s[26:27]
	s_cbranch_execz .LBB26_18
.LBB26_14:                              ;   Parent Loop BB26_11 Depth=1
                                        ; =>  This Inner Loop Header: Depth=2
	global_load_dword v36, v[16:17], off
	s_waitcnt vmcnt(0)
	v_subrev_u32_e32 v36, s30, v36
	v_sub_u32_e32 v38, 0, v36
	v_max_i32_e32 v38, v36, v38
	v_mul_hi_u32 v39, v38, v32
	v_mul_lo_u32 v40, v39, s10
	v_sub_u32_e32 v38, v38, v40
	v_add_u32_e32 v41, 1, v39
	v_cmp_le_u32_e32 vcc, s10, v38
	v_subrev_u32_e32 v40, s10, v38
	v_ashrrev_i32_e32 v37, 31, v36
	v_cndmask_b32_e32 v39, v39, v41, vcc
	v_cndmask_b32_e32 v38, v38, v40, vcc
	v_add_u32_e32 v40, 1, v39
	v_cmp_le_u32_e32 vcc, s10, v38
	v_xor_b32_e32 v37, s8, v37
	s_nop 0
	v_cndmask_b32_e32 v38, v39, v40, vcc
	v_xor_b32_e32 v38, v38, v37
	v_sub_u32_e32 v38, v38, v37
	v_cmp_eq_u32_e32 vcc, v38, v3
	v_cmp_ne_u32_e64 s[0:1], v38, v3
	v_mov_b32_e32 v37, v35
	s_and_saveexec_b64 s[28:29], s[0:1]
	s_xor_b64 s[0:1], exec, s[28:29]
; %bb.15:                               ;   in Loop: Header=BB26_14 Depth=2
	v_min_i32_e32 v34, v38, v34
                                        ; implicit-def: $vgpr36
                                        ; implicit-def: $vgpr37
; %bb.16:                               ;   in Loop: Header=BB26_14 Depth=2
	s_or_saveexec_b64 s[0:1], s[0:1]
	v_mov_b32_e32 v35, v20
	s_xor_b64 exec, exec, s[0:1]
	s_cbranch_execz .LBB26_13
; %bb.17:                               ;   in Loop: Header=BB26_14 Depth=2
	global_load_dword v35, v[18:19], off
	v_sub_u32_e32 v36, v36, v21
	v_add_lshl_u32 v36, v24, v36, 2
	ds_write_b8 v22, v33 offset:4096
	s_waitcnt vmcnt(0)
	ds_write_b32 v36, v35
	v_mov_b32_e32 v35, v37
	s_branch .LBB26_13
.LBB26_18:                              ;   in Loop: Header=BB26_11 Depth=1
	s_or_b64 exec, exec, s[26:27]
.LBB26_19:                              ;   in Loop: Header=BB26_11 Depth=1
	s_or_b64 exec, exec, s[24:25]
	v_mov_b32_dpp v16, v35 row_shr:1 row_mask:0xf bank_mask:0xf
	v_min_i32_e32 v16, v16, v35
	s_waitcnt lgkmcnt(0)
	s_nop 0
	v_mov_b32_dpp v17, v16 row_shr:2 row_mask:0xf bank_mask:0xf
	v_min_i32_e32 v16, v17, v16
	s_nop 1
	v_mov_b32_dpp v17, v16 row_shr:4 row_mask:0xf bank_mask:0xe
	v_min_i32_e32 v16, v17, v16
	ds_read_u8 v17, v22 offset:4096
	s_waitcnt lgkmcnt(0)
	v_and_b32_e32 v17, 1, v17
	v_mov_b32_dpp v18, v16 row_shr:8 row_mask:0xf bank_mask:0xc
	v_min_i32_e32 v16, v18, v16
	ds_bpermute_b32 v16, v26, v16
	v_cmp_eq_u32_e32 vcc, 1, v17
	v_mov_b32_e32 v17, 0
	s_and_saveexec_b64 s[24:25], vcc
	s_cbranch_execz .LBB26_10
; %bb.20:                               ;   in Loop: Header=BB26_11 Depth=1
	v_add_u32_e32 v17, s31, v3
	v_ashrrev_i32_e32 v3, 31, v2
	v_lshl_add_u64 v[18:19], v[2:3], 2, s[14:15]
	global_store_dword v[18:19], v17, off
	v_mul_lo_u32 v17, s33, v2
	v_mul_lo_u32 v3, s34, v3
	v_mad_u64_u32 v[18:19], s[0:1], s34, v2, 0
	v_add3_u32 v19, v19, v3, v17
	v_lshlrev_b64 v[18:19], 2, v[18:19]
	v_lshl_add_u64 v[20:21], v[4:5], 0, v[18:19]
	v_lshl_add_u64 v[18:19], v[6:7], 0, v[18:19]
	s_and_saveexec_b64 s[0:1], s[20:21]
	s_cbranch_execz .LBB26_24
; %bb.21:                               ;   in Loop: Header=BB26_11 Depth=1
	s_and_b64 vcc, exec, s[18:19]
	s_cbranch_vccz .LBB26_35
; %bb.22:                               ;   in Loop: Header=BB26_11 Depth=1
	ds_read_b32 v3, v28
	v_lshl_add_u64 v[36:37], v[8:9], 2, v[20:21]
	s_waitcnt lgkmcnt(0)
	global_store_dword v[36:37], v3, off
	s_cbranch_execnz .LBB26_24
.LBB26_23:                              ;   in Loop: Header=BB26_11 Depth=1
	ds_read_b32 v3, v28
	s_waitcnt lgkmcnt(0)
	global_store_dword v[18:19], v3, off
.LBB26_24:                              ;   in Loop: Header=BB26_11 Depth=1
	s_or_b64 exec, exec, s[0:1]
	v_cndmask_b32_e64 v3, 0, 1, s[18:19]
	v_cmp_ne_u32_e64 s[0:1], 1, v3
	s_and_saveexec_b64 s[26:27], s[2:3]
	s_cbranch_execz .LBB26_28
; %bb.25:                               ;   in Loop: Header=BB26_11 Depth=1
	s_and_b64 vcc, exec, s[0:1]
	s_cbranch_vccnz .LBB26_36
; %bb.26:                               ;   in Loop: Header=BB26_11 Depth=1
	ds_read_b32 v3, v28 offset:64
	v_lshl_add_u64 v[36:37], v[10:11], 2, v[20:21]
	s_waitcnt lgkmcnt(0)
	global_store_dword v[36:37], v3, off
	s_cbranch_execnz .LBB26_28
.LBB26_27:                              ;   in Loop: Header=BB26_11 Depth=1
	ds_read_b32 v3, v28 offset:64
	s_waitcnt lgkmcnt(0)
	global_store_dword v[18:19], v3, off offset:64
.LBB26_28:                              ;   in Loop: Header=BB26_11 Depth=1
	s_or_b64 exec, exec, s[26:27]
	s_and_saveexec_b64 s[26:27], s[4:5]
	s_cbranch_execz .LBB26_32
; %bb.29:                               ;   in Loop: Header=BB26_11 Depth=1
	s_and_b64 vcc, exec, s[0:1]
	s_cbranch_vccnz .LBB26_37
; %bb.30:                               ;   in Loop: Header=BB26_11 Depth=1
	ds_read_b32 v3, v28 offset:128
	v_lshl_add_u64 v[36:37], v[12:13], 2, v[20:21]
	s_waitcnt lgkmcnt(0)
	global_store_dword v[36:37], v3, off
	s_cbranch_execnz .LBB26_32
.LBB26_31:                              ;   in Loop: Header=BB26_11 Depth=1
	ds_read_b32 v3, v28 offset:128
	s_waitcnt lgkmcnt(0)
	global_store_dword v[18:19], v3, off offset:128
.LBB26_32:                              ;   in Loop: Header=BB26_11 Depth=1
	s_or_b64 exec, exec, s[26:27]
	v_mov_b32_e32 v17, 1
	s_and_saveexec_b64 s[26:27], s[6:7]
	s_cbranch_execz .LBB26_9
; %bb.33:                               ;   in Loop: Header=BB26_11 Depth=1
	s_and_b64 vcc, exec, s[0:1]
	s_cbranch_vccnz .LBB26_38
; %bb.34:                               ;   in Loop: Header=BB26_11 Depth=1
	ds_read_b32 v3, v28 offset:192
	v_lshl_add_u64 v[20:21], v[14:15], 2, v[20:21]
	s_mov_b32 s28, 1
	s_waitcnt lgkmcnt(0)
	global_store_dword v[20:21], v3, off
	s_cbranch_execnz .LBB26_8
	s_branch .LBB26_39
.LBB26_35:                              ;   in Loop: Header=BB26_11 Depth=1
	s_branch .LBB26_23
.LBB26_36:                              ;   in Loop: Header=BB26_11 Depth=1
	s_branch .LBB26_27
.LBB26_37:                              ;   in Loop: Header=BB26_11 Depth=1
	s_branch .LBB26_31
.LBB26_38:                              ;   in Loop: Header=BB26_11 Depth=1
                                        ; implicit-def: $sgpr28
.LBB26_39:                              ;   in Loop: Header=BB26_11 Depth=1
	ds_read_b32 v3, v28 offset:192
	s_mov_b32 s28, 1
	s_waitcnt lgkmcnt(0)
	global_store_dword v[18:19], v3, off offset:192
	s_branch .LBB26_8
.LBB26_40:
	s_endpgm
	.section	.rodata,"a",@progbits
	.p2align	6, 0x0
	.amdhsa_kernel _ZN9rocsparseL44csr2gebsr_wavefront_per_row_multipass_kernelILi256ELi2ELi64ELi32EfEEv20rocsparse_direction_iiiiii21rocsparse_index_base_PKT3_PKiS7_S2_PS3_PiS9_
		.amdhsa_group_segment_fixed_size 4104
		.amdhsa_private_segment_fixed_size 0
		.amdhsa_kernarg_size 88
		.amdhsa_user_sgpr_count 2
		.amdhsa_user_sgpr_dispatch_ptr 0
		.amdhsa_user_sgpr_queue_ptr 0
		.amdhsa_user_sgpr_kernarg_segment_ptr 1
		.amdhsa_user_sgpr_dispatch_id 0
		.amdhsa_user_sgpr_kernarg_preload_length 0
		.amdhsa_user_sgpr_kernarg_preload_offset 0
		.amdhsa_user_sgpr_private_segment_size 0
		.amdhsa_uses_dynamic_stack 0
		.amdhsa_enable_private_segment 0
		.amdhsa_system_sgpr_workgroup_id_x 1
		.amdhsa_system_sgpr_workgroup_id_y 0
		.amdhsa_system_sgpr_workgroup_id_z 0
		.amdhsa_system_sgpr_workgroup_info 0
		.amdhsa_system_vgpr_workitem_id 0
		.amdhsa_next_free_vgpr 42
		.amdhsa_next_free_sgpr 35
		.amdhsa_accum_offset 44
		.amdhsa_reserve_vcc 1
		.amdhsa_float_round_mode_32 0
		.amdhsa_float_round_mode_16_64 0
		.amdhsa_float_denorm_mode_32 3
		.amdhsa_float_denorm_mode_16_64 3
		.amdhsa_dx10_clamp 1
		.amdhsa_ieee_mode 1
		.amdhsa_fp16_overflow 0
		.amdhsa_tg_split 0
		.amdhsa_exception_fp_ieee_invalid_op 0
		.amdhsa_exception_fp_denorm_src 0
		.amdhsa_exception_fp_ieee_div_zero 0
		.amdhsa_exception_fp_ieee_overflow 0
		.amdhsa_exception_fp_ieee_underflow 0
		.amdhsa_exception_fp_ieee_inexact 0
		.amdhsa_exception_int_div_zero 0
	.end_amdhsa_kernel
	.section	.text._ZN9rocsparseL44csr2gebsr_wavefront_per_row_multipass_kernelILi256ELi2ELi64ELi32EfEEv20rocsparse_direction_iiiiii21rocsparse_index_base_PKT3_PKiS7_S2_PS3_PiS9_,"axG",@progbits,_ZN9rocsparseL44csr2gebsr_wavefront_per_row_multipass_kernelILi256ELi2ELi64ELi32EfEEv20rocsparse_direction_iiiiii21rocsparse_index_base_PKT3_PKiS7_S2_PS3_PiS9_,comdat
.Lfunc_end26:
	.size	_ZN9rocsparseL44csr2gebsr_wavefront_per_row_multipass_kernelILi256ELi2ELi64ELi32EfEEv20rocsparse_direction_iiiiii21rocsparse_index_base_PKT3_PKiS7_S2_PS3_PiS9_, .Lfunc_end26-_ZN9rocsparseL44csr2gebsr_wavefront_per_row_multipass_kernelILi256ELi2ELi64ELi32EfEEv20rocsparse_direction_iiiiii21rocsparse_index_base_PKT3_PKiS7_S2_PS3_PiS9_
                                        ; -- End function
	.section	.AMDGPU.csdata,"",@progbits
; Kernel info:
; codeLenInByte = 1624
; NumSgprs: 41
; NumVgprs: 42
; NumAgprs: 0
; TotalNumVgprs: 42
; ScratchSize: 0
; MemoryBound: 0
; FloatMode: 240
; IeeeMode: 1
; LDSByteSize: 4104 bytes/workgroup (compile time only)
; SGPRBlocks: 5
; VGPRBlocks: 5
; NumSGPRsForWavesPerEU: 41
; NumVGPRsForWavesPerEU: 42
; AccumOffset: 44
; Occupancy: 8
; WaveLimiterHint : 0
; COMPUTE_PGM_RSRC2:SCRATCH_EN: 0
; COMPUTE_PGM_RSRC2:USER_SGPR: 2
; COMPUTE_PGM_RSRC2:TRAP_HANDLER: 0
; COMPUTE_PGM_RSRC2:TGID_X_EN: 1
; COMPUTE_PGM_RSRC2:TGID_Y_EN: 0
; COMPUTE_PGM_RSRC2:TGID_Z_EN: 0
; COMPUTE_PGM_RSRC2:TIDIG_COMP_CNT: 0
; COMPUTE_PGM_RSRC3_GFX90A:ACCUM_OFFSET: 10
; COMPUTE_PGM_RSRC3_GFX90A:TG_SPLIT: 0
	.section	.text._ZN9rocsparseL44csr2gebsr_wavefront_per_row_multipass_kernelILi256ELi4ELi2ELi8EfEEv20rocsparse_direction_iiiiii21rocsparse_index_base_PKT3_PKiS7_S2_PS3_PiS9_,"axG",@progbits,_ZN9rocsparseL44csr2gebsr_wavefront_per_row_multipass_kernelILi256ELi4ELi2ELi8EfEEv20rocsparse_direction_iiiiii21rocsparse_index_base_PKT3_PKiS7_S2_PS3_PiS9_,comdat
	.globl	_ZN9rocsparseL44csr2gebsr_wavefront_per_row_multipass_kernelILi256ELi4ELi2ELi8EfEEv20rocsparse_direction_iiiiii21rocsparse_index_base_PKT3_PKiS7_S2_PS3_PiS9_ ; -- Begin function _ZN9rocsparseL44csr2gebsr_wavefront_per_row_multipass_kernelILi256ELi4ELi2ELi8EfEEv20rocsparse_direction_iiiiii21rocsparse_index_base_PKT3_PKiS7_S2_PS3_PiS9_
	.p2align	8
	.type	_ZN9rocsparseL44csr2gebsr_wavefront_per_row_multipass_kernelILi256ELi4ELi2ELi8EfEEv20rocsparse_direction_iiiiii21rocsparse_index_base_PKT3_PKiS7_S2_PS3_PiS9_,@function
_ZN9rocsparseL44csr2gebsr_wavefront_per_row_multipass_kernelILi256ELi4ELi2ELi8EfEEv20rocsparse_direction_iiiiii21rocsparse_index_base_PKT3_PKiS7_S2_PS3_PiS9_: ; @_ZN9rocsparseL44csr2gebsr_wavefront_per_row_multipass_kernelILi256ELi4ELi2ELi8EfEEv20rocsparse_direction_iiiiii21rocsparse_index_base_PKT3_PKiS7_S2_PS3_PiS9_
; %bb.0:
	s_load_dwordx2 s[14:15], s[0:1], 0x0
	s_load_dwordx4 s[4:7], s[0:1], 0xc
	s_load_dword s20, s[0:1], 0x1c
	s_load_dwordx2 s[8:9], s[0:1], 0x28
	v_lshrrev_b32_e32 v10, 3, v0
	v_bfe_u32 v8, v0, 1, 2
	v_lshl_or_b32 v4, s2, 5, v10
	s_waitcnt lgkmcnt(0)
	v_mad_u64_u32 v[2:3], s[2:3], v4, s6, v[8:9]
	v_cmp_gt_i32_e64 s[2:3], s15, v2
	v_cmp_gt_i32_e32 vcc, s6, v8
	s_and_b64 s[2:3], vcc, s[2:3]
	v_mov_b32_e32 v11, 0
	v_mov_b32_e32 v6, 0
	s_and_saveexec_b64 s[10:11], s[2:3]
	s_cbranch_execz .LBB27_2
; %bb.1:
	v_ashrrev_i32_e32 v3, 31, v2
	v_lshl_add_u64 v[6:7], v[2:3], 2, s[8:9]
	global_load_dword v1, v[6:7], off
	s_waitcnt vmcnt(0)
	v_subrev_u32_e32 v6, s20, v1
.LBB27_2:
	s_or_b64 exec, exec, s[10:11]
	s_and_saveexec_b64 s[10:11], s[2:3]
	s_cbranch_execz .LBB27_4
; %bb.3:
	v_ashrrev_i32_e32 v3, 31, v2
	v_lshl_add_u64 v[2:3], v[2:3], 2, s[8:9]
	global_load_dword v1, v[2:3], off offset:4
	s_waitcnt vmcnt(0)
	v_subrev_u32_e32 v11, s20, v1
.LBB27_4:
	s_or_b64 exec, exec, s[10:11]
	s_load_dword s21, s[0:1], 0x38
	v_cmp_gt_i32_e64 s[2:3], s4, v4
	v_mov_b32_e32 v2, 0
	s_and_saveexec_b64 s[8:9], s[2:3]
	s_cbranch_execz .LBB27_6
; %bb.5:
	s_load_dwordx2 s[2:3], s[0:1], 0x48
	v_ashrrev_i32_e32 v5, 31, v4
	s_waitcnt lgkmcnt(0)
	v_lshl_add_u64 v[2:3], v[4:5], 2, s[2:3]
	global_load_dword v1, v[2:3], off
	s_waitcnt vmcnt(0)
	v_subrev_u32_e32 v2, s21, v1
.LBB27_6:
	s_or_b64 exec, exec, s[8:9]
	s_cmp_lt_i32 s5, 1
	s_cbranch_scc1 .LBB27_21
; %bb.7:
	v_and_b32_e32 v4, 1, v0
	s_load_dwordx2 s[2:3], s[0:1], 0x20
	s_load_dwordx2 s[8:9], s[0:1], 0x50
	;; [unrolled: 1-line block ×4, first 2 shown]
	v_cmp_gt_u32_e64 s[0:1], s7, v4
	s_and_b64 s[12:13], vcc, s[0:1]
	s_cmp_eq_u32 s14, 0
	s_cselect_b64 vcc, -1, 0
	s_abs_i32 s4, s7
	v_cvt_f32_u32_e32 v7, s4
	v_and_b32_e32 v0, 0xf8, v0
	v_lshl_or_b32 v12, v8, 1, v0
	v_mbcnt_lo_u32_b32 v0, -1, 0
	v_mbcnt_hi_u32_b32 v0, -1, v0
	v_lshlrev_b32_e32 v3, 2, v0
	v_or_b32_e32 v0, v12, v4
	v_mov_b32_e32 v5, 0
	v_rcp_iflag_f32_e32 v7, v7
	v_lshlrev_b32_e32 v15, 2, v0
	v_mul_lo_u32 v0, v4, s6
	v_mov_b32_e32 v1, v5
	v_lshlrev_b32_e32 v16, 2, v8
	v_mul_lo_u32 v8, v8, s7
	s_waitcnt lgkmcnt(0)
	v_lshl_add_u64 v[0:1], v[0:1], 2, s[16:17]
	v_mov_b32_e32 v17, v5
	v_ashrrev_i32_e32 v9, 31, v8
	v_lshl_add_u64 v[0:1], v[0:1], 0, v[16:17]
	v_lshl_add_u64 v[8:9], v[8:9], 2, s[16:17]
	v_lshlrev_b32_e32 v16, 2, v4
	v_or_b32_e32 v14, 4, v3
	v_lshl_add_u64 v[8:9], v[8:9], 0, v[16:17]
	v_or_b32_e32 v16, 28, v3
	v_mul_f32_e32 v3, 0x4f7ffffe, v7
	v_cvt_u32_f32_e32 v3, v3
	s_ashr_i32 s22, s7, 31
	s_mul_hi_u32 s0, s7, s6
	s_mul_i32 s1, s22, s6
	s_add_i32 s23, s0, s1
	s_sub_i32 s0, 0, s4
	v_mul_lo_u32 v7, s0, v3
	v_mul_hi_u32 v7, v3, v7
	v_mov_b32_e32 v13, 0
	s_mul_i32 s6, s7, s6
	v_cndmask_b32_e32 v1, v1, v9, vcc
	v_cndmask_b32_e32 v0, v0, v8, vcc
	v_add_u32_e32 v17, v3, v7
	s_mov_b64 s[14:15], 0
	v_mov_b32_e32 v18, 1
	v_mov_b32_e32 v3, 0
	s_branch .LBB27_10
.LBB27_8:                               ;   in Loop: Header=BB27_10 Depth=1
	s_or_b64 exec, exec, s[16:17]
	v_mov_b32_e32 v7, 1
.LBB27_9:                               ;   in Loop: Header=BB27_10 Depth=1
	s_or_b64 exec, exec, s[0:1]
	v_mov_b32_dpp v3, v19 row_shr:1 row_mask:0xf bank_mask:0xf
	v_min_i32_e32 v3, v3, v19
	v_add_u32_e32 v2, v7, v2
	s_waitcnt lgkmcnt(0)
	v_mov_b32_dpp v8, v3 row_shr:2 row_mask:0xf bank_mask:0xf
	v_min_i32_e32 v3, v8, v3
	s_nop 1
	v_mov_b32_dpp v8, v3 row_shr:4 row_mask:0xf bank_mask:0xe
	v_min_i32_e32 v3, v8, v3
	ds_bpermute_b32 v3, v16, v3
	s_waitcnt lgkmcnt(0)
	v_cmp_le_i32_e32 vcc, s5, v3
	s_or_b64 s[14:15], vcc, s[14:15]
	s_andn2_b64 exec, exec, s[14:15]
	s_cbranch_execz .LBB27_21
.LBB27_10:                              ; =>This Loop Header: Depth=1
                                        ;     Child Loop BB27_13 Depth 2
	v_add_u32_e32 v20, v6, v4
	v_cmp_lt_i32_e32 vcc, v20, v11
	v_mov_b32_e32 v19, s5
	v_mov_b32_e32 v22, v11
	ds_write_b8 v10, v13 offset:1024
	ds_write_b32 v15, v5
	s_waitcnt lgkmcnt(0)
	s_and_saveexec_b64 s[16:17], vcc
	s_cbranch_execz .LBB27_18
; %bb.11:                               ;   in Loop: Header=BB27_10 Depth=1
	v_ashrrev_i32_e32 v7, 31, v6
	v_lshl_add_u64 v[6:7], v[4:5], 0, v[6:7]
	v_lshlrev_b64 v[8:9], 2, v[6:7]
	v_mul_lo_u32 v21, v3, s7
	v_lshl_add_u64 v[6:7], s[10:11], 0, v[8:9]
	v_lshl_add_u64 v[8:9], s[2:3], 0, v[8:9]
	s_mov_b64 s[18:19], 0
	v_mov_b32_e32 v19, s5
	v_mov_b32_e32 v22, v11
	s_branch .LBB27_13
.LBB27_12:                              ;   in Loop: Header=BB27_13 Depth=2
	s_or_b64 exec, exec, s[0:1]
	v_add_u32_e32 v20, 2, v20
	v_cmp_ge_i32_e64 s[0:1], v20, v11
	s_xor_b64 s[24:25], vcc, -1
	s_or_b64 s[0:1], s[24:25], s[0:1]
	s_and_b64 s[0:1], exec, s[0:1]
	v_lshl_add_u64 v[6:7], v[6:7], 0, 8
	s_or_b64 s[18:19], s[0:1], s[18:19]
	v_lshl_add_u64 v[8:9], v[8:9], 0, 8
	s_andn2_b64 exec, exec, s[18:19]
	s_cbranch_execz .LBB27_17
.LBB27_13:                              ;   Parent Loop BB27_10 Depth=1
                                        ; =>  This Inner Loop Header: Depth=2
	global_load_dword v23, v[6:7], off
	s_waitcnt vmcnt(0)
	v_subrev_u32_e32 v23, s20, v23
	v_sub_u32_e32 v25, 0, v23
	v_max_i32_e32 v25, v23, v25
	v_mul_hi_u32 v26, v25, v17
	v_mul_lo_u32 v27, v26, s4
	v_sub_u32_e32 v25, v25, v27
	v_add_u32_e32 v28, 1, v26
	v_cmp_le_u32_e32 vcc, s4, v25
	v_subrev_u32_e32 v27, s4, v25
	v_ashrrev_i32_e32 v24, 31, v23
	v_cndmask_b32_e32 v26, v26, v28, vcc
	v_cndmask_b32_e32 v25, v25, v27, vcc
	v_add_u32_e32 v27, 1, v26
	v_cmp_le_u32_e32 vcc, s4, v25
	v_xor_b32_e32 v24, s22, v24
	s_nop 0
	v_cndmask_b32_e32 v25, v26, v27, vcc
	v_xor_b32_e32 v25, v25, v24
	v_sub_u32_e32 v25, v25, v24
	v_cmp_eq_u32_e32 vcc, v25, v3
	v_cmp_ne_u32_e64 s[0:1], v25, v3
	v_mov_b32_e32 v24, v22
	s_and_saveexec_b64 s[24:25], s[0:1]
	s_xor_b64 s[0:1], exec, s[24:25]
; %bb.14:                               ;   in Loop: Header=BB27_13 Depth=2
	v_min_i32_e32 v19, v25, v19
                                        ; implicit-def: $vgpr23
                                        ; implicit-def: $vgpr24
; %bb.15:                               ;   in Loop: Header=BB27_13 Depth=2
	s_or_saveexec_b64 s[0:1], s[0:1]
	v_mov_b32_e32 v22, v20
	s_xor_b64 exec, exec, s[0:1]
	s_cbranch_execz .LBB27_12
; %bb.16:                               ;   in Loop: Header=BB27_13 Depth=2
	global_load_dword v22, v[8:9], off
	v_sub_u32_e32 v23, v23, v21
	v_add_lshl_u32 v23, v12, v23, 2
	ds_write_b8 v10, v18 offset:1024
	s_waitcnt vmcnt(0)
	ds_write_b32 v23, v22
	v_mov_b32_e32 v22, v24
	s_branch .LBB27_12
.LBB27_17:                              ;   in Loop: Header=BB27_10 Depth=1
	s_or_b64 exec, exec, s[18:19]
.LBB27_18:                              ;   in Loop: Header=BB27_10 Depth=1
	s_or_b64 exec, exec, s[16:17]
	s_waitcnt lgkmcnt(0)
	ds_read_u8 v7, v10 offset:1024
	v_mov_b32_dpp v6, v22 row_shr:1 row_mask:0xf bank_mask:0xf
	v_min_i32_e32 v6, v6, v22
	ds_bpermute_b32 v6, v14, v6
	s_waitcnt lgkmcnt(1)
	v_and_b32_e32 v7, 1, v7
	v_cmp_eq_u32_e32 vcc, 1, v7
	v_mov_b32_e32 v7, 0
	s_and_saveexec_b64 s[0:1], vcc
	s_cbranch_execz .LBB27_9
; %bb.19:                               ;   in Loop: Header=BB27_10 Depth=1
	v_add_u32_e32 v7, s21, v3
	v_ashrrev_i32_e32 v3, 31, v2
	v_lshl_add_u64 v[8:9], v[2:3], 2, s[8:9]
	global_store_dword v[8:9], v7, off
	s_and_saveexec_b64 s[16:17], s[12:13]
	s_cbranch_execz .LBB27_8
; %bb.20:                               ;   in Loop: Header=BB27_10 Depth=1
	ds_read_b32 v7, v15
	v_mul_lo_u32 v20, s23, v2
	v_mul_lo_u32 v3, s6, v3
	v_mad_u64_u32 v[8:9], s[18:19], s6, v2, 0
	v_add3_u32 v9, v9, v3, v20
	v_lshl_add_u64 v[8:9], v[8:9], 2, v[0:1]
	s_waitcnt lgkmcnt(0)
	global_store_dword v[8:9], v7, off
	s_branch .LBB27_8
.LBB27_21:
	s_endpgm
	.section	.rodata,"a",@progbits
	.p2align	6, 0x0
	.amdhsa_kernel _ZN9rocsparseL44csr2gebsr_wavefront_per_row_multipass_kernelILi256ELi4ELi2ELi8EfEEv20rocsparse_direction_iiiiii21rocsparse_index_base_PKT3_PKiS7_S2_PS3_PiS9_
		.amdhsa_group_segment_fixed_size 1056
		.amdhsa_private_segment_fixed_size 0
		.amdhsa_kernarg_size 88
		.amdhsa_user_sgpr_count 2
		.amdhsa_user_sgpr_dispatch_ptr 0
		.amdhsa_user_sgpr_queue_ptr 0
		.amdhsa_user_sgpr_kernarg_segment_ptr 1
		.amdhsa_user_sgpr_dispatch_id 0
		.amdhsa_user_sgpr_kernarg_preload_length 0
		.amdhsa_user_sgpr_kernarg_preload_offset 0
		.amdhsa_user_sgpr_private_segment_size 0
		.amdhsa_uses_dynamic_stack 0
		.amdhsa_enable_private_segment 0
		.amdhsa_system_sgpr_workgroup_id_x 1
		.amdhsa_system_sgpr_workgroup_id_y 0
		.amdhsa_system_sgpr_workgroup_id_z 0
		.amdhsa_system_sgpr_workgroup_info 0
		.amdhsa_system_vgpr_workitem_id 0
		.amdhsa_next_free_vgpr 29
		.amdhsa_next_free_sgpr 26
		.amdhsa_accum_offset 32
		.amdhsa_reserve_vcc 1
		.amdhsa_float_round_mode_32 0
		.amdhsa_float_round_mode_16_64 0
		.amdhsa_float_denorm_mode_32 3
		.amdhsa_float_denorm_mode_16_64 3
		.amdhsa_dx10_clamp 1
		.amdhsa_ieee_mode 1
		.amdhsa_fp16_overflow 0
		.amdhsa_tg_split 0
		.amdhsa_exception_fp_ieee_invalid_op 0
		.amdhsa_exception_fp_denorm_src 0
		.amdhsa_exception_fp_ieee_div_zero 0
		.amdhsa_exception_fp_ieee_overflow 0
		.amdhsa_exception_fp_ieee_underflow 0
		.amdhsa_exception_fp_ieee_inexact 0
		.amdhsa_exception_int_div_zero 0
	.end_amdhsa_kernel
	.section	.text._ZN9rocsparseL44csr2gebsr_wavefront_per_row_multipass_kernelILi256ELi4ELi2ELi8EfEEv20rocsparse_direction_iiiiii21rocsparse_index_base_PKT3_PKiS7_S2_PS3_PiS9_,"axG",@progbits,_ZN9rocsparseL44csr2gebsr_wavefront_per_row_multipass_kernelILi256ELi4ELi2ELi8EfEEv20rocsparse_direction_iiiiii21rocsparse_index_base_PKT3_PKiS7_S2_PS3_PiS9_,comdat
.Lfunc_end27:
	.size	_ZN9rocsparseL44csr2gebsr_wavefront_per_row_multipass_kernelILi256ELi4ELi2ELi8EfEEv20rocsparse_direction_iiiiii21rocsparse_index_base_PKT3_PKiS7_S2_PS3_PiS9_, .Lfunc_end27-_ZN9rocsparseL44csr2gebsr_wavefront_per_row_multipass_kernelILi256ELi4ELi2ELi8EfEEv20rocsparse_direction_iiiiii21rocsparse_index_base_PKT3_PKiS7_S2_PS3_PiS9_
                                        ; -- End function
	.section	.AMDGPU.csdata,"",@progbits
; Kernel info:
; codeLenInByte = 1128
; NumSgprs: 32
; NumVgprs: 29
; NumAgprs: 0
; TotalNumVgprs: 29
; ScratchSize: 0
; MemoryBound: 0
; FloatMode: 240
; IeeeMode: 1
; LDSByteSize: 1056 bytes/workgroup (compile time only)
; SGPRBlocks: 3
; VGPRBlocks: 3
; NumSGPRsForWavesPerEU: 32
; NumVGPRsForWavesPerEU: 29
; AccumOffset: 32
; Occupancy: 8
; WaveLimiterHint : 0
; COMPUTE_PGM_RSRC2:SCRATCH_EN: 0
; COMPUTE_PGM_RSRC2:USER_SGPR: 2
; COMPUTE_PGM_RSRC2:TRAP_HANDLER: 0
; COMPUTE_PGM_RSRC2:TGID_X_EN: 1
; COMPUTE_PGM_RSRC2:TGID_Y_EN: 0
; COMPUTE_PGM_RSRC2:TGID_Z_EN: 0
; COMPUTE_PGM_RSRC2:TIDIG_COMP_CNT: 0
; COMPUTE_PGM_RSRC3_GFX90A:ACCUM_OFFSET: 7
; COMPUTE_PGM_RSRC3_GFX90A:TG_SPLIT: 0
	.section	.text._ZN9rocsparseL44csr2gebsr_wavefront_per_row_multipass_kernelILi256ELi4ELi4ELi16EfEEv20rocsparse_direction_iiiiii21rocsparse_index_base_PKT3_PKiS7_S2_PS3_PiS9_,"axG",@progbits,_ZN9rocsparseL44csr2gebsr_wavefront_per_row_multipass_kernelILi256ELi4ELi4ELi16EfEEv20rocsparse_direction_iiiiii21rocsparse_index_base_PKT3_PKiS7_S2_PS3_PiS9_,comdat
	.globl	_ZN9rocsparseL44csr2gebsr_wavefront_per_row_multipass_kernelILi256ELi4ELi4ELi16EfEEv20rocsparse_direction_iiiiii21rocsparse_index_base_PKT3_PKiS7_S2_PS3_PiS9_ ; -- Begin function _ZN9rocsparseL44csr2gebsr_wavefront_per_row_multipass_kernelILi256ELi4ELi4ELi16EfEEv20rocsparse_direction_iiiiii21rocsparse_index_base_PKT3_PKiS7_S2_PS3_PiS9_
	.p2align	8
	.type	_ZN9rocsparseL44csr2gebsr_wavefront_per_row_multipass_kernelILi256ELi4ELi4ELi16EfEEv20rocsparse_direction_iiiiii21rocsparse_index_base_PKT3_PKiS7_S2_PS3_PiS9_,@function
_ZN9rocsparseL44csr2gebsr_wavefront_per_row_multipass_kernelILi256ELi4ELi4ELi16EfEEv20rocsparse_direction_iiiiii21rocsparse_index_base_PKT3_PKiS7_S2_PS3_PiS9_: ; @_ZN9rocsparseL44csr2gebsr_wavefront_per_row_multipass_kernelILi256ELi4ELi4ELi16EfEEv20rocsparse_direction_iiiiii21rocsparse_index_base_PKT3_PKiS7_S2_PS3_PiS9_
; %bb.0:
	s_load_dwordx2 s[14:15], s[0:1], 0x0
	s_load_dwordx4 s[4:7], s[0:1], 0xc
	s_load_dword s20, s[0:1], 0x1c
	s_load_dwordx2 s[8:9], s[0:1], 0x28
	v_lshrrev_b32_e32 v10, 4, v0
	v_bfe_u32 v8, v0, 2, 2
	v_lshl_or_b32 v4, s2, 4, v10
	s_waitcnt lgkmcnt(0)
	v_mad_u64_u32 v[2:3], s[2:3], v4, s6, v[8:9]
	v_cmp_gt_i32_e64 s[2:3], s15, v2
	v_cmp_gt_i32_e32 vcc, s6, v8
	s_and_b64 s[2:3], vcc, s[2:3]
	v_mov_b32_e32 v11, 0
	v_mov_b32_e32 v6, 0
	s_and_saveexec_b64 s[10:11], s[2:3]
	s_cbranch_execz .LBB28_2
; %bb.1:
	v_ashrrev_i32_e32 v3, 31, v2
	v_lshl_add_u64 v[6:7], v[2:3], 2, s[8:9]
	global_load_dword v1, v[6:7], off
	s_waitcnt vmcnt(0)
	v_subrev_u32_e32 v6, s20, v1
.LBB28_2:
	s_or_b64 exec, exec, s[10:11]
	s_and_saveexec_b64 s[10:11], s[2:3]
	s_cbranch_execz .LBB28_4
; %bb.3:
	v_ashrrev_i32_e32 v3, 31, v2
	v_lshl_add_u64 v[2:3], v[2:3], 2, s[8:9]
	global_load_dword v1, v[2:3], off offset:4
	s_waitcnt vmcnt(0)
	v_subrev_u32_e32 v11, s20, v1
.LBB28_4:
	s_or_b64 exec, exec, s[10:11]
	s_load_dword s21, s[0:1], 0x38
	v_cmp_gt_i32_e64 s[2:3], s4, v4
	v_mov_b32_e32 v2, 0
	s_and_saveexec_b64 s[8:9], s[2:3]
	s_cbranch_execz .LBB28_6
; %bb.5:
	s_load_dwordx2 s[2:3], s[0:1], 0x48
	v_ashrrev_i32_e32 v5, 31, v4
	s_waitcnt lgkmcnt(0)
	v_lshl_add_u64 v[2:3], v[4:5], 2, s[2:3]
	global_load_dword v1, v[2:3], off
	s_waitcnt vmcnt(0)
	v_subrev_u32_e32 v2, s21, v1
.LBB28_6:
	s_or_b64 exec, exec, s[8:9]
	s_cmp_lt_i32 s5, 1
	s_cbranch_scc1 .LBB28_21
; %bb.7:
	s_load_dwordx2 s[2:3], s[0:1], 0x20
	s_load_dwordx2 s[8:9], s[0:1], 0x50
	s_load_dwordx2 s[16:17], s[0:1], 0x40
	s_load_dwordx2 s[10:11], s[0:1], 0x30
	v_and_b32_e32 v4, 3, v0
	v_lshlrev_b32_e32 v16, 2, v8
	s_movk_i32 s0, 0xf0
	v_and_or_b32 v12, v0, s0, v16
	v_cmp_gt_u32_e64 s[0:1], s7, v4
	s_and_b64 s[12:13], vcc, s[0:1]
	s_cmp_eq_u32 s14, 0
	s_cselect_b64 vcc, -1, 0
	s_abs_i32 s4, s7
	v_cvt_f32_u32_e32 v7, s4
	v_mbcnt_lo_u32_b32 v0, -1, 0
	v_mbcnt_hi_u32_b32 v0, -1, v0
	v_lshlrev_b32_e32 v3, 2, v0
	v_or_b32_e32 v0, v12, v4
	v_mov_b32_e32 v5, 0
	v_rcp_iflag_f32_e32 v7, v7
	v_lshlrev_b32_e32 v15, 2, v0
	v_mul_lo_u32 v0, v4, s6
	v_mov_b32_e32 v1, v5
	v_mul_lo_u32 v8, v8, s7
	s_waitcnt lgkmcnt(0)
	v_lshl_add_u64 v[0:1], v[0:1], 2, s[16:17]
	v_mov_b32_e32 v17, v5
	v_ashrrev_i32_e32 v9, 31, v8
	v_lshl_add_u64 v[0:1], v[0:1], 0, v[16:17]
	v_lshl_add_u64 v[8:9], v[8:9], 2, s[16:17]
	v_lshlrev_b32_e32 v16, 2, v4
	v_or_b32_e32 v14, 12, v3
	v_lshl_add_u64 v[8:9], v[8:9], 0, v[16:17]
	v_or_b32_e32 v16, 60, v3
	v_mul_f32_e32 v3, 0x4f7ffffe, v7
	v_cvt_u32_f32_e32 v3, v3
	s_ashr_i32 s22, s7, 31
	s_mul_hi_u32 s0, s7, s6
	s_mul_i32 s1, s22, s6
	s_add_i32 s23, s0, s1
	s_sub_i32 s0, 0, s4
	v_mul_lo_u32 v7, s0, v3
	v_mul_hi_u32 v7, v3, v7
	v_mov_b32_e32 v13, 0
	s_mul_i32 s6, s7, s6
	v_cndmask_b32_e32 v1, v1, v9, vcc
	v_cndmask_b32_e32 v0, v0, v8, vcc
	v_add_u32_e32 v17, v3, v7
	s_mov_b64 s[14:15], 0
	v_mov_b32_e32 v18, 1
	v_mov_b32_e32 v3, 0
	s_branch .LBB28_10
.LBB28_8:                               ;   in Loop: Header=BB28_10 Depth=1
	s_or_b64 exec, exec, s[16:17]
	v_mov_b32_e32 v7, 1
.LBB28_9:                               ;   in Loop: Header=BB28_10 Depth=1
	s_or_b64 exec, exec, s[0:1]
	v_mov_b32_dpp v3, v19 row_shr:1 row_mask:0xf bank_mask:0xf
	v_min_i32_e32 v3, v3, v19
	v_add_u32_e32 v2, v7, v2
	s_waitcnt lgkmcnt(0)
	v_mov_b32_dpp v8, v3 row_shr:2 row_mask:0xf bank_mask:0xf
	v_min_i32_e32 v3, v8, v3
	s_nop 1
	v_mov_b32_dpp v8, v3 row_shr:4 row_mask:0xf bank_mask:0xe
	v_min_i32_e32 v3, v8, v3
	s_nop 1
	v_mov_b32_dpp v8, v3 row_shr:8 row_mask:0xf bank_mask:0xc
	v_min_i32_e32 v3, v8, v3
	ds_bpermute_b32 v3, v16, v3
	s_waitcnt lgkmcnt(0)
	v_cmp_le_i32_e32 vcc, s5, v3
	s_or_b64 s[14:15], vcc, s[14:15]
	s_andn2_b64 exec, exec, s[14:15]
	s_cbranch_execz .LBB28_21
.LBB28_10:                              ; =>This Loop Header: Depth=1
                                        ;     Child Loop BB28_13 Depth 2
	v_add_u32_e32 v20, v6, v4
	v_cmp_lt_i32_e32 vcc, v20, v11
	v_mov_b32_e32 v19, s5
	v_mov_b32_e32 v22, v11
	ds_write_b8 v10, v13 offset:1024
	ds_write_b32 v15, v5
	s_waitcnt lgkmcnt(0)
	s_and_saveexec_b64 s[16:17], vcc
	s_cbranch_execz .LBB28_18
; %bb.11:                               ;   in Loop: Header=BB28_10 Depth=1
	v_ashrrev_i32_e32 v7, 31, v6
	v_lshl_add_u64 v[6:7], v[4:5], 0, v[6:7]
	v_lshlrev_b64 v[8:9], 2, v[6:7]
	v_mul_lo_u32 v21, v3, s7
	v_lshl_add_u64 v[6:7], s[10:11], 0, v[8:9]
	v_lshl_add_u64 v[8:9], s[2:3], 0, v[8:9]
	s_mov_b64 s[18:19], 0
	v_mov_b32_e32 v19, s5
	v_mov_b32_e32 v22, v11
	s_branch .LBB28_13
.LBB28_12:                              ;   in Loop: Header=BB28_13 Depth=2
	s_or_b64 exec, exec, s[0:1]
	v_add_u32_e32 v20, 4, v20
	v_cmp_ge_i32_e64 s[0:1], v20, v11
	s_xor_b64 s[24:25], vcc, -1
	s_or_b64 s[0:1], s[24:25], s[0:1]
	s_and_b64 s[0:1], exec, s[0:1]
	v_lshl_add_u64 v[6:7], v[6:7], 0, 16
	s_or_b64 s[18:19], s[0:1], s[18:19]
	v_lshl_add_u64 v[8:9], v[8:9], 0, 16
	s_andn2_b64 exec, exec, s[18:19]
	s_cbranch_execz .LBB28_17
.LBB28_13:                              ;   Parent Loop BB28_10 Depth=1
                                        ; =>  This Inner Loop Header: Depth=2
	global_load_dword v23, v[6:7], off
	s_waitcnt vmcnt(0)
	v_subrev_u32_e32 v23, s20, v23
	v_sub_u32_e32 v25, 0, v23
	v_max_i32_e32 v25, v23, v25
	v_mul_hi_u32 v26, v25, v17
	v_mul_lo_u32 v27, v26, s4
	v_sub_u32_e32 v25, v25, v27
	v_add_u32_e32 v28, 1, v26
	v_cmp_le_u32_e32 vcc, s4, v25
	v_subrev_u32_e32 v27, s4, v25
	v_ashrrev_i32_e32 v24, 31, v23
	v_cndmask_b32_e32 v26, v26, v28, vcc
	v_cndmask_b32_e32 v25, v25, v27, vcc
	v_add_u32_e32 v27, 1, v26
	v_cmp_le_u32_e32 vcc, s4, v25
	v_xor_b32_e32 v24, s22, v24
	s_nop 0
	v_cndmask_b32_e32 v25, v26, v27, vcc
	v_xor_b32_e32 v25, v25, v24
	v_sub_u32_e32 v25, v25, v24
	v_cmp_eq_u32_e32 vcc, v25, v3
	v_cmp_ne_u32_e64 s[0:1], v25, v3
	v_mov_b32_e32 v24, v22
	s_and_saveexec_b64 s[24:25], s[0:1]
	s_xor_b64 s[0:1], exec, s[24:25]
; %bb.14:                               ;   in Loop: Header=BB28_13 Depth=2
	v_min_i32_e32 v19, v25, v19
                                        ; implicit-def: $vgpr23
                                        ; implicit-def: $vgpr24
; %bb.15:                               ;   in Loop: Header=BB28_13 Depth=2
	s_or_saveexec_b64 s[0:1], s[0:1]
	v_mov_b32_e32 v22, v20
	s_xor_b64 exec, exec, s[0:1]
	s_cbranch_execz .LBB28_12
; %bb.16:                               ;   in Loop: Header=BB28_13 Depth=2
	global_load_dword v22, v[8:9], off
	v_sub_u32_e32 v23, v23, v21
	v_add_lshl_u32 v23, v12, v23, 2
	ds_write_b8 v10, v18 offset:1024
	s_waitcnt vmcnt(0)
	ds_write_b32 v23, v22
	v_mov_b32_e32 v22, v24
	s_branch .LBB28_12
.LBB28_17:                              ;   in Loop: Header=BB28_10 Depth=1
	s_or_b64 exec, exec, s[18:19]
.LBB28_18:                              ;   in Loop: Header=BB28_10 Depth=1
	s_or_b64 exec, exec, s[16:17]
	v_mov_b32_dpp v6, v22 row_shr:1 row_mask:0xf bank_mask:0xf
	v_min_i32_e32 v6, v6, v22
	s_waitcnt lgkmcnt(0)
	ds_read_u8 v7, v10 offset:1024
	v_mov_b32_dpp v8, v6 row_shr:2 row_mask:0xf bank_mask:0xf
	v_min_i32_e32 v6, v8, v6
	ds_bpermute_b32 v6, v14, v6
	s_waitcnt lgkmcnt(1)
	v_and_b32_e32 v7, 1, v7
	v_cmp_eq_u32_e32 vcc, 1, v7
	v_mov_b32_e32 v7, 0
	s_and_saveexec_b64 s[0:1], vcc
	s_cbranch_execz .LBB28_9
; %bb.19:                               ;   in Loop: Header=BB28_10 Depth=1
	v_add_u32_e32 v7, s21, v3
	v_ashrrev_i32_e32 v3, 31, v2
	v_lshl_add_u64 v[8:9], v[2:3], 2, s[8:9]
	global_store_dword v[8:9], v7, off
	s_and_saveexec_b64 s[16:17], s[12:13]
	s_cbranch_execz .LBB28_8
; %bb.20:                               ;   in Loop: Header=BB28_10 Depth=1
	ds_read_b32 v7, v15
	v_mul_lo_u32 v20, s23, v2
	v_mul_lo_u32 v3, s6, v3
	v_mad_u64_u32 v[8:9], s[18:19], s6, v2, 0
	v_add3_u32 v9, v9, v3, v20
	v_lshl_add_u64 v[8:9], v[8:9], 2, v[0:1]
	s_waitcnt lgkmcnt(0)
	global_store_dword v[8:9], v7, off
	s_branch .LBB28_8
.LBB28_21:
	s_endpgm
	.section	.rodata,"a",@progbits
	.p2align	6, 0x0
	.amdhsa_kernel _ZN9rocsparseL44csr2gebsr_wavefront_per_row_multipass_kernelILi256ELi4ELi4ELi16EfEEv20rocsparse_direction_iiiiii21rocsparse_index_base_PKT3_PKiS7_S2_PS3_PiS9_
		.amdhsa_group_segment_fixed_size 1040
		.amdhsa_private_segment_fixed_size 0
		.amdhsa_kernarg_size 88
		.amdhsa_user_sgpr_count 2
		.amdhsa_user_sgpr_dispatch_ptr 0
		.amdhsa_user_sgpr_queue_ptr 0
		.amdhsa_user_sgpr_kernarg_segment_ptr 1
		.amdhsa_user_sgpr_dispatch_id 0
		.amdhsa_user_sgpr_kernarg_preload_length 0
		.amdhsa_user_sgpr_kernarg_preload_offset 0
		.amdhsa_user_sgpr_private_segment_size 0
		.amdhsa_uses_dynamic_stack 0
		.amdhsa_enable_private_segment 0
		.amdhsa_system_sgpr_workgroup_id_x 1
		.amdhsa_system_sgpr_workgroup_id_y 0
		.amdhsa_system_sgpr_workgroup_id_z 0
		.amdhsa_system_sgpr_workgroup_info 0
		.amdhsa_system_vgpr_workitem_id 0
		.amdhsa_next_free_vgpr 29
		.amdhsa_next_free_sgpr 26
		.amdhsa_accum_offset 32
		.amdhsa_reserve_vcc 1
		.amdhsa_float_round_mode_32 0
		.amdhsa_float_round_mode_16_64 0
		.amdhsa_float_denorm_mode_32 3
		.amdhsa_float_denorm_mode_16_64 3
		.amdhsa_dx10_clamp 1
		.amdhsa_ieee_mode 1
		.amdhsa_fp16_overflow 0
		.amdhsa_tg_split 0
		.amdhsa_exception_fp_ieee_invalid_op 0
		.amdhsa_exception_fp_denorm_src 0
		.amdhsa_exception_fp_ieee_div_zero 0
		.amdhsa_exception_fp_ieee_overflow 0
		.amdhsa_exception_fp_ieee_underflow 0
		.amdhsa_exception_fp_ieee_inexact 0
		.amdhsa_exception_int_div_zero 0
	.end_amdhsa_kernel
	.section	.text._ZN9rocsparseL44csr2gebsr_wavefront_per_row_multipass_kernelILi256ELi4ELi4ELi16EfEEv20rocsparse_direction_iiiiii21rocsparse_index_base_PKT3_PKiS7_S2_PS3_PiS9_,"axG",@progbits,_ZN9rocsparseL44csr2gebsr_wavefront_per_row_multipass_kernelILi256ELi4ELi4ELi16EfEEv20rocsparse_direction_iiiiii21rocsparse_index_base_PKT3_PKiS7_S2_PS3_PiS9_,comdat
.Lfunc_end28:
	.size	_ZN9rocsparseL44csr2gebsr_wavefront_per_row_multipass_kernelILi256ELi4ELi4ELi16EfEEv20rocsparse_direction_iiiiii21rocsparse_index_base_PKT3_PKiS7_S2_PS3_PiS9_, .Lfunc_end28-_ZN9rocsparseL44csr2gebsr_wavefront_per_row_multipass_kernelILi256ELi4ELi4ELi16EfEEv20rocsparse_direction_iiiiii21rocsparse_index_base_PKT3_PKiS7_S2_PS3_PiS9_
                                        ; -- End function
	.section	.AMDGPU.csdata,"",@progbits
; Kernel info:
; codeLenInByte = 1152
; NumSgprs: 32
; NumVgprs: 29
; NumAgprs: 0
; TotalNumVgprs: 29
; ScratchSize: 0
; MemoryBound: 0
; FloatMode: 240
; IeeeMode: 1
; LDSByteSize: 1040 bytes/workgroup (compile time only)
; SGPRBlocks: 3
; VGPRBlocks: 3
; NumSGPRsForWavesPerEU: 32
; NumVGPRsForWavesPerEU: 29
; AccumOffset: 32
; Occupancy: 8
; WaveLimiterHint : 0
; COMPUTE_PGM_RSRC2:SCRATCH_EN: 0
; COMPUTE_PGM_RSRC2:USER_SGPR: 2
; COMPUTE_PGM_RSRC2:TRAP_HANDLER: 0
; COMPUTE_PGM_RSRC2:TGID_X_EN: 1
; COMPUTE_PGM_RSRC2:TGID_Y_EN: 0
; COMPUTE_PGM_RSRC2:TGID_Z_EN: 0
; COMPUTE_PGM_RSRC2:TIDIG_COMP_CNT: 0
; COMPUTE_PGM_RSRC3_GFX90A:ACCUM_OFFSET: 7
; COMPUTE_PGM_RSRC3_GFX90A:TG_SPLIT: 0
	.section	.text._ZN9rocsparseL44csr2gebsr_wavefront_per_row_multipass_kernelILi256ELi4ELi8ELi32EfEEv20rocsparse_direction_iiiiii21rocsparse_index_base_PKT3_PKiS7_S2_PS3_PiS9_,"axG",@progbits,_ZN9rocsparseL44csr2gebsr_wavefront_per_row_multipass_kernelILi256ELi4ELi8ELi32EfEEv20rocsparse_direction_iiiiii21rocsparse_index_base_PKT3_PKiS7_S2_PS3_PiS9_,comdat
	.globl	_ZN9rocsparseL44csr2gebsr_wavefront_per_row_multipass_kernelILi256ELi4ELi8ELi32EfEEv20rocsparse_direction_iiiiii21rocsparse_index_base_PKT3_PKiS7_S2_PS3_PiS9_ ; -- Begin function _ZN9rocsparseL44csr2gebsr_wavefront_per_row_multipass_kernelILi256ELi4ELi8ELi32EfEEv20rocsparse_direction_iiiiii21rocsparse_index_base_PKT3_PKiS7_S2_PS3_PiS9_
	.p2align	8
	.type	_ZN9rocsparseL44csr2gebsr_wavefront_per_row_multipass_kernelILi256ELi4ELi8ELi32EfEEv20rocsparse_direction_iiiiii21rocsparse_index_base_PKT3_PKiS7_S2_PS3_PiS9_,@function
_ZN9rocsparseL44csr2gebsr_wavefront_per_row_multipass_kernelILi256ELi4ELi8ELi32EfEEv20rocsparse_direction_iiiiii21rocsparse_index_base_PKT3_PKiS7_S2_PS3_PiS9_: ; @_ZN9rocsparseL44csr2gebsr_wavefront_per_row_multipass_kernelILi256ELi4ELi8ELi32EfEEv20rocsparse_direction_iiiiii21rocsparse_index_base_PKT3_PKiS7_S2_PS3_PiS9_
; %bb.0:
	s_load_dwordx2 s[14:15], s[0:1], 0x0
	s_load_dwordx4 s[4:7], s[0:1], 0xc
	s_load_dword s20, s[0:1], 0x1c
	s_load_dwordx2 s[8:9], s[0:1], 0x28
	v_lshrrev_b32_e32 v10, 5, v0
	v_bfe_u32 v8, v0, 3, 2
	v_lshl_or_b32 v4, s2, 3, v10
	s_waitcnt lgkmcnt(0)
	v_mad_u64_u32 v[2:3], s[2:3], v4, s6, v[8:9]
	v_cmp_gt_i32_e64 s[2:3], s15, v2
	v_cmp_gt_i32_e32 vcc, s6, v8
	s_and_b64 s[2:3], vcc, s[2:3]
	v_mov_b32_e32 v11, 0
	v_mov_b32_e32 v6, 0
	s_and_saveexec_b64 s[10:11], s[2:3]
	s_cbranch_execz .LBB29_2
; %bb.1:
	v_ashrrev_i32_e32 v3, 31, v2
	v_lshl_add_u64 v[6:7], v[2:3], 2, s[8:9]
	global_load_dword v1, v[6:7], off
	s_waitcnt vmcnt(0)
	v_subrev_u32_e32 v6, s20, v1
.LBB29_2:
	s_or_b64 exec, exec, s[10:11]
	s_and_saveexec_b64 s[10:11], s[2:3]
	s_cbranch_execz .LBB29_4
; %bb.3:
	v_ashrrev_i32_e32 v3, 31, v2
	v_lshl_add_u64 v[2:3], v[2:3], 2, s[8:9]
	global_load_dword v1, v[2:3], off offset:4
	s_waitcnt vmcnt(0)
	v_subrev_u32_e32 v11, s20, v1
.LBB29_4:
	s_or_b64 exec, exec, s[10:11]
	s_load_dword s21, s[0:1], 0x38
	v_cmp_gt_i32_e64 s[2:3], s4, v4
	v_mov_b32_e32 v2, 0
	s_and_saveexec_b64 s[8:9], s[2:3]
	s_cbranch_execz .LBB29_6
; %bb.5:
	s_load_dwordx2 s[2:3], s[0:1], 0x48
	v_ashrrev_i32_e32 v5, 31, v4
	s_waitcnt lgkmcnt(0)
	v_lshl_add_u64 v[2:3], v[4:5], 2, s[2:3]
	global_load_dword v1, v[2:3], off
	s_waitcnt vmcnt(0)
	v_subrev_u32_e32 v2, s21, v1
.LBB29_6:
	s_or_b64 exec, exec, s[8:9]
	s_cmp_lt_i32 s5, 1
	s_cbranch_scc1 .LBB29_21
; %bb.7:
	v_and_b32_e32 v4, 7, v0
	s_load_dwordx2 s[2:3], s[0:1], 0x20
	s_load_dwordx2 s[8:9], s[0:1], 0x50
	;; [unrolled: 1-line block ×4, first 2 shown]
	v_cmp_gt_u32_e64 s[0:1], s7, v4
	s_and_b64 s[12:13], vcc, s[0:1]
	s_cmp_eq_u32 s14, 0
	s_cselect_b64 vcc, -1, 0
	s_abs_i32 s4, s7
	v_cvt_f32_u32_e32 v7, s4
	v_and_b32_e32 v0, 0xe0, v0
	v_lshl_or_b32 v12, v8, 3, v0
	v_mbcnt_lo_u32_b32 v0, -1, 0
	v_mbcnt_hi_u32_b32 v0, -1, v0
	v_lshlrev_b32_e32 v3, 2, v0
	v_or_b32_e32 v0, v12, v4
	v_mov_b32_e32 v5, 0
	v_rcp_iflag_f32_e32 v7, v7
	v_lshlrev_b32_e32 v15, 2, v0
	v_mul_lo_u32 v0, v4, s6
	v_mov_b32_e32 v1, v5
	v_lshlrev_b32_e32 v16, 2, v8
	v_mul_lo_u32 v8, v8, s7
	s_waitcnt lgkmcnt(0)
	v_lshl_add_u64 v[0:1], v[0:1], 2, s[16:17]
	v_mov_b32_e32 v17, v5
	v_ashrrev_i32_e32 v9, 31, v8
	v_lshl_add_u64 v[0:1], v[0:1], 0, v[16:17]
	v_lshl_add_u64 v[8:9], v[8:9], 2, s[16:17]
	v_lshlrev_b32_e32 v16, 2, v4
	v_or_b32_e32 v14, 28, v3
	v_lshl_add_u64 v[8:9], v[8:9], 0, v[16:17]
	v_or_b32_e32 v16, 0x7c, v3
	v_mul_f32_e32 v3, 0x4f7ffffe, v7
	v_cvt_u32_f32_e32 v3, v3
	s_ashr_i32 s22, s7, 31
	s_mul_hi_u32 s0, s7, s6
	s_mul_i32 s1, s22, s6
	s_add_i32 s23, s0, s1
	s_sub_i32 s0, 0, s4
	v_mul_lo_u32 v7, s0, v3
	v_mul_hi_u32 v7, v3, v7
	v_mov_b32_e32 v13, 0
	s_mul_i32 s6, s7, s6
	v_cndmask_b32_e32 v1, v1, v9, vcc
	v_cndmask_b32_e32 v0, v0, v8, vcc
	v_add_u32_e32 v17, v3, v7
	s_mov_b64 s[14:15], 0
	v_mov_b32_e32 v18, 1
	v_mov_b32_e32 v3, 0
	s_branch .LBB29_10
.LBB29_8:                               ;   in Loop: Header=BB29_10 Depth=1
	s_or_b64 exec, exec, s[16:17]
	v_mov_b32_e32 v7, 1
.LBB29_9:                               ;   in Loop: Header=BB29_10 Depth=1
	s_or_b64 exec, exec, s[0:1]
	v_mov_b32_dpp v3, v19 row_shr:1 row_mask:0xf bank_mask:0xf
	v_min_i32_e32 v3, v3, v19
	v_add_u32_e32 v2, v7, v2
	s_waitcnt lgkmcnt(0)
	v_mov_b32_dpp v8, v3 row_shr:2 row_mask:0xf bank_mask:0xf
	v_min_i32_e32 v3, v8, v3
	s_nop 1
	v_mov_b32_dpp v8, v3 row_shr:4 row_mask:0xf bank_mask:0xe
	v_min_i32_e32 v3, v8, v3
	s_nop 1
	;; [unrolled: 3-line block ×3, first 2 shown]
	v_mov_b32_dpp v8, v3 row_bcast:15 row_mask:0xa bank_mask:0xf
	v_min_i32_e32 v3, v8, v3
	ds_bpermute_b32 v3, v16, v3
	s_waitcnt lgkmcnt(0)
	v_cmp_le_i32_e32 vcc, s5, v3
	s_or_b64 s[14:15], vcc, s[14:15]
	s_andn2_b64 exec, exec, s[14:15]
	s_cbranch_execz .LBB29_21
.LBB29_10:                              ; =>This Loop Header: Depth=1
                                        ;     Child Loop BB29_13 Depth 2
	v_add_u32_e32 v20, v6, v4
	v_cmp_lt_i32_e32 vcc, v20, v11
	v_mov_b32_e32 v19, s5
	v_mov_b32_e32 v22, v11
	ds_write_b8 v10, v13 offset:1024
	ds_write_b32 v15, v5
	s_waitcnt lgkmcnt(0)
	s_and_saveexec_b64 s[16:17], vcc
	s_cbranch_execz .LBB29_18
; %bb.11:                               ;   in Loop: Header=BB29_10 Depth=1
	v_ashrrev_i32_e32 v7, 31, v6
	v_lshl_add_u64 v[6:7], v[4:5], 0, v[6:7]
	v_lshlrev_b64 v[8:9], 2, v[6:7]
	v_mul_lo_u32 v21, v3, s7
	v_lshl_add_u64 v[6:7], s[10:11], 0, v[8:9]
	v_lshl_add_u64 v[8:9], s[2:3], 0, v[8:9]
	s_mov_b64 s[18:19], 0
	v_mov_b32_e32 v19, s5
	v_mov_b32_e32 v22, v11
	s_branch .LBB29_13
.LBB29_12:                              ;   in Loop: Header=BB29_13 Depth=2
	s_or_b64 exec, exec, s[0:1]
	v_add_u32_e32 v20, 8, v20
	v_cmp_ge_i32_e64 s[0:1], v20, v11
	s_xor_b64 s[24:25], vcc, -1
	s_or_b64 s[0:1], s[24:25], s[0:1]
	s_and_b64 s[0:1], exec, s[0:1]
	v_lshl_add_u64 v[6:7], v[6:7], 0, 32
	s_or_b64 s[18:19], s[0:1], s[18:19]
	v_lshl_add_u64 v[8:9], v[8:9], 0, 32
	s_andn2_b64 exec, exec, s[18:19]
	s_cbranch_execz .LBB29_17
.LBB29_13:                              ;   Parent Loop BB29_10 Depth=1
                                        ; =>  This Inner Loop Header: Depth=2
	global_load_dword v23, v[6:7], off
	s_waitcnt vmcnt(0)
	v_subrev_u32_e32 v23, s20, v23
	v_sub_u32_e32 v25, 0, v23
	v_max_i32_e32 v25, v23, v25
	v_mul_hi_u32 v26, v25, v17
	v_mul_lo_u32 v27, v26, s4
	v_sub_u32_e32 v25, v25, v27
	v_add_u32_e32 v28, 1, v26
	v_cmp_le_u32_e32 vcc, s4, v25
	v_subrev_u32_e32 v27, s4, v25
	v_ashrrev_i32_e32 v24, 31, v23
	v_cndmask_b32_e32 v26, v26, v28, vcc
	v_cndmask_b32_e32 v25, v25, v27, vcc
	v_add_u32_e32 v27, 1, v26
	v_cmp_le_u32_e32 vcc, s4, v25
	v_xor_b32_e32 v24, s22, v24
	s_nop 0
	v_cndmask_b32_e32 v25, v26, v27, vcc
	v_xor_b32_e32 v25, v25, v24
	v_sub_u32_e32 v25, v25, v24
	v_cmp_eq_u32_e32 vcc, v25, v3
	v_cmp_ne_u32_e64 s[0:1], v25, v3
	v_mov_b32_e32 v24, v22
	s_and_saveexec_b64 s[24:25], s[0:1]
	s_xor_b64 s[0:1], exec, s[24:25]
; %bb.14:                               ;   in Loop: Header=BB29_13 Depth=2
	v_min_i32_e32 v19, v25, v19
                                        ; implicit-def: $vgpr23
                                        ; implicit-def: $vgpr24
; %bb.15:                               ;   in Loop: Header=BB29_13 Depth=2
	s_or_saveexec_b64 s[0:1], s[0:1]
	v_mov_b32_e32 v22, v20
	s_xor_b64 exec, exec, s[0:1]
	s_cbranch_execz .LBB29_12
; %bb.16:                               ;   in Loop: Header=BB29_13 Depth=2
	global_load_dword v22, v[8:9], off
	v_sub_u32_e32 v23, v23, v21
	v_add_lshl_u32 v23, v12, v23, 2
	ds_write_b8 v10, v18 offset:1024
	s_waitcnt vmcnt(0)
	ds_write_b32 v23, v22
	v_mov_b32_e32 v22, v24
	s_branch .LBB29_12
.LBB29_17:                              ;   in Loop: Header=BB29_10 Depth=1
	s_or_b64 exec, exec, s[18:19]
.LBB29_18:                              ;   in Loop: Header=BB29_10 Depth=1
	s_or_b64 exec, exec, s[16:17]
	v_mov_b32_dpp v6, v22 row_shr:1 row_mask:0xf bank_mask:0xf
	v_min_i32_e32 v6, v6, v22
	s_waitcnt lgkmcnt(0)
	s_nop 0
	v_mov_b32_dpp v7, v6 row_shr:2 row_mask:0xf bank_mask:0xf
	v_min_i32_e32 v6, v7, v6
	ds_read_u8 v7, v10 offset:1024
	s_waitcnt lgkmcnt(0)
	v_and_b32_e32 v7, 1, v7
	v_mov_b32_dpp v8, v6 row_shr:4 row_mask:0xf bank_mask:0xe
	v_min_i32_e32 v6, v8, v6
	ds_bpermute_b32 v6, v14, v6
	v_cmp_eq_u32_e32 vcc, 1, v7
	v_mov_b32_e32 v7, 0
	s_and_saveexec_b64 s[0:1], vcc
	s_cbranch_execz .LBB29_9
; %bb.19:                               ;   in Loop: Header=BB29_10 Depth=1
	v_add_u32_e32 v7, s21, v3
	v_ashrrev_i32_e32 v3, 31, v2
	v_lshl_add_u64 v[8:9], v[2:3], 2, s[8:9]
	global_store_dword v[8:9], v7, off
	s_and_saveexec_b64 s[16:17], s[12:13]
	s_cbranch_execz .LBB29_8
; %bb.20:                               ;   in Loop: Header=BB29_10 Depth=1
	ds_read_b32 v7, v15
	v_mul_lo_u32 v20, s23, v2
	v_mul_lo_u32 v3, s6, v3
	v_mad_u64_u32 v[8:9], s[18:19], s6, v2, 0
	v_add3_u32 v9, v9, v3, v20
	v_lshl_add_u64 v[8:9], v[8:9], 2, v[0:1]
	s_waitcnt lgkmcnt(0)
	global_store_dword v[8:9], v7, off
	s_branch .LBB29_8
.LBB29_21:
	s_endpgm
	.section	.rodata,"a",@progbits
	.p2align	6, 0x0
	.amdhsa_kernel _ZN9rocsparseL44csr2gebsr_wavefront_per_row_multipass_kernelILi256ELi4ELi8ELi32EfEEv20rocsparse_direction_iiiiii21rocsparse_index_base_PKT3_PKiS7_S2_PS3_PiS9_
		.amdhsa_group_segment_fixed_size 1032
		.amdhsa_private_segment_fixed_size 0
		.amdhsa_kernarg_size 88
		.amdhsa_user_sgpr_count 2
		.amdhsa_user_sgpr_dispatch_ptr 0
		.amdhsa_user_sgpr_queue_ptr 0
		.amdhsa_user_sgpr_kernarg_segment_ptr 1
		.amdhsa_user_sgpr_dispatch_id 0
		.amdhsa_user_sgpr_kernarg_preload_length 0
		.amdhsa_user_sgpr_kernarg_preload_offset 0
		.amdhsa_user_sgpr_private_segment_size 0
		.amdhsa_uses_dynamic_stack 0
		.amdhsa_enable_private_segment 0
		.amdhsa_system_sgpr_workgroup_id_x 1
		.amdhsa_system_sgpr_workgroup_id_y 0
		.amdhsa_system_sgpr_workgroup_id_z 0
		.amdhsa_system_sgpr_workgroup_info 0
		.amdhsa_system_vgpr_workitem_id 0
		.amdhsa_next_free_vgpr 29
		.amdhsa_next_free_sgpr 26
		.amdhsa_accum_offset 32
		.amdhsa_reserve_vcc 1
		.amdhsa_float_round_mode_32 0
		.amdhsa_float_round_mode_16_64 0
		.amdhsa_float_denorm_mode_32 3
		.amdhsa_float_denorm_mode_16_64 3
		.amdhsa_dx10_clamp 1
		.amdhsa_ieee_mode 1
		.amdhsa_fp16_overflow 0
		.amdhsa_tg_split 0
		.amdhsa_exception_fp_ieee_invalid_op 0
		.amdhsa_exception_fp_denorm_src 0
		.amdhsa_exception_fp_ieee_div_zero 0
		.amdhsa_exception_fp_ieee_overflow 0
		.amdhsa_exception_fp_ieee_underflow 0
		.amdhsa_exception_fp_ieee_inexact 0
		.amdhsa_exception_int_div_zero 0
	.end_amdhsa_kernel
	.section	.text._ZN9rocsparseL44csr2gebsr_wavefront_per_row_multipass_kernelILi256ELi4ELi8ELi32EfEEv20rocsparse_direction_iiiiii21rocsparse_index_base_PKT3_PKiS7_S2_PS3_PiS9_,"axG",@progbits,_ZN9rocsparseL44csr2gebsr_wavefront_per_row_multipass_kernelILi256ELi4ELi8ELi32EfEEv20rocsparse_direction_iiiiii21rocsparse_index_base_PKT3_PKiS7_S2_PS3_PiS9_,comdat
.Lfunc_end29:
	.size	_ZN9rocsparseL44csr2gebsr_wavefront_per_row_multipass_kernelILi256ELi4ELi8ELi32EfEEv20rocsparse_direction_iiiiii21rocsparse_index_base_PKT3_PKiS7_S2_PS3_PiS9_, .Lfunc_end29-_ZN9rocsparseL44csr2gebsr_wavefront_per_row_multipass_kernelILi256ELi4ELi8ELi32EfEEv20rocsparse_direction_iiiiii21rocsparse_index_base_PKT3_PKiS7_S2_PS3_PiS9_
                                        ; -- End function
	.section	.AMDGPU.csdata,"",@progbits
; Kernel info:
; codeLenInByte = 1192
; NumSgprs: 32
; NumVgprs: 29
; NumAgprs: 0
; TotalNumVgprs: 29
; ScratchSize: 0
; MemoryBound: 0
; FloatMode: 240
; IeeeMode: 1
; LDSByteSize: 1032 bytes/workgroup (compile time only)
; SGPRBlocks: 3
; VGPRBlocks: 3
; NumSGPRsForWavesPerEU: 32
; NumVGPRsForWavesPerEU: 29
; AccumOffset: 32
; Occupancy: 8
; WaveLimiterHint : 0
; COMPUTE_PGM_RSRC2:SCRATCH_EN: 0
; COMPUTE_PGM_RSRC2:USER_SGPR: 2
; COMPUTE_PGM_RSRC2:TRAP_HANDLER: 0
; COMPUTE_PGM_RSRC2:TGID_X_EN: 1
; COMPUTE_PGM_RSRC2:TGID_Y_EN: 0
; COMPUTE_PGM_RSRC2:TGID_Z_EN: 0
; COMPUTE_PGM_RSRC2:TIDIG_COMP_CNT: 0
; COMPUTE_PGM_RSRC3_GFX90A:ACCUM_OFFSET: 7
; COMPUTE_PGM_RSRC3_GFX90A:TG_SPLIT: 0
	.section	.text._ZN9rocsparseL44csr2gebsr_wavefront_per_row_multipass_kernelILi256ELi4ELi16ELi64EfEEv20rocsparse_direction_iiiiii21rocsparse_index_base_PKT3_PKiS7_S2_PS3_PiS9_,"axG",@progbits,_ZN9rocsparseL44csr2gebsr_wavefront_per_row_multipass_kernelILi256ELi4ELi16ELi64EfEEv20rocsparse_direction_iiiiii21rocsparse_index_base_PKT3_PKiS7_S2_PS3_PiS9_,comdat
	.globl	_ZN9rocsparseL44csr2gebsr_wavefront_per_row_multipass_kernelILi256ELi4ELi16ELi64EfEEv20rocsparse_direction_iiiiii21rocsparse_index_base_PKT3_PKiS7_S2_PS3_PiS9_ ; -- Begin function _ZN9rocsparseL44csr2gebsr_wavefront_per_row_multipass_kernelILi256ELi4ELi16ELi64EfEEv20rocsparse_direction_iiiiii21rocsparse_index_base_PKT3_PKiS7_S2_PS3_PiS9_
	.p2align	8
	.type	_ZN9rocsparseL44csr2gebsr_wavefront_per_row_multipass_kernelILi256ELi4ELi16ELi64EfEEv20rocsparse_direction_iiiiii21rocsparse_index_base_PKT3_PKiS7_S2_PS3_PiS9_,@function
_ZN9rocsparseL44csr2gebsr_wavefront_per_row_multipass_kernelILi256ELi4ELi16ELi64EfEEv20rocsparse_direction_iiiiii21rocsparse_index_base_PKT3_PKiS7_S2_PS3_PiS9_: ; @_ZN9rocsparseL44csr2gebsr_wavefront_per_row_multipass_kernelILi256ELi4ELi16ELi64EfEEv20rocsparse_direction_iiiiii21rocsparse_index_base_PKT3_PKiS7_S2_PS3_PiS9_
; %bb.0:
	s_load_dwordx2 s[14:15], s[0:1], 0x0
	s_load_dwordx4 s[4:7], s[0:1], 0xc
	s_load_dword s20, s[0:1], 0x1c
	s_load_dwordx2 s[8:9], s[0:1], 0x28
	v_lshrrev_b32_e32 v10, 6, v0
	v_bfe_u32 v8, v0, 4, 2
	v_lshl_or_b32 v4, s2, 2, v10
	s_waitcnt lgkmcnt(0)
	v_mad_u64_u32 v[2:3], s[2:3], v4, s6, v[8:9]
	v_cmp_gt_i32_e64 s[2:3], s15, v2
	v_cmp_gt_i32_e32 vcc, s6, v8
	s_and_b64 s[2:3], vcc, s[2:3]
	v_mov_b32_e32 v11, 0
	v_mov_b32_e32 v6, 0
	s_and_saveexec_b64 s[10:11], s[2:3]
	s_cbranch_execz .LBB30_2
; %bb.1:
	v_ashrrev_i32_e32 v3, 31, v2
	v_lshl_add_u64 v[6:7], v[2:3], 2, s[8:9]
	global_load_dword v1, v[6:7], off
	s_waitcnt vmcnt(0)
	v_subrev_u32_e32 v6, s20, v1
.LBB30_2:
	s_or_b64 exec, exec, s[10:11]
	s_and_saveexec_b64 s[10:11], s[2:3]
	s_cbranch_execz .LBB30_4
; %bb.3:
	v_ashrrev_i32_e32 v3, 31, v2
	v_lshl_add_u64 v[2:3], v[2:3], 2, s[8:9]
	global_load_dword v1, v[2:3], off offset:4
	s_waitcnt vmcnt(0)
	v_subrev_u32_e32 v11, s20, v1
.LBB30_4:
	s_or_b64 exec, exec, s[10:11]
	s_load_dword s21, s[0:1], 0x38
	v_cmp_gt_i32_e64 s[2:3], s4, v4
	v_mov_b32_e32 v2, 0
	s_and_saveexec_b64 s[8:9], s[2:3]
	s_cbranch_execz .LBB30_6
; %bb.5:
	s_load_dwordx2 s[2:3], s[0:1], 0x48
	v_ashrrev_i32_e32 v5, 31, v4
	s_waitcnt lgkmcnt(0)
	v_lshl_add_u64 v[2:3], v[4:5], 2, s[2:3]
	global_load_dword v1, v[2:3], off
	s_waitcnt vmcnt(0)
	v_subrev_u32_e32 v2, s21, v1
.LBB30_6:
	s_or_b64 exec, exec, s[8:9]
	s_cmp_lt_i32 s5, 1
	s_cbranch_scc1 .LBB30_21
; %bb.7:
	v_and_b32_e32 v4, 15, v0
	s_load_dwordx2 s[2:3], s[0:1], 0x20
	s_load_dwordx2 s[8:9], s[0:1], 0x50
	;; [unrolled: 1-line block ×4, first 2 shown]
	v_cmp_gt_u32_e64 s[0:1], s7, v4
	s_and_b64 s[12:13], vcc, s[0:1]
	s_cmp_eq_u32 s14, 0
	s_cselect_b64 vcc, -1, 0
	s_abs_i32 s4, s7
	v_cvt_f32_u32_e32 v7, s4
	v_and_b32_e32 v0, 0xc0, v0
	v_lshl_or_b32 v12, v8, 4, v0
	v_mbcnt_lo_u32_b32 v0, -1, 0
	v_mbcnt_hi_u32_b32 v0, -1, v0
	v_lshlrev_b32_e32 v3, 2, v0
	v_or_b32_e32 v0, v12, v4
	v_mov_b32_e32 v5, 0
	v_rcp_iflag_f32_e32 v7, v7
	v_lshlrev_b32_e32 v15, 2, v0
	v_mul_lo_u32 v0, v4, s6
	v_mov_b32_e32 v1, v5
	v_lshlrev_b32_e32 v16, 2, v8
	v_mul_lo_u32 v8, v8, s7
	s_waitcnt lgkmcnt(0)
	v_lshl_add_u64 v[0:1], v[0:1], 2, s[16:17]
	v_mov_b32_e32 v17, v5
	v_ashrrev_i32_e32 v9, 31, v8
	v_lshl_add_u64 v[0:1], v[0:1], 0, v[16:17]
	v_lshl_add_u64 v[8:9], v[8:9], 2, s[16:17]
	v_lshlrev_b32_e32 v16, 2, v4
	v_or_b32_e32 v14, 60, v3
	v_lshl_add_u64 v[8:9], v[8:9], 0, v[16:17]
	v_or_b32_e32 v16, 0xfc, v3
	v_mul_f32_e32 v3, 0x4f7ffffe, v7
	v_cvt_u32_f32_e32 v3, v3
	s_ashr_i32 s22, s7, 31
	s_mul_hi_u32 s0, s7, s6
	s_mul_i32 s1, s22, s6
	s_add_i32 s23, s0, s1
	s_sub_i32 s0, 0, s4
	v_mul_lo_u32 v7, s0, v3
	v_mul_hi_u32 v7, v3, v7
	v_mov_b32_e32 v13, 0
	s_mul_i32 s6, s7, s6
	v_cndmask_b32_e32 v1, v1, v9, vcc
	v_cndmask_b32_e32 v0, v0, v8, vcc
	v_add_u32_e32 v17, v3, v7
	s_mov_b64 s[14:15], 0
	v_mov_b32_e32 v18, 1
	v_mov_b32_e32 v3, 0
	s_branch .LBB30_10
.LBB30_8:                               ;   in Loop: Header=BB30_10 Depth=1
	s_or_b64 exec, exec, s[16:17]
	v_mov_b32_e32 v7, 1
.LBB30_9:                               ;   in Loop: Header=BB30_10 Depth=1
	s_or_b64 exec, exec, s[0:1]
	v_mov_b32_dpp v3, v19 row_shr:1 row_mask:0xf bank_mask:0xf
	v_min_i32_e32 v3, v3, v19
	v_add_u32_e32 v2, v7, v2
	s_waitcnt lgkmcnt(0)
	v_mov_b32_dpp v8, v3 row_shr:2 row_mask:0xf bank_mask:0xf
	v_min_i32_e32 v3, v8, v3
	s_nop 1
	v_mov_b32_dpp v8, v3 row_shr:4 row_mask:0xf bank_mask:0xe
	v_min_i32_e32 v3, v8, v3
	s_nop 1
	;; [unrolled: 3-line block ×3, first 2 shown]
	v_mov_b32_dpp v8, v3 row_bcast:15 row_mask:0xa bank_mask:0xf
	v_min_i32_e32 v3, v8, v3
	s_nop 1
	v_mov_b32_dpp v8, v3 row_bcast:31 row_mask:0xc bank_mask:0xf
	v_min_i32_e32 v3, v8, v3
	ds_bpermute_b32 v3, v16, v3
	s_waitcnt lgkmcnt(0)
	v_cmp_le_i32_e32 vcc, s5, v3
	s_or_b64 s[14:15], vcc, s[14:15]
	s_andn2_b64 exec, exec, s[14:15]
	s_cbranch_execz .LBB30_21
.LBB30_10:                              ; =>This Loop Header: Depth=1
                                        ;     Child Loop BB30_13 Depth 2
	v_add_u32_e32 v20, v6, v4
	v_cmp_lt_i32_e32 vcc, v20, v11
	v_mov_b32_e32 v19, s5
	v_mov_b32_e32 v22, v11
	ds_write_b8 v10, v13 offset:1024
	ds_write_b32 v15, v5
	s_waitcnt lgkmcnt(0)
	s_and_saveexec_b64 s[16:17], vcc
	s_cbranch_execz .LBB30_18
; %bb.11:                               ;   in Loop: Header=BB30_10 Depth=1
	v_ashrrev_i32_e32 v7, 31, v6
	v_lshl_add_u64 v[6:7], v[4:5], 0, v[6:7]
	v_lshlrev_b64 v[8:9], 2, v[6:7]
	v_mul_lo_u32 v21, v3, s7
	v_lshl_add_u64 v[6:7], s[10:11], 0, v[8:9]
	v_lshl_add_u64 v[8:9], s[2:3], 0, v[8:9]
	s_mov_b64 s[18:19], 0
	v_mov_b32_e32 v19, s5
	v_mov_b32_e32 v22, v11
	s_branch .LBB30_13
.LBB30_12:                              ;   in Loop: Header=BB30_13 Depth=2
	s_or_b64 exec, exec, s[0:1]
	v_add_u32_e32 v20, 16, v20
	v_cmp_ge_i32_e64 s[0:1], v20, v11
	s_xor_b64 s[24:25], vcc, -1
	s_or_b64 s[0:1], s[24:25], s[0:1]
	s_and_b64 s[0:1], exec, s[0:1]
	v_lshl_add_u64 v[6:7], v[6:7], 0, 64
	s_or_b64 s[18:19], s[0:1], s[18:19]
	v_lshl_add_u64 v[8:9], v[8:9], 0, 64
	s_andn2_b64 exec, exec, s[18:19]
	s_cbranch_execz .LBB30_17
.LBB30_13:                              ;   Parent Loop BB30_10 Depth=1
                                        ; =>  This Inner Loop Header: Depth=2
	global_load_dword v23, v[6:7], off
	s_waitcnt vmcnt(0)
	v_subrev_u32_e32 v23, s20, v23
	v_sub_u32_e32 v25, 0, v23
	v_max_i32_e32 v25, v23, v25
	v_mul_hi_u32 v26, v25, v17
	v_mul_lo_u32 v27, v26, s4
	v_sub_u32_e32 v25, v25, v27
	v_add_u32_e32 v28, 1, v26
	v_cmp_le_u32_e32 vcc, s4, v25
	v_subrev_u32_e32 v27, s4, v25
	v_ashrrev_i32_e32 v24, 31, v23
	v_cndmask_b32_e32 v26, v26, v28, vcc
	v_cndmask_b32_e32 v25, v25, v27, vcc
	v_add_u32_e32 v27, 1, v26
	v_cmp_le_u32_e32 vcc, s4, v25
	v_xor_b32_e32 v24, s22, v24
	s_nop 0
	v_cndmask_b32_e32 v25, v26, v27, vcc
	v_xor_b32_e32 v25, v25, v24
	v_sub_u32_e32 v25, v25, v24
	v_cmp_eq_u32_e32 vcc, v25, v3
	v_cmp_ne_u32_e64 s[0:1], v25, v3
	v_mov_b32_e32 v24, v22
	s_and_saveexec_b64 s[24:25], s[0:1]
	s_xor_b64 s[0:1], exec, s[24:25]
; %bb.14:                               ;   in Loop: Header=BB30_13 Depth=2
	v_min_i32_e32 v19, v25, v19
                                        ; implicit-def: $vgpr23
                                        ; implicit-def: $vgpr24
; %bb.15:                               ;   in Loop: Header=BB30_13 Depth=2
	s_or_saveexec_b64 s[0:1], s[0:1]
	v_mov_b32_e32 v22, v20
	s_xor_b64 exec, exec, s[0:1]
	s_cbranch_execz .LBB30_12
; %bb.16:                               ;   in Loop: Header=BB30_13 Depth=2
	global_load_dword v22, v[8:9], off
	v_sub_u32_e32 v23, v23, v21
	v_add_lshl_u32 v23, v12, v23, 2
	ds_write_b8 v10, v18 offset:1024
	s_waitcnt vmcnt(0)
	ds_write_b32 v23, v22
	v_mov_b32_e32 v22, v24
	s_branch .LBB30_12
.LBB30_17:                              ;   in Loop: Header=BB30_10 Depth=1
	s_or_b64 exec, exec, s[18:19]
.LBB30_18:                              ;   in Loop: Header=BB30_10 Depth=1
	s_or_b64 exec, exec, s[16:17]
	v_mov_b32_dpp v6, v22 row_shr:1 row_mask:0xf bank_mask:0xf
	v_min_i32_e32 v6, v6, v22
	s_waitcnt lgkmcnt(0)
	s_nop 0
	v_mov_b32_dpp v7, v6 row_shr:2 row_mask:0xf bank_mask:0xf
	v_min_i32_e32 v6, v7, v6
	s_nop 1
	v_mov_b32_dpp v7, v6 row_shr:4 row_mask:0xf bank_mask:0xe
	v_min_i32_e32 v6, v7, v6
	ds_read_u8 v7, v10 offset:1024
	s_waitcnt lgkmcnt(0)
	v_and_b32_e32 v7, 1, v7
	v_mov_b32_dpp v8, v6 row_shr:8 row_mask:0xf bank_mask:0xc
	v_min_i32_e32 v6, v8, v6
	ds_bpermute_b32 v6, v14, v6
	v_cmp_eq_u32_e32 vcc, 1, v7
	v_mov_b32_e32 v7, 0
	s_and_saveexec_b64 s[0:1], vcc
	s_cbranch_execz .LBB30_9
; %bb.19:                               ;   in Loop: Header=BB30_10 Depth=1
	v_add_u32_e32 v7, s21, v3
	v_ashrrev_i32_e32 v3, 31, v2
	v_lshl_add_u64 v[8:9], v[2:3], 2, s[8:9]
	global_store_dword v[8:9], v7, off
	s_and_saveexec_b64 s[16:17], s[12:13]
	s_cbranch_execz .LBB30_8
; %bb.20:                               ;   in Loop: Header=BB30_10 Depth=1
	ds_read_b32 v7, v15
	v_mul_lo_u32 v20, s23, v2
	v_mul_lo_u32 v3, s6, v3
	v_mad_u64_u32 v[8:9], s[18:19], s6, v2, 0
	v_add3_u32 v9, v9, v3, v20
	v_lshl_add_u64 v[8:9], v[8:9], 2, v[0:1]
	s_waitcnt lgkmcnt(0)
	global_store_dword v[8:9], v7, off
	s_branch .LBB30_8
.LBB30_21:
	s_endpgm
	.section	.rodata,"a",@progbits
	.p2align	6, 0x0
	.amdhsa_kernel _ZN9rocsparseL44csr2gebsr_wavefront_per_row_multipass_kernelILi256ELi4ELi16ELi64EfEEv20rocsparse_direction_iiiiii21rocsparse_index_base_PKT3_PKiS7_S2_PS3_PiS9_
		.amdhsa_group_segment_fixed_size 1028
		.amdhsa_private_segment_fixed_size 0
		.amdhsa_kernarg_size 88
		.amdhsa_user_sgpr_count 2
		.amdhsa_user_sgpr_dispatch_ptr 0
		.amdhsa_user_sgpr_queue_ptr 0
		.amdhsa_user_sgpr_kernarg_segment_ptr 1
		.amdhsa_user_sgpr_dispatch_id 0
		.amdhsa_user_sgpr_kernarg_preload_length 0
		.amdhsa_user_sgpr_kernarg_preload_offset 0
		.amdhsa_user_sgpr_private_segment_size 0
		.amdhsa_uses_dynamic_stack 0
		.amdhsa_enable_private_segment 0
		.amdhsa_system_sgpr_workgroup_id_x 1
		.amdhsa_system_sgpr_workgroup_id_y 0
		.amdhsa_system_sgpr_workgroup_id_z 0
		.amdhsa_system_sgpr_workgroup_info 0
		.amdhsa_system_vgpr_workitem_id 0
		.amdhsa_next_free_vgpr 29
		.amdhsa_next_free_sgpr 26
		.amdhsa_accum_offset 32
		.amdhsa_reserve_vcc 1
		.amdhsa_float_round_mode_32 0
		.amdhsa_float_round_mode_16_64 0
		.amdhsa_float_denorm_mode_32 3
		.amdhsa_float_denorm_mode_16_64 3
		.amdhsa_dx10_clamp 1
		.amdhsa_ieee_mode 1
		.amdhsa_fp16_overflow 0
		.amdhsa_tg_split 0
		.amdhsa_exception_fp_ieee_invalid_op 0
		.amdhsa_exception_fp_denorm_src 0
		.amdhsa_exception_fp_ieee_div_zero 0
		.amdhsa_exception_fp_ieee_overflow 0
		.amdhsa_exception_fp_ieee_underflow 0
		.amdhsa_exception_fp_ieee_inexact 0
		.amdhsa_exception_int_div_zero 0
	.end_amdhsa_kernel
	.section	.text._ZN9rocsparseL44csr2gebsr_wavefront_per_row_multipass_kernelILi256ELi4ELi16ELi64EfEEv20rocsparse_direction_iiiiii21rocsparse_index_base_PKT3_PKiS7_S2_PS3_PiS9_,"axG",@progbits,_ZN9rocsparseL44csr2gebsr_wavefront_per_row_multipass_kernelILi256ELi4ELi16ELi64EfEEv20rocsparse_direction_iiiiii21rocsparse_index_base_PKT3_PKiS7_S2_PS3_PiS9_,comdat
.Lfunc_end30:
	.size	_ZN9rocsparseL44csr2gebsr_wavefront_per_row_multipass_kernelILi256ELi4ELi16ELi64EfEEv20rocsparse_direction_iiiiii21rocsparse_index_base_PKT3_PKiS7_S2_PS3_PiS9_, .Lfunc_end30-_ZN9rocsparseL44csr2gebsr_wavefront_per_row_multipass_kernelILi256ELi4ELi16ELi64EfEEv20rocsparse_direction_iiiiii21rocsparse_index_base_PKT3_PKiS7_S2_PS3_PiS9_
                                        ; -- End function
	.section	.AMDGPU.csdata,"",@progbits
; Kernel info:
; codeLenInByte = 1224
; NumSgprs: 32
; NumVgprs: 29
; NumAgprs: 0
; TotalNumVgprs: 29
; ScratchSize: 0
; MemoryBound: 0
; FloatMode: 240
; IeeeMode: 1
; LDSByteSize: 1028 bytes/workgroup (compile time only)
; SGPRBlocks: 3
; VGPRBlocks: 3
; NumSGPRsForWavesPerEU: 32
; NumVGPRsForWavesPerEU: 29
; AccumOffset: 32
; Occupancy: 8
; WaveLimiterHint : 0
; COMPUTE_PGM_RSRC2:SCRATCH_EN: 0
; COMPUTE_PGM_RSRC2:USER_SGPR: 2
; COMPUTE_PGM_RSRC2:TRAP_HANDLER: 0
; COMPUTE_PGM_RSRC2:TGID_X_EN: 1
; COMPUTE_PGM_RSRC2:TGID_Y_EN: 0
; COMPUTE_PGM_RSRC2:TGID_Z_EN: 0
; COMPUTE_PGM_RSRC2:TIDIG_COMP_CNT: 0
; COMPUTE_PGM_RSRC3_GFX90A:ACCUM_OFFSET: 7
; COMPUTE_PGM_RSRC3_GFX90A:TG_SPLIT: 0
	.section	.text._ZN9rocsparseL44csr2gebsr_wavefront_per_row_multipass_kernelILi256ELi4ELi16ELi32EfEEv20rocsparse_direction_iiiiii21rocsparse_index_base_PKT3_PKiS7_S2_PS3_PiS9_,"axG",@progbits,_ZN9rocsparseL44csr2gebsr_wavefront_per_row_multipass_kernelILi256ELi4ELi16ELi32EfEEv20rocsparse_direction_iiiiii21rocsparse_index_base_PKT3_PKiS7_S2_PS3_PiS9_,comdat
	.globl	_ZN9rocsparseL44csr2gebsr_wavefront_per_row_multipass_kernelILi256ELi4ELi16ELi32EfEEv20rocsparse_direction_iiiiii21rocsparse_index_base_PKT3_PKiS7_S2_PS3_PiS9_ ; -- Begin function _ZN9rocsparseL44csr2gebsr_wavefront_per_row_multipass_kernelILi256ELi4ELi16ELi32EfEEv20rocsparse_direction_iiiiii21rocsparse_index_base_PKT3_PKiS7_S2_PS3_PiS9_
	.p2align	8
	.type	_ZN9rocsparseL44csr2gebsr_wavefront_per_row_multipass_kernelILi256ELi4ELi16ELi32EfEEv20rocsparse_direction_iiiiii21rocsparse_index_base_PKT3_PKiS7_S2_PS3_PiS9_,@function
_ZN9rocsparseL44csr2gebsr_wavefront_per_row_multipass_kernelILi256ELi4ELi16ELi32EfEEv20rocsparse_direction_iiiiii21rocsparse_index_base_PKT3_PKiS7_S2_PS3_PiS9_: ; @_ZN9rocsparseL44csr2gebsr_wavefront_per_row_multipass_kernelILi256ELi4ELi16ELi32EfEEv20rocsparse_direction_iiiiii21rocsparse_index_base_PKT3_PKiS7_S2_PS3_PiS9_
; %bb.0:
	s_load_dwordx2 s[14:15], s[0:1], 0x0
	s_load_dwordx4 s[4:7], s[0:1], 0xc
	s_load_dword s24, s[0:1], 0x1c
	s_load_dwordx2 s[8:9], s[0:1], 0x28
	v_lshrrev_b32_e32 v18, 5, v0
	v_bfe_u32 v6, v0, 3, 2
	v_lshl_or_b32 v4, s2, 3, v18
	s_waitcnt lgkmcnt(0)
	v_mad_u64_u32 v[2:3], s[2:3], v4, s6, v[6:7]
	v_cmp_gt_i32_e64 s[2:3], s15, v2
	v_cmp_gt_i32_e32 vcc, s6, v6
	s_and_b64 s[2:3], vcc, s[2:3]
	v_mov_b32_e32 v19, 0
	v_mov_b32_e32 v12, 0
	s_and_saveexec_b64 s[10:11], s[2:3]
	s_cbranch_execz .LBB31_2
; %bb.1:
	v_ashrrev_i32_e32 v3, 31, v2
	v_lshl_add_u64 v[8:9], v[2:3], 2, s[8:9]
	global_load_dword v1, v[8:9], off
	s_waitcnt vmcnt(0)
	v_subrev_u32_e32 v12, s24, v1
.LBB31_2:
	s_or_b64 exec, exec, s[10:11]
	s_and_saveexec_b64 s[10:11], s[2:3]
	s_cbranch_execz .LBB31_4
; %bb.3:
	v_ashrrev_i32_e32 v3, 31, v2
	v_lshl_add_u64 v[2:3], v[2:3], 2, s[8:9]
	global_load_dword v1, v[2:3], off offset:4
	s_waitcnt vmcnt(0)
	v_subrev_u32_e32 v19, s24, v1
.LBB31_4:
	s_or_b64 exec, exec, s[10:11]
	s_load_dword s25, s[0:1], 0x38
	v_cmp_gt_i32_e64 s[2:3], s4, v4
	v_mov_b32_e32 v2, 0
	s_and_saveexec_b64 s[8:9], s[2:3]
	s_cbranch_execz .LBB31_6
; %bb.5:
	s_load_dwordx2 s[2:3], s[0:1], 0x48
	v_ashrrev_i32_e32 v5, 31, v4
	s_waitcnt lgkmcnt(0)
	v_lshl_add_u64 v[2:3], v[4:5], 2, s[2:3]
	global_load_dword v1, v[2:3], off
	s_waitcnt vmcnt(0)
	v_subrev_u32_e32 v2, s25, v1
.LBB31_6:
	s_or_b64 exec, exec, s[8:9]
	s_cmp_lt_i32 s5, 1
	s_cbranch_scc1 .LBB31_30
; %bb.7:
	v_lshlrev_b32_e32 v1, 6, v18
	v_lshl_or_b32 v20, v6, 4, v1
	v_mbcnt_lo_u32_b32 v1, -1, 0
	v_mbcnt_hi_u32_b32 v1, -1, v1
	s_cmp_lg_u32 s14, 0
	v_lshlrev_b32_e32 v3, 2, v1
	s_cselect_b64 s[14:15], -1, 0
	s_abs_i32 s28, s7
	v_or_b32_e32 v22, 28, v3
	v_or_b32_e32 v23, 0x7c, v3
	v_cvt_f32_u32_e32 v3, s28
	s_load_dwordx2 s[8:9], s[0:1], 0x20
	s_load_dwordx2 s[10:11], s[0:1], 0x50
	;; [unrolled: 1-line block ×4, first 2 shown]
	s_ashr_i32 s4, s7, 31
	v_and_b32_e32 v0, 7, v0
	v_rcp_iflag_f32_e32 v3, v3
	s_mul_hi_u32 s0, s7, s6
	s_mul_i32 s1, s4, s6
	s_add_i32 s26, s0, s1
	v_mul_f32_e32 v3, 0x4f7ffffe, v3
	v_cvt_u32_f32_e32 v3, v3
	v_lshlrev_b32_e32 v4, 2, v6
	v_mul_lo_u32 v6, v6, s7
	v_cmp_gt_u32_e64 s[0:1], s7, v0
	v_or_b32_e32 v10, v20, v0
	v_mov_b32_e32 v1, 0
	v_ashrrev_i32_e32 v7, 31, v6
	s_and_b64 s[16:17], s[0:1], vcc
	s_sub_i32 s0, 0, s28
	v_mov_b32_e32 v5, v1
	s_waitcnt lgkmcnt(0)
	v_lshl_add_u64 v[6:7], v[6:7], 2, s[2:3]
	v_lshlrev_b32_e32 v8, 2, v0
	v_mov_b32_e32 v9, v1
	v_lshlrev_b32_e32 v24, 2, v10
	v_or_b32_e32 v10, 8, v0
	v_mul_lo_u32 v13, s0, v3
	v_lshl_add_u64 v[4:5], s[2:3], 0, v[4:5]
	v_lshl_add_u64 v[6:7], v[6:7], 0, v[8:9]
	v_mul_lo_u32 v8, v0, s6
	v_cmp_gt_u32_e64 s[2:3], s7, v10
	v_mul_hi_u32 v13, v3, v13
	v_mov_b32_e32 v21, 0
	s_mul_i32 s27, s7, s6
	v_lshl_add_u32 v10, s6, 3, v8
	v_mov_b32_e32 v11, v1
	v_or_b32_e32 v25, 32, v24
	s_and_b64 s[2:3], vcc, s[2:3]
	v_add_u32_e32 v26, v3, v13
	s_mov_b64 s[18:19], 0
	v_mov_b32_e32 v27, 1
	v_mov_b32_e32 v3, 0
	s_branch .LBB31_11
.LBB31_8:                               ;   in Loop: Header=BB31_11 Depth=1
	v_mov_b32_e32 v13, s6
.LBB31_9:                               ;   in Loop: Header=BB31_11 Depth=1
	s_or_b64 exec, exec, s[20:21]
.LBB31_10:                              ;   in Loop: Header=BB31_11 Depth=1
	s_or_b64 exec, exec, s[0:1]
	v_mov_b32_dpp v3, v28 row_shr:1 row_mask:0xf bank_mask:0xf
	v_min_i32_e32 v3, v3, v28
	v_add_u32_e32 v2, v13, v2
	s_waitcnt lgkmcnt(0)
	v_mov_b32_dpp v14, v3 row_shr:2 row_mask:0xf bank_mask:0xf
	v_min_i32_e32 v3, v14, v3
	s_nop 1
	v_mov_b32_dpp v14, v3 row_shr:4 row_mask:0xf bank_mask:0xe
	v_min_i32_e32 v3, v14, v3
	s_nop 1
	;; [unrolled: 3-line block ×3, first 2 shown]
	v_mov_b32_dpp v14, v3 row_bcast:15 row_mask:0xa bank_mask:0xf
	v_min_i32_e32 v3, v14, v3
	ds_bpermute_b32 v3, v23, v3
	s_waitcnt lgkmcnt(0)
	v_cmp_le_i32_e32 vcc, s5, v3
	s_or_b64 s[18:19], vcc, s[18:19]
	s_andn2_b64 exec, exec, s[18:19]
	s_cbranch_execz .LBB31_30
.LBB31_11:                              ; =>This Loop Header: Depth=1
                                        ;     Child Loop BB31_14 Depth 2
	v_add_u32_e32 v16, v12, v0
	v_cmp_lt_i32_e32 vcc, v16, v19
	v_mov_b32_e32 v28, s5
	v_mov_b32_e32 v29, v19
	ds_write_b8 v18, v21 offset:2048
	ds_write_b32 v24, v1
	ds_write_b32 v25, v1
	s_waitcnt lgkmcnt(0)
	s_and_saveexec_b64 s[20:21], vcc
	s_cbranch_execz .LBB31_19
; %bb.12:                               ;   in Loop: Header=BB31_11 Depth=1
	v_ashrrev_i32_e32 v13, 31, v12
	v_lshl_add_u64 v[12:13], v[0:1], 0, v[12:13]
	v_lshlrev_b64 v[14:15], 2, v[12:13]
	v_mul_lo_u32 v17, v3, s7
	v_lshl_add_u64 v[12:13], s[12:13], 0, v[14:15]
	v_lshl_add_u64 v[14:15], s[8:9], 0, v[14:15]
	s_mov_b64 s[22:23], 0
	v_mov_b32_e32 v28, s5
	v_mov_b32_e32 v29, v19
	s_branch .LBB31_14
.LBB31_13:                              ;   in Loop: Header=BB31_14 Depth=2
	s_or_b64 exec, exec, s[0:1]
	v_add_u32_e32 v16, 8, v16
	v_cmp_ge_i32_e64 s[0:1], v16, v19
	s_xor_b64 s[30:31], vcc, -1
	s_or_b64 s[0:1], s[30:31], s[0:1]
	s_and_b64 s[0:1], exec, s[0:1]
	v_lshl_add_u64 v[12:13], v[12:13], 0, 32
	s_or_b64 s[22:23], s[0:1], s[22:23]
	v_lshl_add_u64 v[14:15], v[14:15], 0, 32
	s_andn2_b64 exec, exec, s[22:23]
	s_cbranch_execz .LBB31_18
.LBB31_14:                              ;   Parent Loop BB31_11 Depth=1
                                        ; =>  This Inner Loop Header: Depth=2
	global_load_dword v30, v[12:13], off
	s_waitcnt vmcnt(0)
	v_subrev_u32_e32 v30, s24, v30
	v_sub_u32_e32 v32, 0, v30
	v_max_i32_e32 v32, v30, v32
	v_mul_hi_u32 v33, v32, v26
	v_mul_lo_u32 v34, v33, s28
	v_sub_u32_e32 v32, v32, v34
	v_add_u32_e32 v35, 1, v33
	v_cmp_le_u32_e32 vcc, s28, v32
	v_subrev_u32_e32 v34, s28, v32
	v_ashrrev_i32_e32 v31, 31, v30
	v_cndmask_b32_e32 v33, v33, v35, vcc
	v_cndmask_b32_e32 v32, v32, v34, vcc
	v_add_u32_e32 v34, 1, v33
	v_cmp_le_u32_e32 vcc, s28, v32
	v_xor_b32_e32 v31, s4, v31
	s_nop 0
	v_cndmask_b32_e32 v32, v33, v34, vcc
	v_xor_b32_e32 v32, v32, v31
	v_sub_u32_e32 v32, v32, v31
	v_cmp_eq_u32_e32 vcc, v32, v3
	v_cmp_ne_u32_e64 s[0:1], v32, v3
	v_mov_b32_e32 v31, v29
	s_and_saveexec_b64 s[30:31], s[0:1]
	s_xor_b64 s[0:1], exec, s[30:31]
; %bb.15:                               ;   in Loop: Header=BB31_14 Depth=2
	v_min_i32_e32 v28, v32, v28
                                        ; implicit-def: $vgpr30
                                        ; implicit-def: $vgpr31
; %bb.16:                               ;   in Loop: Header=BB31_14 Depth=2
	s_or_saveexec_b64 s[0:1], s[0:1]
	v_mov_b32_e32 v29, v16
	s_xor_b64 exec, exec, s[0:1]
	s_cbranch_execz .LBB31_13
; %bb.17:                               ;   in Loop: Header=BB31_14 Depth=2
	global_load_dword v29, v[14:15], off
	v_sub_u32_e32 v30, v30, v17
	v_add_lshl_u32 v30, v20, v30, 2
	ds_write_b8 v18, v27 offset:2048
	s_waitcnt vmcnt(0)
	ds_write_b32 v30, v29
	v_mov_b32_e32 v29, v31
	s_branch .LBB31_13
.LBB31_18:                              ;   in Loop: Header=BB31_11 Depth=1
	s_or_b64 exec, exec, s[22:23]
.LBB31_19:                              ;   in Loop: Header=BB31_11 Depth=1
	s_or_b64 exec, exec, s[20:21]
	v_mov_b32_dpp v12, v29 row_shr:1 row_mask:0xf bank_mask:0xf
	v_min_i32_e32 v12, v12, v29
	s_waitcnt lgkmcnt(0)
	s_nop 0
	v_mov_b32_dpp v13, v12 row_shr:2 row_mask:0xf bank_mask:0xf
	v_min_i32_e32 v12, v13, v12
	ds_read_u8 v13, v18 offset:2048
	s_waitcnt lgkmcnt(0)
	v_and_b32_e32 v13, 1, v13
	v_mov_b32_dpp v14, v12 row_shr:4 row_mask:0xf bank_mask:0xe
	v_min_i32_e32 v12, v14, v12
	ds_bpermute_b32 v12, v22, v12
	v_cmp_eq_u32_e32 vcc, 1, v13
	v_mov_b32_e32 v13, 0
	s_and_saveexec_b64 s[0:1], vcc
	s_cbranch_execz .LBB31_10
; %bb.20:                               ;   in Loop: Header=BB31_11 Depth=1
	v_add_u32_e32 v13, s25, v3
	v_ashrrev_i32_e32 v3, 31, v2
	v_lshl_add_u64 v[14:15], v[2:3], 2, s[10:11]
	global_store_dword v[14:15], v13, off
	v_mul_lo_u32 v13, s26, v2
	v_mul_lo_u32 v3, s27, v3
	v_mad_u64_u32 v[14:15], s[20:21], s27, v2, 0
	v_add3_u32 v15, v15, v3, v13
	v_lshlrev_b64 v[14:15], 2, v[14:15]
	v_lshl_add_u64 v[16:17], v[4:5], 0, v[14:15]
	v_lshl_add_u64 v[14:15], v[6:7], 0, v[14:15]
	s_and_saveexec_b64 s[20:21], s[16:17]
	s_cbranch_execz .LBB31_24
; %bb.21:                               ;   in Loop: Header=BB31_11 Depth=1
	s_and_b64 vcc, exec, s[14:15]
	s_cbranch_vccz .LBB31_27
; %bb.22:                               ;   in Loop: Header=BB31_11 Depth=1
	ds_read_b32 v3, v24
	v_lshl_add_u64 v[30:31], v[8:9], 2, v[16:17]
	s_waitcnt lgkmcnt(0)
	global_store_dword v[30:31], v3, off
	s_cbranch_execnz .LBB31_24
.LBB31_23:                              ;   in Loop: Header=BB31_11 Depth=1
	ds_read_b32 v3, v24
	s_waitcnt lgkmcnt(0)
	global_store_dword v[14:15], v3, off
.LBB31_24:                              ;   in Loop: Header=BB31_11 Depth=1
	s_or_b64 exec, exec, s[20:21]
	v_mov_b32_e32 v13, 1
	s_and_saveexec_b64 s[20:21], s[2:3]
	s_cbranch_execz .LBB31_9
; %bb.25:                               ;   in Loop: Header=BB31_11 Depth=1
	s_andn2_b64 vcc, exec, s[14:15]
	s_cbranch_vccnz .LBB31_28
; %bb.26:                               ;   in Loop: Header=BB31_11 Depth=1
	ds_read_b32 v3, v24 offset:32
	v_lshl_add_u64 v[16:17], v[10:11], 2, v[16:17]
	s_mov_b32 s6, 1
	s_waitcnt lgkmcnt(0)
	global_store_dword v[16:17], v3, off
	s_cbranch_execnz .LBB31_8
	s_branch .LBB31_29
.LBB31_27:                              ;   in Loop: Header=BB31_11 Depth=1
	s_branch .LBB31_23
.LBB31_28:                              ;   in Loop: Header=BB31_11 Depth=1
                                        ; implicit-def: $sgpr6
.LBB31_29:                              ;   in Loop: Header=BB31_11 Depth=1
	ds_read_b32 v3, v24 offset:32
	s_mov_b32 s6, 1
	s_waitcnt lgkmcnt(0)
	global_store_dword v[14:15], v3, off offset:32
	s_branch .LBB31_8
.LBB31_30:
	s_endpgm
	.section	.rodata,"a",@progbits
	.p2align	6, 0x0
	.amdhsa_kernel _ZN9rocsparseL44csr2gebsr_wavefront_per_row_multipass_kernelILi256ELi4ELi16ELi32EfEEv20rocsparse_direction_iiiiii21rocsparse_index_base_PKT3_PKiS7_S2_PS3_PiS9_
		.amdhsa_group_segment_fixed_size 2056
		.amdhsa_private_segment_fixed_size 0
		.amdhsa_kernarg_size 88
		.amdhsa_user_sgpr_count 2
		.amdhsa_user_sgpr_dispatch_ptr 0
		.amdhsa_user_sgpr_queue_ptr 0
		.amdhsa_user_sgpr_kernarg_segment_ptr 1
		.amdhsa_user_sgpr_dispatch_id 0
		.amdhsa_user_sgpr_kernarg_preload_length 0
		.amdhsa_user_sgpr_kernarg_preload_offset 0
		.amdhsa_user_sgpr_private_segment_size 0
		.amdhsa_uses_dynamic_stack 0
		.amdhsa_enable_private_segment 0
		.amdhsa_system_sgpr_workgroup_id_x 1
		.amdhsa_system_sgpr_workgroup_id_y 0
		.amdhsa_system_sgpr_workgroup_id_z 0
		.amdhsa_system_sgpr_workgroup_info 0
		.amdhsa_system_vgpr_workitem_id 0
		.amdhsa_next_free_vgpr 36
		.amdhsa_next_free_sgpr 32
		.amdhsa_accum_offset 36
		.amdhsa_reserve_vcc 1
		.amdhsa_float_round_mode_32 0
		.amdhsa_float_round_mode_16_64 0
		.amdhsa_float_denorm_mode_32 3
		.amdhsa_float_denorm_mode_16_64 3
		.amdhsa_dx10_clamp 1
		.amdhsa_ieee_mode 1
		.amdhsa_fp16_overflow 0
		.amdhsa_tg_split 0
		.amdhsa_exception_fp_ieee_invalid_op 0
		.amdhsa_exception_fp_denorm_src 0
		.amdhsa_exception_fp_ieee_div_zero 0
		.amdhsa_exception_fp_ieee_overflow 0
		.amdhsa_exception_fp_ieee_underflow 0
		.amdhsa_exception_fp_ieee_inexact 0
		.amdhsa_exception_int_div_zero 0
	.end_amdhsa_kernel
	.section	.text._ZN9rocsparseL44csr2gebsr_wavefront_per_row_multipass_kernelILi256ELi4ELi16ELi32EfEEv20rocsparse_direction_iiiiii21rocsparse_index_base_PKT3_PKiS7_S2_PS3_PiS9_,"axG",@progbits,_ZN9rocsparseL44csr2gebsr_wavefront_per_row_multipass_kernelILi256ELi4ELi16ELi32EfEEv20rocsparse_direction_iiiiii21rocsparse_index_base_PKT3_PKiS7_S2_PS3_PiS9_,comdat
.Lfunc_end31:
	.size	_ZN9rocsparseL44csr2gebsr_wavefront_per_row_multipass_kernelILi256ELi4ELi16ELi32EfEEv20rocsparse_direction_iiiiii21rocsparse_index_base_PKT3_PKiS7_S2_PS3_PiS9_, .Lfunc_end31-_ZN9rocsparseL44csr2gebsr_wavefront_per_row_multipass_kernelILi256ELi4ELi16ELi32EfEEv20rocsparse_direction_iiiiii21rocsparse_index_base_PKT3_PKiS7_S2_PS3_PiS9_
                                        ; -- End function
	.section	.AMDGPU.csdata,"",@progbits
; Kernel info:
; codeLenInByte = 1360
; NumSgprs: 38
; NumVgprs: 36
; NumAgprs: 0
; TotalNumVgprs: 36
; ScratchSize: 0
; MemoryBound: 0
; FloatMode: 240
; IeeeMode: 1
; LDSByteSize: 2056 bytes/workgroup (compile time only)
; SGPRBlocks: 4
; VGPRBlocks: 4
; NumSGPRsForWavesPerEU: 38
; NumVGPRsForWavesPerEU: 36
; AccumOffset: 36
; Occupancy: 8
; WaveLimiterHint : 0
; COMPUTE_PGM_RSRC2:SCRATCH_EN: 0
; COMPUTE_PGM_RSRC2:USER_SGPR: 2
; COMPUTE_PGM_RSRC2:TRAP_HANDLER: 0
; COMPUTE_PGM_RSRC2:TGID_X_EN: 1
; COMPUTE_PGM_RSRC2:TGID_Y_EN: 0
; COMPUTE_PGM_RSRC2:TGID_Z_EN: 0
; COMPUTE_PGM_RSRC2:TIDIG_COMP_CNT: 0
; COMPUTE_PGM_RSRC3_GFX90A:ACCUM_OFFSET: 8
; COMPUTE_PGM_RSRC3_GFX90A:TG_SPLIT: 0
	.section	.text._ZN9rocsparseL44csr2gebsr_wavefront_per_row_multipass_kernelILi256ELi4ELi32ELi64EfEEv20rocsparse_direction_iiiiii21rocsparse_index_base_PKT3_PKiS7_S2_PS3_PiS9_,"axG",@progbits,_ZN9rocsparseL44csr2gebsr_wavefront_per_row_multipass_kernelILi256ELi4ELi32ELi64EfEEv20rocsparse_direction_iiiiii21rocsparse_index_base_PKT3_PKiS7_S2_PS3_PiS9_,comdat
	.globl	_ZN9rocsparseL44csr2gebsr_wavefront_per_row_multipass_kernelILi256ELi4ELi32ELi64EfEEv20rocsparse_direction_iiiiii21rocsparse_index_base_PKT3_PKiS7_S2_PS3_PiS9_ ; -- Begin function _ZN9rocsparseL44csr2gebsr_wavefront_per_row_multipass_kernelILi256ELi4ELi32ELi64EfEEv20rocsparse_direction_iiiiii21rocsparse_index_base_PKT3_PKiS7_S2_PS3_PiS9_
	.p2align	8
	.type	_ZN9rocsparseL44csr2gebsr_wavefront_per_row_multipass_kernelILi256ELi4ELi32ELi64EfEEv20rocsparse_direction_iiiiii21rocsparse_index_base_PKT3_PKiS7_S2_PS3_PiS9_,@function
_ZN9rocsparseL44csr2gebsr_wavefront_per_row_multipass_kernelILi256ELi4ELi32ELi64EfEEv20rocsparse_direction_iiiiii21rocsparse_index_base_PKT3_PKiS7_S2_PS3_PiS9_: ; @_ZN9rocsparseL44csr2gebsr_wavefront_per_row_multipass_kernelILi256ELi4ELi32ELi64EfEEv20rocsparse_direction_iiiiii21rocsparse_index_base_PKT3_PKiS7_S2_PS3_PiS9_
; %bb.0:
	s_load_dwordx2 s[14:15], s[0:1], 0x0
	s_load_dwordx4 s[4:7], s[0:1], 0xc
	s_load_dword s24, s[0:1], 0x1c
	s_load_dwordx2 s[8:9], s[0:1], 0x28
	v_lshrrev_b32_e32 v18, 6, v0
	v_bfe_u32 v6, v0, 4, 2
	v_lshl_or_b32 v4, s2, 2, v18
	s_waitcnt lgkmcnt(0)
	v_mad_u64_u32 v[2:3], s[2:3], v4, s6, v[6:7]
	v_cmp_gt_i32_e64 s[2:3], s15, v2
	v_cmp_gt_i32_e32 vcc, s6, v6
	s_and_b64 s[2:3], vcc, s[2:3]
	v_mov_b32_e32 v19, 0
	v_mov_b32_e32 v12, 0
	s_and_saveexec_b64 s[10:11], s[2:3]
	s_cbranch_execz .LBB32_2
; %bb.1:
	v_ashrrev_i32_e32 v3, 31, v2
	v_lshl_add_u64 v[8:9], v[2:3], 2, s[8:9]
	global_load_dword v1, v[8:9], off
	s_waitcnt vmcnt(0)
	v_subrev_u32_e32 v12, s24, v1
.LBB32_2:
	s_or_b64 exec, exec, s[10:11]
	s_and_saveexec_b64 s[10:11], s[2:3]
	s_cbranch_execz .LBB32_4
; %bb.3:
	v_ashrrev_i32_e32 v3, 31, v2
	v_lshl_add_u64 v[2:3], v[2:3], 2, s[8:9]
	global_load_dword v1, v[2:3], off offset:4
	s_waitcnt vmcnt(0)
	v_subrev_u32_e32 v19, s24, v1
.LBB32_4:
	s_or_b64 exec, exec, s[10:11]
	s_load_dword s25, s[0:1], 0x38
	v_cmp_gt_i32_e64 s[2:3], s4, v4
	v_mov_b32_e32 v2, 0
	s_and_saveexec_b64 s[8:9], s[2:3]
	s_cbranch_execz .LBB32_6
; %bb.5:
	s_load_dwordx2 s[2:3], s[0:1], 0x48
	v_ashrrev_i32_e32 v5, 31, v4
	s_waitcnt lgkmcnt(0)
	v_lshl_add_u64 v[2:3], v[4:5], 2, s[2:3]
	global_load_dword v1, v[2:3], off
	s_waitcnt vmcnt(0)
	v_subrev_u32_e32 v2, s25, v1
.LBB32_6:
	s_or_b64 exec, exec, s[8:9]
	s_cmp_lt_i32 s5, 1
	s_cbranch_scc1 .LBB32_30
; %bb.7:
	v_lshlrev_b32_e32 v1, 7, v18
	v_lshl_or_b32 v20, v6, 5, v1
	v_mbcnt_lo_u32_b32 v1, -1, 0
	v_mbcnt_hi_u32_b32 v1, -1, v1
	s_cmp_lg_u32 s14, 0
	v_lshlrev_b32_e32 v3, 2, v1
	s_cselect_b64 s[14:15], -1, 0
	s_abs_i32 s28, s7
	v_or_b32_e32 v22, 60, v3
	v_or_b32_e32 v23, 0xfc, v3
	v_cvt_f32_u32_e32 v3, s28
	s_load_dwordx2 s[8:9], s[0:1], 0x20
	s_load_dwordx2 s[10:11], s[0:1], 0x50
	;; [unrolled: 1-line block ×4, first 2 shown]
	s_ashr_i32 s4, s7, 31
	v_and_b32_e32 v0, 15, v0
	v_rcp_iflag_f32_e32 v3, v3
	s_mul_hi_u32 s0, s7, s6
	s_mul_i32 s1, s4, s6
	s_add_i32 s26, s0, s1
	v_mul_f32_e32 v3, 0x4f7ffffe, v3
	v_cvt_u32_f32_e32 v3, v3
	v_lshlrev_b32_e32 v4, 2, v6
	v_mul_lo_u32 v6, v6, s7
	v_cmp_gt_u32_e64 s[0:1], s7, v0
	v_or_b32_e32 v10, v20, v0
	v_mov_b32_e32 v1, 0
	v_ashrrev_i32_e32 v7, 31, v6
	s_and_b64 s[16:17], s[0:1], vcc
	s_sub_i32 s0, 0, s28
	v_mov_b32_e32 v5, v1
	s_waitcnt lgkmcnt(0)
	v_lshl_add_u64 v[6:7], v[6:7], 2, s[2:3]
	v_lshlrev_b32_e32 v8, 2, v0
	v_mov_b32_e32 v9, v1
	v_lshlrev_b32_e32 v24, 2, v10
	v_or_b32_e32 v10, 16, v0
	v_mul_lo_u32 v13, s0, v3
	v_lshl_add_u64 v[4:5], s[2:3], 0, v[4:5]
	v_lshl_add_u64 v[6:7], v[6:7], 0, v[8:9]
	v_mul_lo_u32 v8, v0, s6
	v_cmp_gt_u32_e64 s[2:3], s7, v10
	v_mul_hi_u32 v13, v3, v13
	v_mov_b32_e32 v21, 0
	s_mul_i32 s27, s7, s6
	v_lshl_add_u32 v10, s6, 4, v8
	v_mov_b32_e32 v11, v1
	v_or_b32_e32 v25, 64, v24
	s_and_b64 s[2:3], vcc, s[2:3]
	v_add_u32_e32 v26, v3, v13
	s_mov_b64 s[18:19], 0
	v_mov_b32_e32 v27, 1
	v_mov_b32_e32 v3, 0
	s_branch .LBB32_11
.LBB32_8:                               ;   in Loop: Header=BB32_11 Depth=1
	v_mov_b32_e32 v13, s6
.LBB32_9:                               ;   in Loop: Header=BB32_11 Depth=1
	s_or_b64 exec, exec, s[20:21]
.LBB32_10:                              ;   in Loop: Header=BB32_11 Depth=1
	s_or_b64 exec, exec, s[0:1]
	v_mov_b32_dpp v3, v28 row_shr:1 row_mask:0xf bank_mask:0xf
	v_min_i32_e32 v3, v3, v28
	v_add_u32_e32 v2, v13, v2
	s_waitcnt lgkmcnt(0)
	v_mov_b32_dpp v14, v3 row_shr:2 row_mask:0xf bank_mask:0xf
	v_min_i32_e32 v3, v14, v3
	s_nop 1
	v_mov_b32_dpp v14, v3 row_shr:4 row_mask:0xf bank_mask:0xe
	v_min_i32_e32 v3, v14, v3
	s_nop 1
	;; [unrolled: 3-line block ×3, first 2 shown]
	v_mov_b32_dpp v14, v3 row_bcast:15 row_mask:0xa bank_mask:0xf
	v_min_i32_e32 v3, v14, v3
	s_nop 1
	v_mov_b32_dpp v14, v3 row_bcast:31 row_mask:0xc bank_mask:0xf
	v_min_i32_e32 v3, v14, v3
	ds_bpermute_b32 v3, v23, v3
	s_waitcnt lgkmcnt(0)
	v_cmp_le_i32_e32 vcc, s5, v3
	s_or_b64 s[18:19], vcc, s[18:19]
	s_andn2_b64 exec, exec, s[18:19]
	s_cbranch_execz .LBB32_30
.LBB32_11:                              ; =>This Loop Header: Depth=1
                                        ;     Child Loop BB32_14 Depth 2
	v_add_u32_e32 v16, v12, v0
	v_cmp_lt_i32_e32 vcc, v16, v19
	v_mov_b32_e32 v28, s5
	v_mov_b32_e32 v29, v19
	ds_write_b8 v18, v21 offset:2048
	ds_write_b32 v24, v1
	ds_write_b32 v25, v1
	s_waitcnt lgkmcnt(0)
	s_and_saveexec_b64 s[20:21], vcc
	s_cbranch_execz .LBB32_19
; %bb.12:                               ;   in Loop: Header=BB32_11 Depth=1
	v_ashrrev_i32_e32 v13, 31, v12
	v_lshl_add_u64 v[12:13], v[0:1], 0, v[12:13]
	v_lshlrev_b64 v[14:15], 2, v[12:13]
	v_mul_lo_u32 v17, v3, s7
	v_lshl_add_u64 v[12:13], s[12:13], 0, v[14:15]
	v_lshl_add_u64 v[14:15], s[8:9], 0, v[14:15]
	s_mov_b64 s[22:23], 0
	v_mov_b32_e32 v28, s5
	v_mov_b32_e32 v29, v19
	s_branch .LBB32_14
.LBB32_13:                              ;   in Loop: Header=BB32_14 Depth=2
	s_or_b64 exec, exec, s[0:1]
	v_add_u32_e32 v16, 16, v16
	v_cmp_ge_i32_e64 s[0:1], v16, v19
	s_xor_b64 s[30:31], vcc, -1
	s_or_b64 s[0:1], s[30:31], s[0:1]
	s_and_b64 s[0:1], exec, s[0:1]
	v_lshl_add_u64 v[12:13], v[12:13], 0, 64
	s_or_b64 s[22:23], s[0:1], s[22:23]
	v_lshl_add_u64 v[14:15], v[14:15], 0, 64
	s_andn2_b64 exec, exec, s[22:23]
	s_cbranch_execz .LBB32_18
.LBB32_14:                              ;   Parent Loop BB32_11 Depth=1
                                        ; =>  This Inner Loop Header: Depth=2
	global_load_dword v30, v[12:13], off
	s_waitcnt vmcnt(0)
	v_subrev_u32_e32 v30, s24, v30
	v_sub_u32_e32 v32, 0, v30
	v_max_i32_e32 v32, v30, v32
	v_mul_hi_u32 v33, v32, v26
	v_mul_lo_u32 v34, v33, s28
	v_sub_u32_e32 v32, v32, v34
	v_add_u32_e32 v35, 1, v33
	v_cmp_le_u32_e32 vcc, s28, v32
	v_subrev_u32_e32 v34, s28, v32
	v_ashrrev_i32_e32 v31, 31, v30
	v_cndmask_b32_e32 v33, v33, v35, vcc
	v_cndmask_b32_e32 v32, v32, v34, vcc
	v_add_u32_e32 v34, 1, v33
	v_cmp_le_u32_e32 vcc, s28, v32
	v_xor_b32_e32 v31, s4, v31
	s_nop 0
	v_cndmask_b32_e32 v32, v33, v34, vcc
	v_xor_b32_e32 v32, v32, v31
	v_sub_u32_e32 v32, v32, v31
	v_cmp_eq_u32_e32 vcc, v32, v3
	v_cmp_ne_u32_e64 s[0:1], v32, v3
	v_mov_b32_e32 v31, v29
	s_and_saveexec_b64 s[30:31], s[0:1]
	s_xor_b64 s[0:1], exec, s[30:31]
; %bb.15:                               ;   in Loop: Header=BB32_14 Depth=2
	v_min_i32_e32 v28, v32, v28
                                        ; implicit-def: $vgpr30
                                        ; implicit-def: $vgpr31
; %bb.16:                               ;   in Loop: Header=BB32_14 Depth=2
	s_or_saveexec_b64 s[0:1], s[0:1]
	v_mov_b32_e32 v29, v16
	s_xor_b64 exec, exec, s[0:1]
	s_cbranch_execz .LBB32_13
; %bb.17:                               ;   in Loop: Header=BB32_14 Depth=2
	global_load_dword v29, v[14:15], off
	v_sub_u32_e32 v30, v30, v17
	v_add_lshl_u32 v30, v20, v30, 2
	ds_write_b8 v18, v27 offset:2048
	s_waitcnt vmcnt(0)
	ds_write_b32 v30, v29
	v_mov_b32_e32 v29, v31
	s_branch .LBB32_13
.LBB32_18:                              ;   in Loop: Header=BB32_11 Depth=1
	s_or_b64 exec, exec, s[22:23]
.LBB32_19:                              ;   in Loop: Header=BB32_11 Depth=1
	s_or_b64 exec, exec, s[20:21]
	v_mov_b32_dpp v12, v29 row_shr:1 row_mask:0xf bank_mask:0xf
	v_min_i32_e32 v12, v12, v29
	s_waitcnt lgkmcnt(0)
	s_nop 0
	v_mov_b32_dpp v13, v12 row_shr:2 row_mask:0xf bank_mask:0xf
	v_min_i32_e32 v12, v13, v12
	s_nop 1
	v_mov_b32_dpp v13, v12 row_shr:4 row_mask:0xf bank_mask:0xe
	v_min_i32_e32 v12, v13, v12
	ds_read_u8 v13, v18 offset:2048
	s_waitcnt lgkmcnt(0)
	v_and_b32_e32 v13, 1, v13
	v_mov_b32_dpp v14, v12 row_shr:8 row_mask:0xf bank_mask:0xc
	v_min_i32_e32 v12, v14, v12
	ds_bpermute_b32 v12, v22, v12
	v_cmp_eq_u32_e32 vcc, 1, v13
	v_mov_b32_e32 v13, 0
	s_and_saveexec_b64 s[0:1], vcc
	s_cbranch_execz .LBB32_10
; %bb.20:                               ;   in Loop: Header=BB32_11 Depth=1
	v_add_u32_e32 v13, s25, v3
	v_ashrrev_i32_e32 v3, 31, v2
	v_lshl_add_u64 v[14:15], v[2:3], 2, s[10:11]
	global_store_dword v[14:15], v13, off
	v_mul_lo_u32 v13, s26, v2
	v_mul_lo_u32 v3, s27, v3
	v_mad_u64_u32 v[14:15], s[20:21], s27, v2, 0
	v_add3_u32 v15, v15, v3, v13
	v_lshlrev_b64 v[14:15], 2, v[14:15]
	v_lshl_add_u64 v[16:17], v[4:5], 0, v[14:15]
	v_lshl_add_u64 v[14:15], v[6:7], 0, v[14:15]
	s_and_saveexec_b64 s[20:21], s[16:17]
	s_cbranch_execz .LBB32_24
; %bb.21:                               ;   in Loop: Header=BB32_11 Depth=1
	s_and_b64 vcc, exec, s[14:15]
	s_cbranch_vccz .LBB32_27
; %bb.22:                               ;   in Loop: Header=BB32_11 Depth=1
	ds_read_b32 v3, v24
	v_lshl_add_u64 v[30:31], v[8:9], 2, v[16:17]
	s_waitcnt lgkmcnt(0)
	global_store_dword v[30:31], v3, off
	s_cbranch_execnz .LBB32_24
.LBB32_23:                              ;   in Loop: Header=BB32_11 Depth=1
	ds_read_b32 v3, v24
	s_waitcnt lgkmcnt(0)
	global_store_dword v[14:15], v3, off
.LBB32_24:                              ;   in Loop: Header=BB32_11 Depth=1
	s_or_b64 exec, exec, s[20:21]
	v_mov_b32_e32 v13, 1
	s_and_saveexec_b64 s[20:21], s[2:3]
	s_cbranch_execz .LBB32_9
; %bb.25:                               ;   in Loop: Header=BB32_11 Depth=1
	s_andn2_b64 vcc, exec, s[14:15]
	s_cbranch_vccnz .LBB32_28
; %bb.26:                               ;   in Loop: Header=BB32_11 Depth=1
	ds_read_b32 v3, v24 offset:64
	v_lshl_add_u64 v[16:17], v[10:11], 2, v[16:17]
	s_mov_b32 s6, 1
	s_waitcnt lgkmcnt(0)
	global_store_dword v[16:17], v3, off
	s_cbranch_execnz .LBB32_8
	s_branch .LBB32_29
.LBB32_27:                              ;   in Loop: Header=BB32_11 Depth=1
	s_branch .LBB32_23
.LBB32_28:                              ;   in Loop: Header=BB32_11 Depth=1
                                        ; implicit-def: $sgpr6
.LBB32_29:                              ;   in Loop: Header=BB32_11 Depth=1
	ds_read_b32 v3, v24 offset:64
	s_mov_b32 s6, 1
	s_waitcnt lgkmcnt(0)
	global_store_dword v[14:15], v3, off offset:64
	s_branch .LBB32_8
.LBB32_30:
	s_endpgm
	.section	.rodata,"a",@progbits
	.p2align	6, 0x0
	.amdhsa_kernel _ZN9rocsparseL44csr2gebsr_wavefront_per_row_multipass_kernelILi256ELi4ELi32ELi64EfEEv20rocsparse_direction_iiiiii21rocsparse_index_base_PKT3_PKiS7_S2_PS3_PiS9_
		.amdhsa_group_segment_fixed_size 2052
		.amdhsa_private_segment_fixed_size 0
		.amdhsa_kernarg_size 88
		.amdhsa_user_sgpr_count 2
		.amdhsa_user_sgpr_dispatch_ptr 0
		.amdhsa_user_sgpr_queue_ptr 0
		.amdhsa_user_sgpr_kernarg_segment_ptr 1
		.amdhsa_user_sgpr_dispatch_id 0
		.amdhsa_user_sgpr_kernarg_preload_length 0
		.amdhsa_user_sgpr_kernarg_preload_offset 0
		.amdhsa_user_sgpr_private_segment_size 0
		.amdhsa_uses_dynamic_stack 0
		.amdhsa_enable_private_segment 0
		.amdhsa_system_sgpr_workgroup_id_x 1
		.amdhsa_system_sgpr_workgroup_id_y 0
		.amdhsa_system_sgpr_workgroup_id_z 0
		.amdhsa_system_sgpr_workgroup_info 0
		.amdhsa_system_vgpr_workitem_id 0
		.amdhsa_next_free_vgpr 36
		.amdhsa_next_free_sgpr 32
		.amdhsa_accum_offset 36
		.amdhsa_reserve_vcc 1
		.amdhsa_float_round_mode_32 0
		.amdhsa_float_round_mode_16_64 0
		.amdhsa_float_denorm_mode_32 3
		.amdhsa_float_denorm_mode_16_64 3
		.amdhsa_dx10_clamp 1
		.amdhsa_ieee_mode 1
		.amdhsa_fp16_overflow 0
		.amdhsa_tg_split 0
		.amdhsa_exception_fp_ieee_invalid_op 0
		.amdhsa_exception_fp_denorm_src 0
		.amdhsa_exception_fp_ieee_div_zero 0
		.amdhsa_exception_fp_ieee_overflow 0
		.amdhsa_exception_fp_ieee_underflow 0
		.amdhsa_exception_fp_ieee_inexact 0
		.amdhsa_exception_int_div_zero 0
	.end_amdhsa_kernel
	.section	.text._ZN9rocsparseL44csr2gebsr_wavefront_per_row_multipass_kernelILi256ELi4ELi32ELi64EfEEv20rocsparse_direction_iiiiii21rocsparse_index_base_PKT3_PKiS7_S2_PS3_PiS9_,"axG",@progbits,_ZN9rocsparseL44csr2gebsr_wavefront_per_row_multipass_kernelILi256ELi4ELi32ELi64EfEEv20rocsparse_direction_iiiiii21rocsparse_index_base_PKT3_PKiS7_S2_PS3_PiS9_,comdat
.Lfunc_end32:
	.size	_ZN9rocsparseL44csr2gebsr_wavefront_per_row_multipass_kernelILi256ELi4ELi32ELi64EfEEv20rocsparse_direction_iiiiii21rocsparse_index_base_PKT3_PKiS7_S2_PS3_PiS9_, .Lfunc_end32-_ZN9rocsparseL44csr2gebsr_wavefront_per_row_multipass_kernelILi256ELi4ELi32ELi64EfEEv20rocsparse_direction_iiiiii21rocsparse_index_base_PKT3_PKiS7_S2_PS3_PiS9_
                                        ; -- End function
	.section	.AMDGPU.csdata,"",@progbits
; Kernel info:
; codeLenInByte = 1392
; NumSgprs: 38
; NumVgprs: 36
; NumAgprs: 0
; TotalNumVgprs: 36
; ScratchSize: 0
; MemoryBound: 0
; FloatMode: 240
; IeeeMode: 1
; LDSByteSize: 2052 bytes/workgroup (compile time only)
; SGPRBlocks: 4
; VGPRBlocks: 4
; NumSGPRsForWavesPerEU: 38
; NumVGPRsForWavesPerEU: 36
; AccumOffset: 36
; Occupancy: 8
; WaveLimiterHint : 0
; COMPUTE_PGM_RSRC2:SCRATCH_EN: 0
; COMPUTE_PGM_RSRC2:USER_SGPR: 2
; COMPUTE_PGM_RSRC2:TRAP_HANDLER: 0
; COMPUTE_PGM_RSRC2:TGID_X_EN: 1
; COMPUTE_PGM_RSRC2:TGID_Y_EN: 0
; COMPUTE_PGM_RSRC2:TGID_Z_EN: 0
; COMPUTE_PGM_RSRC2:TIDIG_COMP_CNT: 0
; COMPUTE_PGM_RSRC3_GFX90A:ACCUM_OFFSET: 8
; COMPUTE_PGM_RSRC3_GFX90A:TG_SPLIT: 0
	.section	.text._ZN9rocsparseL44csr2gebsr_wavefront_per_row_multipass_kernelILi256ELi4ELi32ELi32EfEEv20rocsparse_direction_iiiiii21rocsparse_index_base_PKT3_PKiS7_S2_PS3_PiS9_,"axG",@progbits,_ZN9rocsparseL44csr2gebsr_wavefront_per_row_multipass_kernelILi256ELi4ELi32ELi32EfEEv20rocsparse_direction_iiiiii21rocsparse_index_base_PKT3_PKiS7_S2_PS3_PiS9_,comdat
	.globl	_ZN9rocsparseL44csr2gebsr_wavefront_per_row_multipass_kernelILi256ELi4ELi32ELi32EfEEv20rocsparse_direction_iiiiii21rocsparse_index_base_PKT3_PKiS7_S2_PS3_PiS9_ ; -- Begin function _ZN9rocsparseL44csr2gebsr_wavefront_per_row_multipass_kernelILi256ELi4ELi32ELi32EfEEv20rocsparse_direction_iiiiii21rocsparse_index_base_PKT3_PKiS7_S2_PS3_PiS9_
	.p2align	8
	.type	_ZN9rocsparseL44csr2gebsr_wavefront_per_row_multipass_kernelILi256ELi4ELi32ELi32EfEEv20rocsparse_direction_iiiiii21rocsparse_index_base_PKT3_PKiS7_S2_PS3_PiS9_,@function
_ZN9rocsparseL44csr2gebsr_wavefront_per_row_multipass_kernelILi256ELi4ELi32ELi32EfEEv20rocsparse_direction_iiiiii21rocsparse_index_base_PKT3_PKiS7_S2_PS3_PiS9_: ; @_ZN9rocsparseL44csr2gebsr_wavefront_per_row_multipass_kernelILi256ELi4ELi32ELi32EfEEv20rocsparse_direction_iiiiii21rocsparse_index_base_PKT3_PKiS7_S2_PS3_PiS9_
; %bb.0:
	s_load_dwordx2 s[4:5], s[0:1], 0x0
	s_load_dwordx4 s[8:11], s[0:1], 0xc
	s_load_dword s30, s[0:1], 0x1c
	s_load_dwordx2 s[6:7], s[0:1], 0x28
	v_lshrrev_b32_e32 v22, 5, v0
	v_bfe_u32 v6, v0, 3, 2
	v_lshl_or_b32 v4, s2, 3, v22
	s_waitcnt lgkmcnt(0)
	v_mad_u64_u32 v[2:3], s[2:3], v4, s10, v[6:7]
	v_cmp_gt_i32_e64 s[2:3], s5, v2
	v_cmp_gt_i32_e32 vcc, s10, v6
	s_and_b64 s[2:3], vcc, s[2:3]
	v_mov_b32_e32 v23, 0
	v_mov_b32_e32 v16, 0
	s_and_saveexec_b64 s[12:13], s[2:3]
	s_cbranch_execz .LBB33_2
; %bb.1:
	v_ashrrev_i32_e32 v3, 31, v2
	v_lshl_add_u64 v[8:9], v[2:3], 2, s[6:7]
	global_load_dword v1, v[8:9], off
	s_waitcnt vmcnt(0)
	v_subrev_u32_e32 v16, s30, v1
.LBB33_2:
	s_or_b64 exec, exec, s[12:13]
	s_and_saveexec_b64 s[12:13], s[2:3]
	s_cbranch_execz .LBB33_4
; %bb.3:
	v_ashrrev_i32_e32 v3, 31, v2
	v_lshl_add_u64 v[2:3], v[2:3], 2, s[6:7]
	global_load_dword v1, v[2:3], off offset:4
	s_waitcnt vmcnt(0)
	v_subrev_u32_e32 v23, s30, v1
.LBB33_4:
	s_or_b64 exec, exec, s[12:13]
	s_load_dword s31, s[0:1], 0x38
	v_cmp_gt_i32_e64 s[2:3], s8, v4
	v_mov_b32_e32 v2, 0
	s_and_saveexec_b64 s[6:7], s[2:3]
	s_cbranch_execz .LBB33_6
; %bb.5:
	s_load_dwordx2 s[2:3], s[0:1], 0x48
	v_ashrrev_i32_e32 v5, 31, v4
	s_waitcnt lgkmcnt(0)
	v_lshl_add_u64 v[2:3], v[4:5], 2, s[2:3]
	global_load_dword v1, v[2:3], off
	s_waitcnt vmcnt(0)
	v_subrev_u32_e32 v2, s31, v1
.LBB33_6:
	s_or_b64 exec, exec, s[6:7]
	s_cmp_lt_i32 s9, 1
	s_cbranch_scc1 .LBB33_40
; %bb.7:
	s_load_dwordx2 s[12:13], s[0:1], 0x20
	s_load_dwordx2 s[14:15], s[0:1], 0x50
	;; [unrolled: 1-line block ×4, first 2 shown]
	v_lshlrev_b32_e32 v1, 7, v22
	v_lshl_or_b32 v24, v6, 5, v1
	v_mbcnt_lo_u32_b32 v1, -1, 0
	v_mbcnt_hi_u32_b32 v1, -1, v1
	v_lshlrev_b32_e32 v4, 2, v6
	v_mul_lo_u32 v6, v6, s11
	v_and_b32_e32 v0, 7, v0
	v_lshlrev_b32_e32 v3, 2, v1
	s_cmp_lg_u32 s4, 0
	v_mov_b32_e32 v1, 0
	v_ashrrev_i32_e32 v7, 31, v6
	s_cselect_b64 s[18:19], -1, 0
	s_ashr_i32 s8, s11, 31
	s_waitcnt lgkmcnt(0)
	v_lshl_add_u64 v[6:7], v[6:7], 2, s[2:3]
	v_lshlrev_b32_e32 v8, 2, v0
	v_mov_b32_e32 v9, v1
	v_or_b32_e32 v10, v24, v0
	s_mul_hi_u32 s0, s11, s10
	s_mul_i32 s1, s8, s10
	s_mul_i32 s34, s11, s10
	v_lshl_add_u64 v[6:7], v[6:7], 0, v[8:9]
	v_mul_lo_u32 v8, v0, s10
	s_lshl_b32 s10, s10, 3
	v_or_b32_e32 v26, 28, v3
	v_mov_b32_e32 v5, v1
	v_or_b32_e32 v27, 0x7c, v3
	v_lshlrev_b32_e32 v28, 2, v10
	v_or_b32_e32 v3, 8, v0
	v_add_u32_e32 v10, s10, v8
	v_lshl_add_u64 v[4:5], s[2:3], 0, v[4:5]
	v_cmp_gt_u32_e64 s[2:3], s11, v3
	v_or_b32_e32 v3, 16, v0
	v_add_u32_e32 v12, s10, v10
	v_cmp_gt_u32_e64 s[4:5], s11, v3
	v_or_b32_e32 v3, 24, v0
	v_add_u32_e32 v14, s10, v12
	s_abs_i32 s10, s11
	v_cmp_gt_u32_e64 s[6:7], s11, v3
	v_cvt_f32_u32_e32 v3, s10
	s_add_i32 s33, s0, s1
	v_cmp_gt_u32_e64 s[0:1], s11, v0
	s_and_b64 s[20:21], s[0:1], vcc
	v_rcp_iflag_f32_e32 v3, v3
	s_sub_i32 s0, 0, s10
	v_mov_b32_e32 v25, 0
	v_mov_b32_e32 v11, v1
	v_mul_f32_e32 v3, 0x4f7ffffe, v3
	v_cvt_u32_f32_e32 v3, v3
	v_mov_b32_e32 v13, v1
	v_mov_b32_e32 v15, v1
	v_or_b32_e32 v29, 32, v28
	v_mul_lo_u32 v17, s0, v3
	v_mul_hi_u32 v17, v3, v17
	v_or_b32_e32 v30, 64, v28
	v_or_b32_e32 v31, 0x60, v28
	s_and_b64 s[2:3], vcc, s[2:3]
	s_and_b64 s[4:5], vcc, s[4:5]
	;; [unrolled: 1-line block ×3, first 2 shown]
	v_add_u32_e32 v32, v3, v17
	s_mov_b64 s[22:23], 0
	v_mov_b32_e32 v33, 1
	v_mov_b32_e32 v3, 0
	s_branch .LBB33_11
.LBB33_8:                               ;   in Loop: Header=BB33_11 Depth=1
	v_mov_b32_e32 v17, s28
.LBB33_9:                               ;   in Loop: Header=BB33_11 Depth=1
	s_or_b64 exec, exec, s[26:27]
.LBB33_10:                              ;   in Loop: Header=BB33_11 Depth=1
	s_or_b64 exec, exec, s[24:25]
	v_mov_b32_dpp v3, v34 row_shr:1 row_mask:0xf bank_mask:0xf
	v_min_i32_e32 v3, v3, v34
	v_add_u32_e32 v2, v17, v2
	s_waitcnt lgkmcnt(0)
	v_mov_b32_dpp v18, v3 row_shr:2 row_mask:0xf bank_mask:0xf
	v_min_i32_e32 v3, v18, v3
	s_nop 1
	v_mov_b32_dpp v18, v3 row_shr:4 row_mask:0xf bank_mask:0xe
	v_min_i32_e32 v3, v18, v3
	s_nop 1
	;; [unrolled: 3-line block ×3, first 2 shown]
	v_mov_b32_dpp v18, v3 row_bcast:15 row_mask:0xa bank_mask:0xf
	v_min_i32_e32 v3, v18, v3
	ds_bpermute_b32 v3, v27, v3
	s_waitcnt lgkmcnt(0)
	v_cmp_le_i32_e32 vcc, s9, v3
	s_or_b64 s[22:23], vcc, s[22:23]
	s_andn2_b64 exec, exec, s[22:23]
	s_cbranch_execz .LBB33_40
.LBB33_11:                              ; =>This Loop Header: Depth=1
                                        ;     Child Loop BB33_14 Depth 2
	v_add_u32_e32 v20, v16, v0
	v_cmp_lt_i32_e32 vcc, v20, v23
	v_mov_b32_e32 v34, s9
	v_mov_b32_e32 v35, v23
	ds_write_b8 v22, v25 offset:4096
	ds_write_b32 v28, v1
	ds_write_b32 v29, v1
	;; [unrolled: 1-line block ×4, first 2 shown]
	s_waitcnt lgkmcnt(0)
	s_and_saveexec_b64 s[24:25], vcc
	s_cbranch_execz .LBB33_19
; %bb.12:                               ;   in Loop: Header=BB33_11 Depth=1
	v_ashrrev_i32_e32 v17, 31, v16
	v_lshl_add_u64 v[16:17], v[0:1], 0, v[16:17]
	v_lshlrev_b64 v[18:19], 2, v[16:17]
	v_mul_lo_u32 v21, v3, s11
	v_lshl_add_u64 v[16:17], s[16:17], 0, v[18:19]
	v_lshl_add_u64 v[18:19], s[12:13], 0, v[18:19]
	s_mov_b64 s[26:27], 0
	v_mov_b32_e32 v34, s9
	v_mov_b32_e32 v35, v23
	s_branch .LBB33_14
.LBB33_13:                              ;   in Loop: Header=BB33_14 Depth=2
	s_or_b64 exec, exec, s[0:1]
	v_add_u32_e32 v20, 8, v20
	v_cmp_ge_i32_e64 s[0:1], v20, v23
	s_xor_b64 s[28:29], vcc, -1
	s_or_b64 s[0:1], s[28:29], s[0:1]
	s_and_b64 s[0:1], exec, s[0:1]
	v_lshl_add_u64 v[16:17], v[16:17], 0, 32
	s_or_b64 s[26:27], s[0:1], s[26:27]
	v_lshl_add_u64 v[18:19], v[18:19], 0, 32
	s_andn2_b64 exec, exec, s[26:27]
	s_cbranch_execz .LBB33_18
.LBB33_14:                              ;   Parent Loop BB33_11 Depth=1
                                        ; =>  This Inner Loop Header: Depth=2
	global_load_dword v36, v[16:17], off
	s_waitcnt vmcnt(0)
	v_subrev_u32_e32 v36, s30, v36
	v_sub_u32_e32 v38, 0, v36
	v_max_i32_e32 v38, v36, v38
	v_mul_hi_u32 v39, v38, v32
	v_mul_lo_u32 v40, v39, s10
	v_sub_u32_e32 v38, v38, v40
	v_add_u32_e32 v41, 1, v39
	v_cmp_le_u32_e32 vcc, s10, v38
	v_subrev_u32_e32 v40, s10, v38
	v_ashrrev_i32_e32 v37, 31, v36
	v_cndmask_b32_e32 v39, v39, v41, vcc
	v_cndmask_b32_e32 v38, v38, v40, vcc
	v_add_u32_e32 v40, 1, v39
	v_cmp_le_u32_e32 vcc, s10, v38
	v_xor_b32_e32 v37, s8, v37
	s_nop 0
	v_cndmask_b32_e32 v38, v39, v40, vcc
	v_xor_b32_e32 v38, v38, v37
	v_sub_u32_e32 v38, v38, v37
	v_cmp_eq_u32_e32 vcc, v38, v3
	v_cmp_ne_u32_e64 s[0:1], v38, v3
	v_mov_b32_e32 v37, v35
	s_and_saveexec_b64 s[28:29], s[0:1]
	s_xor_b64 s[0:1], exec, s[28:29]
; %bb.15:                               ;   in Loop: Header=BB33_14 Depth=2
	v_min_i32_e32 v34, v38, v34
                                        ; implicit-def: $vgpr36
                                        ; implicit-def: $vgpr37
; %bb.16:                               ;   in Loop: Header=BB33_14 Depth=2
	s_or_saveexec_b64 s[0:1], s[0:1]
	v_mov_b32_e32 v35, v20
	s_xor_b64 exec, exec, s[0:1]
	s_cbranch_execz .LBB33_13
; %bb.17:                               ;   in Loop: Header=BB33_14 Depth=2
	global_load_dword v35, v[18:19], off
	v_sub_u32_e32 v36, v36, v21
	v_add_lshl_u32 v36, v24, v36, 2
	ds_write_b8 v22, v33 offset:4096
	s_waitcnt vmcnt(0)
	ds_write_b32 v36, v35
	v_mov_b32_e32 v35, v37
	s_branch .LBB33_13
.LBB33_18:                              ;   in Loop: Header=BB33_11 Depth=1
	s_or_b64 exec, exec, s[26:27]
.LBB33_19:                              ;   in Loop: Header=BB33_11 Depth=1
	s_or_b64 exec, exec, s[24:25]
	v_mov_b32_dpp v16, v35 row_shr:1 row_mask:0xf bank_mask:0xf
	v_min_i32_e32 v16, v16, v35
	s_waitcnt lgkmcnt(0)
	s_nop 0
	v_mov_b32_dpp v17, v16 row_shr:2 row_mask:0xf bank_mask:0xf
	v_min_i32_e32 v16, v17, v16
	ds_read_u8 v17, v22 offset:4096
	s_waitcnt lgkmcnt(0)
	v_and_b32_e32 v17, 1, v17
	v_mov_b32_dpp v18, v16 row_shr:4 row_mask:0xf bank_mask:0xe
	v_min_i32_e32 v16, v18, v16
	ds_bpermute_b32 v16, v26, v16
	v_cmp_eq_u32_e32 vcc, 1, v17
	v_mov_b32_e32 v17, 0
	s_and_saveexec_b64 s[24:25], vcc
	s_cbranch_execz .LBB33_10
; %bb.20:                               ;   in Loop: Header=BB33_11 Depth=1
	v_add_u32_e32 v17, s31, v3
	v_ashrrev_i32_e32 v3, 31, v2
	v_lshl_add_u64 v[18:19], v[2:3], 2, s[14:15]
	global_store_dword v[18:19], v17, off
	v_mul_lo_u32 v17, s33, v2
	v_mul_lo_u32 v3, s34, v3
	v_mad_u64_u32 v[18:19], s[0:1], s34, v2, 0
	v_add3_u32 v19, v19, v3, v17
	v_lshlrev_b64 v[18:19], 2, v[18:19]
	v_lshl_add_u64 v[20:21], v[4:5], 0, v[18:19]
	v_lshl_add_u64 v[18:19], v[6:7], 0, v[18:19]
	s_and_saveexec_b64 s[0:1], s[20:21]
	s_cbranch_execz .LBB33_24
; %bb.21:                               ;   in Loop: Header=BB33_11 Depth=1
	s_and_b64 vcc, exec, s[18:19]
	s_cbranch_vccz .LBB33_35
; %bb.22:                               ;   in Loop: Header=BB33_11 Depth=1
	ds_read_b32 v3, v28
	v_lshl_add_u64 v[36:37], v[8:9], 2, v[20:21]
	s_waitcnt lgkmcnt(0)
	global_store_dword v[36:37], v3, off
	s_cbranch_execnz .LBB33_24
.LBB33_23:                              ;   in Loop: Header=BB33_11 Depth=1
	ds_read_b32 v3, v28
	s_waitcnt lgkmcnt(0)
	global_store_dword v[18:19], v3, off
.LBB33_24:                              ;   in Loop: Header=BB33_11 Depth=1
	s_or_b64 exec, exec, s[0:1]
	v_cndmask_b32_e64 v3, 0, 1, s[18:19]
	v_cmp_ne_u32_e64 s[0:1], 1, v3
	s_and_saveexec_b64 s[26:27], s[2:3]
	s_cbranch_execz .LBB33_28
; %bb.25:                               ;   in Loop: Header=BB33_11 Depth=1
	s_and_b64 vcc, exec, s[0:1]
	s_cbranch_vccnz .LBB33_36
; %bb.26:                               ;   in Loop: Header=BB33_11 Depth=1
	ds_read_b32 v3, v28 offset:32
	v_lshl_add_u64 v[36:37], v[10:11], 2, v[20:21]
	s_waitcnt lgkmcnt(0)
	global_store_dword v[36:37], v3, off
	s_cbranch_execnz .LBB33_28
.LBB33_27:                              ;   in Loop: Header=BB33_11 Depth=1
	ds_read_b32 v3, v28 offset:32
	s_waitcnt lgkmcnt(0)
	global_store_dword v[18:19], v3, off offset:32
.LBB33_28:                              ;   in Loop: Header=BB33_11 Depth=1
	s_or_b64 exec, exec, s[26:27]
	s_and_saveexec_b64 s[26:27], s[4:5]
	s_cbranch_execz .LBB33_32
; %bb.29:                               ;   in Loop: Header=BB33_11 Depth=1
	s_and_b64 vcc, exec, s[0:1]
	s_cbranch_vccnz .LBB33_37
; %bb.30:                               ;   in Loop: Header=BB33_11 Depth=1
	ds_read_b32 v3, v28 offset:64
	v_lshl_add_u64 v[36:37], v[12:13], 2, v[20:21]
	s_waitcnt lgkmcnt(0)
	global_store_dword v[36:37], v3, off
	s_cbranch_execnz .LBB33_32
.LBB33_31:                              ;   in Loop: Header=BB33_11 Depth=1
	ds_read_b32 v3, v28 offset:64
	s_waitcnt lgkmcnt(0)
	global_store_dword v[18:19], v3, off offset:64
.LBB33_32:                              ;   in Loop: Header=BB33_11 Depth=1
	s_or_b64 exec, exec, s[26:27]
	v_mov_b32_e32 v17, 1
	s_and_saveexec_b64 s[26:27], s[6:7]
	s_cbranch_execz .LBB33_9
; %bb.33:                               ;   in Loop: Header=BB33_11 Depth=1
	s_and_b64 vcc, exec, s[0:1]
	s_cbranch_vccnz .LBB33_38
; %bb.34:                               ;   in Loop: Header=BB33_11 Depth=1
	ds_read_b32 v3, v28 offset:96
	v_lshl_add_u64 v[20:21], v[14:15], 2, v[20:21]
	s_mov_b32 s28, 1
	s_waitcnt lgkmcnt(0)
	global_store_dword v[20:21], v3, off
	s_cbranch_execnz .LBB33_8
	s_branch .LBB33_39
.LBB33_35:                              ;   in Loop: Header=BB33_11 Depth=1
	s_branch .LBB33_23
.LBB33_36:                              ;   in Loop: Header=BB33_11 Depth=1
	s_branch .LBB33_27
.LBB33_37:                              ;   in Loop: Header=BB33_11 Depth=1
	s_branch .LBB33_31
.LBB33_38:                              ;   in Loop: Header=BB33_11 Depth=1
                                        ; implicit-def: $sgpr28
.LBB33_39:                              ;   in Loop: Header=BB33_11 Depth=1
	ds_read_b32 v3, v28 offset:96
	s_mov_b32 s28, 1
	s_waitcnt lgkmcnt(0)
	global_store_dword v[18:19], v3, off offset:96
	s_branch .LBB33_8
.LBB33_40:
	s_endpgm
	.section	.rodata,"a",@progbits
	.p2align	6, 0x0
	.amdhsa_kernel _ZN9rocsparseL44csr2gebsr_wavefront_per_row_multipass_kernelILi256ELi4ELi32ELi32EfEEv20rocsparse_direction_iiiiii21rocsparse_index_base_PKT3_PKiS7_S2_PS3_PiS9_
		.amdhsa_group_segment_fixed_size 4104
		.amdhsa_private_segment_fixed_size 0
		.amdhsa_kernarg_size 88
		.amdhsa_user_sgpr_count 2
		.amdhsa_user_sgpr_dispatch_ptr 0
		.amdhsa_user_sgpr_queue_ptr 0
		.amdhsa_user_sgpr_kernarg_segment_ptr 1
		.amdhsa_user_sgpr_dispatch_id 0
		.amdhsa_user_sgpr_kernarg_preload_length 0
		.amdhsa_user_sgpr_kernarg_preload_offset 0
		.amdhsa_user_sgpr_private_segment_size 0
		.amdhsa_uses_dynamic_stack 0
		.amdhsa_enable_private_segment 0
		.amdhsa_system_sgpr_workgroup_id_x 1
		.amdhsa_system_sgpr_workgroup_id_y 0
		.amdhsa_system_sgpr_workgroup_id_z 0
		.amdhsa_system_sgpr_workgroup_info 0
		.amdhsa_system_vgpr_workitem_id 0
		.amdhsa_next_free_vgpr 42
		.amdhsa_next_free_sgpr 35
		.amdhsa_accum_offset 44
		.amdhsa_reserve_vcc 1
		.amdhsa_float_round_mode_32 0
		.amdhsa_float_round_mode_16_64 0
		.amdhsa_float_denorm_mode_32 3
		.amdhsa_float_denorm_mode_16_64 3
		.amdhsa_dx10_clamp 1
		.amdhsa_ieee_mode 1
		.amdhsa_fp16_overflow 0
		.amdhsa_tg_split 0
		.amdhsa_exception_fp_ieee_invalid_op 0
		.amdhsa_exception_fp_denorm_src 0
		.amdhsa_exception_fp_ieee_div_zero 0
		.amdhsa_exception_fp_ieee_overflow 0
		.amdhsa_exception_fp_ieee_underflow 0
		.amdhsa_exception_fp_ieee_inexact 0
		.amdhsa_exception_int_div_zero 0
	.end_amdhsa_kernel
	.section	.text._ZN9rocsparseL44csr2gebsr_wavefront_per_row_multipass_kernelILi256ELi4ELi32ELi32EfEEv20rocsparse_direction_iiiiii21rocsparse_index_base_PKT3_PKiS7_S2_PS3_PiS9_,"axG",@progbits,_ZN9rocsparseL44csr2gebsr_wavefront_per_row_multipass_kernelILi256ELi4ELi32ELi32EfEEv20rocsparse_direction_iiiiii21rocsparse_index_base_PKT3_PKiS7_S2_PS3_PiS9_,comdat
.Lfunc_end33:
	.size	_ZN9rocsparseL44csr2gebsr_wavefront_per_row_multipass_kernelILi256ELi4ELi32ELi32EfEEv20rocsparse_direction_iiiiii21rocsparse_index_base_PKT3_PKiS7_S2_PS3_PiS9_, .Lfunc_end33-_ZN9rocsparseL44csr2gebsr_wavefront_per_row_multipass_kernelILi256ELi4ELi32ELi32EfEEv20rocsparse_direction_iiiiii21rocsparse_index_base_PKT3_PKiS7_S2_PS3_PiS9_
                                        ; -- End function
	.section	.AMDGPU.csdata,"",@progbits
; Kernel info:
; codeLenInByte = 1604
; NumSgprs: 41
; NumVgprs: 42
; NumAgprs: 0
; TotalNumVgprs: 42
; ScratchSize: 0
; MemoryBound: 0
; FloatMode: 240
; IeeeMode: 1
; LDSByteSize: 4104 bytes/workgroup (compile time only)
; SGPRBlocks: 5
; VGPRBlocks: 5
; NumSGPRsForWavesPerEU: 41
; NumVGPRsForWavesPerEU: 42
; AccumOffset: 44
; Occupancy: 8
; WaveLimiterHint : 0
; COMPUTE_PGM_RSRC2:SCRATCH_EN: 0
; COMPUTE_PGM_RSRC2:USER_SGPR: 2
; COMPUTE_PGM_RSRC2:TRAP_HANDLER: 0
; COMPUTE_PGM_RSRC2:TGID_X_EN: 1
; COMPUTE_PGM_RSRC2:TGID_Y_EN: 0
; COMPUTE_PGM_RSRC2:TGID_Z_EN: 0
; COMPUTE_PGM_RSRC2:TIDIG_COMP_CNT: 0
; COMPUTE_PGM_RSRC3_GFX90A:ACCUM_OFFSET: 10
; COMPUTE_PGM_RSRC3_GFX90A:TG_SPLIT: 0
	.section	.text._ZN9rocsparseL44csr2gebsr_wavefront_per_row_multipass_kernelILi256ELi4ELi64ELi64EfEEv20rocsparse_direction_iiiiii21rocsparse_index_base_PKT3_PKiS7_S2_PS3_PiS9_,"axG",@progbits,_ZN9rocsparseL44csr2gebsr_wavefront_per_row_multipass_kernelILi256ELi4ELi64ELi64EfEEv20rocsparse_direction_iiiiii21rocsparse_index_base_PKT3_PKiS7_S2_PS3_PiS9_,comdat
	.globl	_ZN9rocsparseL44csr2gebsr_wavefront_per_row_multipass_kernelILi256ELi4ELi64ELi64EfEEv20rocsparse_direction_iiiiii21rocsparse_index_base_PKT3_PKiS7_S2_PS3_PiS9_ ; -- Begin function _ZN9rocsparseL44csr2gebsr_wavefront_per_row_multipass_kernelILi256ELi4ELi64ELi64EfEEv20rocsparse_direction_iiiiii21rocsparse_index_base_PKT3_PKiS7_S2_PS3_PiS9_
	.p2align	8
	.type	_ZN9rocsparseL44csr2gebsr_wavefront_per_row_multipass_kernelILi256ELi4ELi64ELi64EfEEv20rocsparse_direction_iiiiii21rocsparse_index_base_PKT3_PKiS7_S2_PS3_PiS9_,@function
_ZN9rocsparseL44csr2gebsr_wavefront_per_row_multipass_kernelILi256ELi4ELi64ELi64EfEEv20rocsparse_direction_iiiiii21rocsparse_index_base_PKT3_PKiS7_S2_PS3_PiS9_: ; @_ZN9rocsparseL44csr2gebsr_wavefront_per_row_multipass_kernelILi256ELi4ELi64ELi64EfEEv20rocsparse_direction_iiiiii21rocsparse_index_base_PKT3_PKiS7_S2_PS3_PiS9_
; %bb.0:
	s_load_dwordx2 s[4:5], s[0:1], 0x0
	s_load_dwordx4 s[8:11], s[0:1], 0xc
	s_load_dword s30, s[0:1], 0x1c
	s_load_dwordx2 s[6:7], s[0:1], 0x28
	v_lshrrev_b32_e32 v22, 6, v0
	v_bfe_u32 v6, v0, 4, 2
	v_lshl_or_b32 v4, s2, 2, v22
	s_waitcnt lgkmcnt(0)
	v_mad_u64_u32 v[2:3], s[2:3], v4, s10, v[6:7]
	v_cmp_gt_i32_e64 s[2:3], s5, v2
	v_cmp_gt_i32_e32 vcc, s10, v6
	s_and_b64 s[2:3], vcc, s[2:3]
	v_mov_b32_e32 v23, 0
	v_mov_b32_e32 v16, 0
	s_and_saveexec_b64 s[12:13], s[2:3]
	s_cbranch_execz .LBB34_2
; %bb.1:
	v_ashrrev_i32_e32 v3, 31, v2
	v_lshl_add_u64 v[8:9], v[2:3], 2, s[6:7]
	global_load_dword v1, v[8:9], off
	s_waitcnt vmcnt(0)
	v_subrev_u32_e32 v16, s30, v1
.LBB34_2:
	s_or_b64 exec, exec, s[12:13]
	s_and_saveexec_b64 s[12:13], s[2:3]
	s_cbranch_execz .LBB34_4
; %bb.3:
	v_ashrrev_i32_e32 v3, 31, v2
	v_lshl_add_u64 v[2:3], v[2:3], 2, s[6:7]
	global_load_dword v1, v[2:3], off offset:4
	s_waitcnt vmcnt(0)
	v_subrev_u32_e32 v23, s30, v1
.LBB34_4:
	s_or_b64 exec, exec, s[12:13]
	s_load_dword s31, s[0:1], 0x38
	v_cmp_gt_i32_e64 s[2:3], s8, v4
	v_mov_b32_e32 v2, 0
	s_and_saveexec_b64 s[6:7], s[2:3]
	s_cbranch_execz .LBB34_6
; %bb.5:
	s_load_dwordx2 s[2:3], s[0:1], 0x48
	v_ashrrev_i32_e32 v5, 31, v4
	s_waitcnt lgkmcnt(0)
	v_lshl_add_u64 v[2:3], v[4:5], 2, s[2:3]
	global_load_dword v1, v[2:3], off
	s_waitcnt vmcnt(0)
	v_subrev_u32_e32 v2, s31, v1
.LBB34_6:
	s_or_b64 exec, exec, s[6:7]
	s_cmp_lt_i32 s9, 1
	s_cbranch_scc1 .LBB34_40
; %bb.7:
	s_load_dwordx2 s[12:13], s[0:1], 0x20
	s_load_dwordx2 s[14:15], s[0:1], 0x50
	;; [unrolled: 1-line block ×4, first 2 shown]
	v_lshlrev_b32_e32 v1, 8, v22
	v_lshl_or_b32 v24, v6, 6, v1
	v_mbcnt_lo_u32_b32 v1, -1, 0
	v_mbcnt_hi_u32_b32 v1, -1, v1
	v_lshlrev_b32_e32 v4, 2, v6
	v_mul_lo_u32 v6, v6, s11
	v_and_b32_e32 v0, 15, v0
	v_lshlrev_b32_e32 v3, 2, v1
	s_cmp_lg_u32 s4, 0
	v_mov_b32_e32 v1, 0
	v_ashrrev_i32_e32 v7, 31, v6
	s_cselect_b64 s[18:19], -1, 0
	s_ashr_i32 s8, s11, 31
	s_waitcnt lgkmcnt(0)
	v_lshl_add_u64 v[6:7], v[6:7], 2, s[2:3]
	v_lshlrev_b32_e32 v8, 2, v0
	v_mov_b32_e32 v9, v1
	v_or_b32_e32 v10, v24, v0
	s_mul_hi_u32 s0, s11, s10
	s_mul_i32 s1, s8, s10
	s_mul_i32 s34, s11, s10
	v_lshl_add_u64 v[6:7], v[6:7], 0, v[8:9]
	v_mul_lo_u32 v8, v0, s10
	s_lshl_b32 s10, s10, 4
	v_or_b32_e32 v26, 60, v3
	v_mov_b32_e32 v5, v1
	v_or_b32_e32 v27, 0xfc, v3
	v_lshlrev_b32_e32 v28, 2, v10
	v_or_b32_e32 v3, 16, v0
	v_add_u32_e32 v10, s10, v8
	v_lshl_add_u64 v[4:5], s[2:3], 0, v[4:5]
	v_cmp_gt_u32_e64 s[2:3], s11, v3
	v_or_b32_e32 v3, 32, v0
	v_add_u32_e32 v12, s10, v10
	v_cmp_gt_u32_e64 s[4:5], s11, v3
	v_or_b32_e32 v3, 48, v0
	v_add_u32_e32 v14, s10, v12
	s_abs_i32 s10, s11
	v_cmp_gt_u32_e64 s[6:7], s11, v3
	v_cvt_f32_u32_e32 v3, s10
	s_add_i32 s33, s0, s1
	v_cmp_gt_u32_e64 s[0:1], s11, v0
	s_and_b64 s[20:21], s[0:1], vcc
	v_rcp_iflag_f32_e32 v3, v3
	s_sub_i32 s0, 0, s10
	v_mov_b32_e32 v25, 0
	v_mov_b32_e32 v11, v1
	v_mul_f32_e32 v3, 0x4f7ffffe, v3
	v_cvt_u32_f32_e32 v3, v3
	v_mov_b32_e32 v13, v1
	v_mov_b32_e32 v15, v1
	v_or_b32_e32 v29, 64, v28
	v_mul_lo_u32 v17, s0, v3
	v_mul_hi_u32 v17, v3, v17
	v_or_b32_e32 v30, 0x80, v28
	v_or_b32_e32 v31, 0xc0, v28
	s_and_b64 s[2:3], vcc, s[2:3]
	s_and_b64 s[4:5], vcc, s[4:5]
	;; [unrolled: 1-line block ×3, first 2 shown]
	v_add_u32_e32 v32, v3, v17
	s_mov_b64 s[22:23], 0
	v_mov_b32_e32 v33, 1
	v_mov_b32_e32 v3, 0
	s_branch .LBB34_11
.LBB34_8:                               ;   in Loop: Header=BB34_11 Depth=1
	v_mov_b32_e32 v17, s28
.LBB34_9:                               ;   in Loop: Header=BB34_11 Depth=1
	s_or_b64 exec, exec, s[26:27]
.LBB34_10:                              ;   in Loop: Header=BB34_11 Depth=1
	s_or_b64 exec, exec, s[24:25]
	v_mov_b32_dpp v3, v34 row_shr:1 row_mask:0xf bank_mask:0xf
	v_min_i32_e32 v3, v3, v34
	v_add_u32_e32 v2, v17, v2
	s_waitcnt lgkmcnt(0)
	v_mov_b32_dpp v18, v3 row_shr:2 row_mask:0xf bank_mask:0xf
	v_min_i32_e32 v3, v18, v3
	s_nop 1
	v_mov_b32_dpp v18, v3 row_shr:4 row_mask:0xf bank_mask:0xe
	v_min_i32_e32 v3, v18, v3
	s_nop 1
	;; [unrolled: 3-line block ×3, first 2 shown]
	v_mov_b32_dpp v18, v3 row_bcast:15 row_mask:0xa bank_mask:0xf
	v_min_i32_e32 v3, v18, v3
	s_nop 1
	v_mov_b32_dpp v18, v3 row_bcast:31 row_mask:0xc bank_mask:0xf
	v_min_i32_e32 v3, v18, v3
	ds_bpermute_b32 v3, v27, v3
	s_waitcnt lgkmcnt(0)
	v_cmp_le_i32_e32 vcc, s9, v3
	s_or_b64 s[22:23], vcc, s[22:23]
	s_andn2_b64 exec, exec, s[22:23]
	s_cbranch_execz .LBB34_40
.LBB34_11:                              ; =>This Loop Header: Depth=1
                                        ;     Child Loop BB34_14 Depth 2
	v_add_u32_e32 v20, v16, v0
	v_cmp_lt_i32_e32 vcc, v20, v23
	v_mov_b32_e32 v34, s9
	v_mov_b32_e32 v35, v23
	ds_write_b8 v22, v25 offset:4096
	ds_write_b32 v28, v1
	ds_write_b32 v29, v1
	;; [unrolled: 1-line block ×4, first 2 shown]
	s_waitcnt lgkmcnt(0)
	s_and_saveexec_b64 s[24:25], vcc
	s_cbranch_execz .LBB34_19
; %bb.12:                               ;   in Loop: Header=BB34_11 Depth=1
	v_ashrrev_i32_e32 v17, 31, v16
	v_lshl_add_u64 v[16:17], v[0:1], 0, v[16:17]
	v_lshlrev_b64 v[18:19], 2, v[16:17]
	v_mul_lo_u32 v21, v3, s11
	v_lshl_add_u64 v[16:17], s[16:17], 0, v[18:19]
	v_lshl_add_u64 v[18:19], s[12:13], 0, v[18:19]
	s_mov_b64 s[26:27], 0
	v_mov_b32_e32 v34, s9
	v_mov_b32_e32 v35, v23
	s_branch .LBB34_14
.LBB34_13:                              ;   in Loop: Header=BB34_14 Depth=2
	s_or_b64 exec, exec, s[0:1]
	v_add_u32_e32 v20, 16, v20
	v_cmp_ge_i32_e64 s[0:1], v20, v23
	s_xor_b64 s[28:29], vcc, -1
	s_or_b64 s[0:1], s[28:29], s[0:1]
	s_and_b64 s[0:1], exec, s[0:1]
	v_lshl_add_u64 v[16:17], v[16:17], 0, 64
	s_or_b64 s[26:27], s[0:1], s[26:27]
	v_lshl_add_u64 v[18:19], v[18:19], 0, 64
	s_andn2_b64 exec, exec, s[26:27]
	s_cbranch_execz .LBB34_18
.LBB34_14:                              ;   Parent Loop BB34_11 Depth=1
                                        ; =>  This Inner Loop Header: Depth=2
	global_load_dword v36, v[16:17], off
	s_waitcnt vmcnt(0)
	v_subrev_u32_e32 v36, s30, v36
	v_sub_u32_e32 v38, 0, v36
	v_max_i32_e32 v38, v36, v38
	v_mul_hi_u32 v39, v38, v32
	v_mul_lo_u32 v40, v39, s10
	v_sub_u32_e32 v38, v38, v40
	v_add_u32_e32 v41, 1, v39
	v_cmp_le_u32_e32 vcc, s10, v38
	v_subrev_u32_e32 v40, s10, v38
	v_ashrrev_i32_e32 v37, 31, v36
	v_cndmask_b32_e32 v39, v39, v41, vcc
	v_cndmask_b32_e32 v38, v38, v40, vcc
	v_add_u32_e32 v40, 1, v39
	v_cmp_le_u32_e32 vcc, s10, v38
	v_xor_b32_e32 v37, s8, v37
	s_nop 0
	v_cndmask_b32_e32 v38, v39, v40, vcc
	v_xor_b32_e32 v38, v38, v37
	v_sub_u32_e32 v38, v38, v37
	v_cmp_eq_u32_e32 vcc, v38, v3
	v_cmp_ne_u32_e64 s[0:1], v38, v3
	v_mov_b32_e32 v37, v35
	s_and_saveexec_b64 s[28:29], s[0:1]
	s_xor_b64 s[0:1], exec, s[28:29]
; %bb.15:                               ;   in Loop: Header=BB34_14 Depth=2
	v_min_i32_e32 v34, v38, v34
                                        ; implicit-def: $vgpr36
                                        ; implicit-def: $vgpr37
; %bb.16:                               ;   in Loop: Header=BB34_14 Depth=2
	s_or_saveexec_b64 s[0:1], s[0:1]
	v_mov_b32_e32 v35, v20
	s_xor_b64 exec, exec, s[0:1]
	s_cbranch_execz .LBB34_13
; %bb.17:                               ;   in Loop: Header=BB34_14 Depth=2
	global_load_dword v35, v[18:19], off
	v_sub_u32_e32 v36, v36, v21
	v_add_lshl_u32 v36, v24, v36, 2
	ds_write_b8 v22, v33 offset:4096
	s_waitcnt vmcnt(0)
	ds_write_b32 v36, v35
	v_mov_b32_e32 v35, v37
	s_branch .LBB34_13
.LBB34_18:                              ;   in Loop: Header=BB34_11 Depth=1
	s_or_b64 exec, exec, s[26:27]
.LBB34_19:                              ;   in Loop: Header=BB34_11 Depth=1
	s_or_b64 exec, exec, s[24:25]
	v_mov_b32_dpp v16, v35 row_shr:1 row_mask:0xf bank_mask:0xf
	v_min_i32_e32 v16, v16, v35
	s_waitcnt lgkmcnt(0)
	s_nop 0
	v_mov_b32_dpp v17, v16 row_shr:2 row_mask:0xf bank_mask:0xf
	v_min_i32_e32 v16, v17, v16
	s_nop 1
	v_mov_b32_dpp v17, v16 row_shr:4 row_mask:0xf bank_mask:0xe
	v_min_i32_e32 v16, v17, v16
	ds_read_u8 v17, v22 offset:4096
	s_waitcnt lgkmcnt(0)
	v_and_b32_e32 v17, 1, v17
	v_mov_b32_dpp v18, v16 row_shr:8 row_mask:0xf bank_mask:0xc
	v_min_i32_e32 v16, v18, v16
	ds_bpermute_b32 v16, v26, v16
	v_cmp_eq_u32_e32 vcc, 1, v17
	v_mov_b32_e32 v17, 0
	s_and_saveexec_b64 s[24:25], vcc
	s_cbranch_execz .LBB34_10
; %bb.20:                               ;   in Loop: Header=BB34_11 Depth=1
	v_add_u32_e32 v17, s31, v3
	v_ashrrev_i32_e32 v3, 31, v2
	v_lshl_add_u64 v[18:19], v[2:3], 2, s[14:15]
	global_store_dword v[18:19], v17, off
	v_mul_lo_u32 v17, s33, v2
	v_mul_lo_u32 v3, s34, v3
	v_mad_u64_u32 v[18:19], s[0:1], s34, v2, 0
	v_add3_u32 v19, v19, v3, v17
	v_lshlrev_b64 v[18:19], 2, v[18:19]
	v_lshl_add_u64 v[20:21], v[4:5], 0, v[18:19]
	v_lshl_add_u64 v[18:19], v[6:7], 0, v[18:19]
	s_and_saveexec_b64 s[0:1], s[20:21]
	s_cbranch_execz .LBB34_24
; %bb.21:                               ;   in Loop: Header=BB34_11 Depth=1
	s_and_b64 vcc, exec, s[18:19]
	s_cbranch_vccz .LBB34_35
; %bb.22:                               ;   in Loop: Header=BB34_11 Depth=1
	ds_read_b32 v3, v28
	v_lshl_add_u64 v[36:37], v[8:9], 2, v[20:21]
	s_waitcnt lgkmcnt(0)
	global_store_dword v[36:37], v3, off
	s_cbranch_execnz .LBB34_24
.LBB34_23:                              ;   in Loop: Header=BB34_11 Depth=1
	ds_read_b32 v3, v28
	s_waitcnt lgkmcnt(0)
	global_store_dword v[18:19], v3, off
.LBB34_24:                              ;   in Loop: Header=BB34_11 Depth=1
	s_or_b64 exec, exec, s[0:1]
	v_cndmask_b32_e64 v3, 0, 1, s[18:19]
	v_cmp_ne_u32_e64 s[0:1], 1, v3
	s_and_saveexec_b64 s[26:27], s[2:3]
	s_cbranch_execz .LBB34_28
; %bb.25:                               ;   in Loop: Header=BB34_11 Depth=1
	s_and_b64 vcc, exec, s[0:1]
	s_cbranch_vccnz .LBB34_36
; %bb.26:                               ;   in Loop: Header=BB34_11 Depth=1
	ds_read_b32 v3, v28 offset:64
	v_lshl_add_u64 v[36:37], v[10:11], 2, v[20:21]
	s_waitcnt lgkmcnt(0)
	global_store_dword v[36:37], v3, off
	s_cbranch_execnz .LBB34_28
.LBB34_27:                              ;   in Loop: Header=BB34_11 Depth=1
	ds_read_b32 v3, v28 offset:64
	s_waitcnt lgkmcnt(0)
	global_store_dword v[18:19], v3, off offset:64
.LBB34_28:                              ;   in Loop: Header=BB34_11 Depth=1
	s_or_b64 exec, exec, s[26:27]
	s_and_saveexec_b64 s[26:27], s[4:5]
	s_cbranch_execz .LBB34_32
; %bb.29:                               ;   in Loop: Header=BB34_11 Depth=1
	s_and_b64 vcc, exec, s[0:1]
	s_cbranch_vccnz .LBB34_37
; %bb.30:                               ;   in Loop: Header=BB34_11 Depth=1
	ds_read_b32 v3, v28 offset:128
	v_lshl_add_u64 v[36:37], v[12:13], 2, v[20:21]
	s_waitcnt lgkmcnt(0)
	global_store_dword v[36:37], v3, off
	s_cbranch_execnz .LBB34_32
.LBB34_31:                              ;   in Loop: Header=BB34_11 Depth=1
	ds_read_b32 v3, v28 offset:128
	s_waitcnt lgkmcnt(0)
	global_store_dword v[18:19], v3, off offset:128
.LBB34_32:                              ;   in Loop: Header=BB34_11 Depth=1
	s_or_b64 exec, exec, s[26:27]
	v_mov_b32_e32 v17, 1
	s_and_saveexec_b64 s[26:27], s[6:7]
	s_cbranch_execz .LBB34_9
; %bb.33:                               ;   in Loop: Header=BB34_11 Depth=1
	s_and_b64 vcc, exec, s[0:1]
	s_cbranch_vccnz .LBB34_38
; %bb.34:                               ;   in Loop: Header=BB34_11 Depth=1
	ds_read_b32 v3, v28 offset:192
	v_lshl_add_u64 v[20:21], v[14:15], 2, v[20:21]
	s_mov_b32 s28, 1
	s_waitcnt lgkmcnt(0)
	global_store_dword v[20:21], v3, off
	s_cbranch_execnz .LBB34_8
	s_branch .LBB34_39
.LBB34_35:                              ;   in Loop: Header=BB34_11 Depth=1
	s_branch .LBB34_23
.LBB34_36:                              ;   in Loop: Header=BB34_11 Depth=1
	s_branch .LBB34_27
.LBB34_37:                              ;   in Loop: Header=BB34_11 Depth=1
	s_branch .LBB34_31
.LBB34_38:                              ;   in Loop: Header=BB34_11 Depth=1
                                        ; implicit-def: $sgpr28
.LBB34_39:                              ;   in Loop: Header=BB34_11 Depth=1
	ds_read_b32 v3, v28 offset:192
	s_mov_b32 s28, 1
	s_waitcnt lgkmcnt(0)
	global_store_dword v[18:19], v3, off offset:192
	s_branch .LBB34_8
.LBB34_40:
	s_endpgm
	.section	.rodata,"a",@progbits
	.p2align	6, 0x0
	.amdhsa_kernel _ZN9rocsparseL44csr2gebsr_wavefront_per_row_multipass_kernelILi256ELi4ELi64ELi64EfEEv20rocsparse_direction_iiiiii21rocsparse_index_base_PKT3_PKiS7_S2_PS3_PiS9_
		.amdhsa_group_segment_fixed_size 4100
		.amdhsa_private_segment_fixed_size 0
		.amdhsa_kernarg_size 88
		.amdhsa_user_sgpr_count 2
		.amdhsa_user_sgpr_dispatch_ptr 0
		.amdhsa_user_sgpr_queue_ptr 0
		.amdhsa_user_sgpr_kernarg_segment_ptr 1
		.amdhsa_user_sgpr_dispatch_id 0
		.amdhsa_user_sgpr_kernarg_preload_length 0
		.amdhsa_user_sgpr_kernarg_preload_offset 0
		.amdhsa_user_sgpr_private_segment_size 0
		.amdhsa_uses_dynamic_stack 0
		.amdhsa_enable_private_segment 0
		.amdhsa_system_sgpr_workgroup_id_x 1
		.amdhsa_system_sgpr_workgroup_id_y 0
		.amdhsa_system_sgpr_workgroup_id_z 0
		.amdhsa_system_sgpr_workgroup_info 0
		.amdhsa_system_vgpr_workitem_id 0
		.amdhsa_next_free_vgpr 42
		.amdhsa_next_free_sgpr 35
		.amdhsa_accum_offset 44
		.amdhsa_reserve_vcc 1
		.amdhsa_float_round_mode_32 0
		.amdhsa_float_round_mode_16_64 0
		.amdhsa_float_denorm_mode_32 3
		.amdhsa_float_denorm_mode_16_64 3
		.amdhsa_dx10_clamp 1
		.amdhsa_ieee_mode 1
		.amdhsa_fp16_overflow 0
		.amdhsa_tg_split 0
		.amdhsa_exception_fp_ieee_invalid_op 0
		.amdhsa_exception_fp_denorm_src 0
		.amdhsa_exception_fp_ieee_div_zero 0
		.amdhsa_exception_fp_ieee_overflow 0
		.amdhsa_exception_fp_ieee_underflow 0
		.amdhsa_exception_fp_ieee_inexact 0
		.amdhsa_exception_int_div_zero 0
	.end_amdhsa_kernel
	.section	.text._ZN9rocsparseL44csr2gebsr_wavefront_per_row_multipass_kernelILi256ELi4ELi64ELi64EfEEv20rocsparse_direction_iiiiii21rocsparse_index_base_PKT3_PKiS7_S2_PS3_PiS9_,"axG",@progbits,_ZN9rocsparseL44csr2gebsr_wavefront_per_row_multipass_kernelILi256ELi4ELi64ELi64EfEEv20rocsparse_direction_iiiiii21rocsparse_index_base_PKT3_PKiS7_S2_PS3_PiS9_,comdat
.Lfunc_end34:
	.size	_ZN9rocsparseL44csr2gebsr_wavefront_per_row_multipass_kernelILi256ELi4ELi64ELi64EfEEv20rocsparse_direction_iiiiii21rocsparse_index_base_PKT3_PKiS7_S2_PS3_PiS9_, .Lfunc_end34-_ZN9rocsparseL44csr2gebsr_wavefront_per_row_multipass_kernelILi256ELi4ELi64ELi64EfEEv20rocsparse_direction_iiiiii21rocsparse_index_base_PKT3_PKiS7_S2_PS3_PiS9_
                                        ; -- End function
	.section	.AMDGPU.csdata,"",@progbits
; Kernel info:
; codeLenInByte = 1640
; NumSgprs: 41
; NumVgprs: 42
; NumAgprs: 0
; TotalNumVgprs: 42
; ScratchSize: 0
; MemoryBound: 0
; FloatMode: 240
; IeeeMode: 1
; LDSByteSize: 4100 bytes/workgroup (compile time only)
; SGPRBlocks: 5
; VGPRBlocks: 5
; NumSGPRsForWavesPerEU: 41
; NumVGPRsForWavesPerEU: 42
; AccumOffset: 44
; Occupancy: 8
; WaveLimiterHint : 0
; COMPUTE_PGM_RSRC2:SCRATCH_EN: 0
; COMPUTE_PGM_RSRC2:USER_SGPR: 2
; COMPUTE_PGM_RSRC2:TRAP_HANDLER: 0
; COMPUTE_PGM_RSRC2:TGID_X_EN: 1
; COMPUTE_PGM_RSRC2:TGID_Y_EN: 0
; COMPUTE_PGM_RSRC2:TGID_Z_EN: 0
; COMPUTE_PGM_RSRC2:TIDIG_COMP_CNT: 0
; COMPUTE_PGM_RSRC3_GFX90A:ACCUM_OFFSET: 10
; COMPUTE_PGM_RSRC3_GFX90A:TG_SPLIT: 0
	.section	.text._ZN9rocsparseL44csr2gebsr_wavefront_per_row_multipass_kernelILi256ELi4ELi64ELi32EfEEv20rocsparse_direction_iiiiii21rocsparse_index_base_PKT3_PKiS7_S2_PS3_PiS9_,"axG",@progbits,_ZN9rocsparseL44csr2gebsr_wavefront_per_row_multipass_kernelILi256ELi4ELi64ELi32EfEEv20rocsparse_direction_iiiiii21rocsparse_index_base_PKT3_PKiS7_S2_PS3_PiS9_,comdat
	.globl	_ZN9rocsparseL44csr2gebsr_wavefront_per_row_multipass_kernelILi256ELi4ELi64ELi32EfEEv20rocsparse_direction_iiiiii21rocsparse_index_base_PKT3_PKiS7_S2_PS3_PiS9_ ; -- Begin function _ZN9rocsparseL44csr2gebsr_wavefront_per_row_multipass_kernelILi256ELi4ELi64ELi32EfEEv20rocsparse_direction_iiiiii21rocsparse_index_base_PKT3_PKiS7_S2_PS3_PiS9_
	.p2align	8
	.type	_ZN9rocsparseL44csr2gebsr_wavefront_per_row_multipass_kernelILi256ELi4ELi64ELi32EfEEv20rocsparse_direction_iiiiii21rocsparse_index_base_PKT3_PKiS7_S2_PS3_PiS9_,@function
_ZN9rocsparseL44csr2gebsr_wavefront_per_row_multipass_kernelILi256ELi4ELi64ELi32EfEEv20rocsparse_direction_iiiiii21rocsparse_index_base_PKT3_PKiS7_S2_PS3_PiS9_: ; @_ZN9rocsparseL44csr2gebsr_wavefront_per_row_multipass_kernelILi256ELi4ELi64ELi32EfEEv20rocsparse_direction_iiiiii21rocsparse_index_base_PKT3_PKiS7_S2_PS3_PiS9_
; %bb.0:
	s_load_dwordx2 s[4:5], s[0:1], 0x0
	s_load_dwordx4 s[16:19], s[0:1], 0xc
	s_load_dword s33, s[0:1], 0x1c
	s_load_dwordx2 s[6:7], s[0:1], 0x28
	v_lshrrev_b32_e32 v30, 5, v0
	v_bfe_u32 v6, v0, 3, 2
	v_lshl_or_b32 v4, s2, 3, v30
	s_waitcnt lgkmcnt(0)
	v_mad_u64_u32 v[2:3], s[2:3], v4, s18, v[6:7]
	v_cmp_gt_i32_e64 s[2:3], s5, v2
	v_cmp_gt_i32_e32 vcc, s18, v6
	s_and_b64 s[2:3], vcc, s[2:3]
	v_mov_b32_e32 v31, 0
	v_mov_b32_e32 v24, 0
	s_and_saveexec_b64 s[8:9], s[2:3]
	s_cbranch_execz .LBB35_2
; %bb.1:
	v_ashrrev_i32_e32 v3, 31, v2
	v_lshl_add_u64 v[8:9], v[2:3], 2, s[6:7]
	global_load_dword v1, v[8:9], off
	s_waitcnt vmcnt(0)
	v_subrev_u32_e32 v24, s33, v1
.LBB35_2:
	s_or_b64 exec, exec, s[8:9]
	s_and_saveexec_b64 s[8:9], s[2:3]
	s_cbranch_execz .LBB35_4
; %bb.3:
	v_ashrrev_i32_e32 v3, 31, v2
	v_lshl_add_u64 v[2:3], v[2:3], 2, s[6:7]
	global_load_dword v1, v[2:3], off offset:4
	s_waitcnt vmcnt(0)
	v_subrev_u32_e32 v31, s33, v1
.LBB35_4:
	s_or_b64 exec, exec, s[8:9]
	s_load_dword s40, s[0:1], 0x38
	v_cmp_gt_i32_e64 s[2:3], s16, v4
	v_mov_b32_e32 v2, 0
	s_and_saveexec_b64 s[6:7], s[2:3]
	s_cbranch_execz .LBB35_6
; %bb.5:
	s_load_dwordx2 s[2:3], s[0:1], 0x48
	v_ashrrev_i32_e32 v5, 31, v4
	s_waitcnt lgkmcnt(0)
	v_lshl_add_u64 v[2:3], v[4:5], 2, s[2:3]
	global_load_dword v1, v[2:3], off
	s_waitcnt vmcnt(0)
	v_subrev_u32_e32 v2, s40, v1
.LBB35_6:
	s_or_b64 exec, exec, s[6:7]
	s_cmp_lt_i32 s17, 1
	s_cbranch_scc1 .LBB35_60
; %bb.7:
	s_load_dwordx2 s[20:21], s[0:1], 0x20
	s_load_dwordx2 s[22:23], s[0:1], 0x50
	;; [unrolled: 1-line block ×4, first 2 shown]
	v_lshlrev_b32_e32 v1, 8, v30
	v_lshl_or_b32 v32, v6, 6, v1
	v_mbcnt_lo_u32_b32 v1, -1, 0
	v_mbcnt_hi_u32_b32 v1, -1, v1
	v_lshlrev_b32_e32 v4, 2, v6
	v_mul_lo_u32 v6, v6, s19
	v_and_b32_e32 v0, 7, v0
	v_lshlrev_b32_e32 v3, 2, v1
	s_cmp_lg_u32 s4, 0
	v_mov_b32_e32 v1, 0
	v_ashrrev_i32_e32 v7, 31, v6
	s_cselect_b64 s[26:27], -1, 0
	s_ashr_i32 s16, s19, 31
	s_waitcnt lgkmcnt(0)
	v_lshl_add_u64 v[6:7], v[6:7], 2, s[2:3]
	v_lshlrev_b32_e32 v8, 2, v0
	v_mov_b32_e32 v9, v1
	v_or_b32_e32 v10, v32, v0
	s_mul_hi_u32 s0, s19, s18
	s_mul_i32 s1, s16, s18
	s_mul_i32 s42, s19, s18
	v_lshl_add_u64 v[6:7], v[6:7], 0, v[8:9]
	v_mul_lo_u32 v8, v0, s18
	s_lshl_b32 s18, s18, 3
	v_or_b32_e32 v34, 28, v3
	v_mov_b32_e32 v5, v1
	v_or_b32_e32 v35, 0x7c, v3
	v_lshlrev_b32_e32 v36, 2, v10
	v_or_b32_e32 v3, 8, v0
	v_add_u32_e32 v10, s18, v8
	v_lshl_add_u64 v[4:5], s[2:3], 0, v[4:5]
	v_cmp_gt_u32_e64 s[2:3], s19, v3
	v_or_b32_e32 v3, 16, v0
	v_add_u32_e32 v12, s18, v10
	v_cmp_gt_u32_e64 s[4:5], s19, v3
	v_or_b32_e32 v3, 24, v0
	v_add_u32_e32 v14, s18, v12
	;; [unrolled: 3-line block ×6, first 2 shown]
	s_abs_i32 s18, s19
	v_cmp_gt_u32_e64 s[14:15], s19, v3
	v_cvt_f32_u32_e32 v3, s18
	s_add_i32 s41, s0, s1
	v_cmp_gt_u32_e64 s[0:1], s19, v0
	s_and_b64 s[28:29], s[0:1], vcc
	v_rcp_iflag_f32_e32 v3, v3
	s_sub_i32 s0, 0, s18
	v_mov_b32_e32 v33, 0
	v_mov_b32_e32 v11, v1
	v_mul_f32_e32 v3, 0x4f7ffffe, v3
	v_cvt_u32_f32_e32 v3, v3
	v_mov_b32_e32 v13, v1
	v_mov_b32_e32 v15, v1
	;; [unrolled: 1-line block ×3, first 2 shown]
	v_mul_lo_u32 v25, s0, v3
	v_mul_hi_u32 v25, v3, v25
	v_mov_b32_e32 v19, v1
	v_mov_b32_e32 v21, v1
	;; [unrolled: 1-line block ×3, first 2 shown]
	v_or_b32_e32 v37, 32, v36
	v_or_b32_e32 v38, 64, v36
	;; [unrolled: 1-line block ×7, first 2 shown]
	s_and_b64 s[2:3], vcc, s[2:3]
	s_and_b64 s[4:5], vcc, s[4:5]
	;; [unrolled: 1-line block ×7, first 2 shown]
	v_add_u32_e32 v44, v3, v25
	s_mov_b64 s[30:31], 0
	v_mov_b32_e32 v45, 1
	v_mov_b32_e32 v3, 0
	s_branch .LBB35_11
.LBB35_8:                               ;   in Loop: Header=BB35_11 Depth=1
	v_mov_b32_e32 v25, s38
.LBB35_9:                               ;   in Loop: Header=BB35_11 Depth=1
	s_or_b64 exec, exec, s[36:37]
.LBB35_10:                              ;   in Loop: Header=BB35_11 Depth=1
	s_or_b64 exec, exec, s[34:35]
	v_mov_b32_dpp v3, v46 row_shr:1 row_mask:0xf bank_mask:0xf
	v_min_i32_e32 v3, v3, v46
	v_add_u32_e32 v2, v25, v2
	s_waitcnt lgkmcnt(0)
	v_mov_b32_dpp v26, v3 row_shr:2 row_mask:0xf bank_mask:0xf
	v_min_i32_e32 v3, v26, v3
	s_nop 1
	v_mov_b32_dpp v26, v3 row_shr:4 row_mask:0xf bank_mask:0xe
	v_min_i32_e32 v3, v26, v3
	s_nop 1
	v_mov_b32_dpp v26, v3 row_shr:8 row_mask:0xf bank_mask:0xc
	v_min_i32_e32 v3, v26, v3
	s_nop 1
	v_mov_b32_dpp v26, v3 row_bcast:15 row_mask:0xa bank_mask:0xf
	v_min_i32_e32 v3, v26, v3
	ds_bpermute_b32 v3, v35, v3
	s_waitcnt lgkmcnt(0)
	v_cmp_le_i32_e32 vcc, s17, v3
	s_or_b64 s[30:31], vcc, s[30:31]
	s_andn2_b64 exec, exec, s[30:31]
	s_cbranch_execz .LBB35_60
.LBB35_11:                              ; =>This Loop Header: Depth=1
                                        ;     Child Loop BB35_14 Depth 2
	v_add_u32_e32 v28, v24, v0
	v_cmp_lt_i32_e32 vcc, v28, v31
	v_mov_b32_e32 v46, s17
	v_mov_b32_e32 v47, v31
	ds_write_b8 v30, v33 offset:8192
	ds_write_b32 v36, v1
	ds_write_b32 v37, v1
	;; [unrolled: 1-line block ×8, first 2 shown]
	s_waitcnt lgkmcnt(0)
	s_and_saveexec_b64 s[34:35], vcc
	s_cbranch_execz .LBB35_19
; %bb.12:                               ;   in Loop: Header=BB35_11 Depth=1
	v_ashrrev_i32_e32 v25, 31, v24
	v_lshl_add_u64 v[24:25], v[0:1], 0, v[24:25]
	v_lshlrev_b64 v[26:27], 2, v[24:25]
	v_mul_lo_u32 v29, v3, s19
	v_lshl_add_u64 v[24:25], s[24:25], 0, v[26:27]
	v_lshl_add_u64 v[26:27], s[20:21], 0, v[26:27]
	s_mov_b64 s[36:37], 0
	v_mov_b32_e32 v46, s17
	v_mov_b32_e32 v47, v31
	s_branch .LBB35_14
.LBB35_13:                              ;   in Loop: Header=BB35_14 Depth=2
	s_or_b64 exec, exec, s[0:1]
	v_add_u32_e32 v28, 8, v28
	v_cmp_ge_i32_e64 s[0:1], v28, v31
	s_xor_b64 s[38:39], vcc, -1
	s_or_b64 s[0:1], s[38:39], s[0:1]
	s_and_b64 s[0:1], exec, s[0:1]
	v_lshl_add_u64 v[24:25], v[24:25], 0, 32
	s_or_b64 s[36:37], s[0:1], s[36:37]
	v_lshl_add_u64 v[26:27], v[26:27], 0, 32
	s_andn2_b64 exec, exec, s[36:37]
	s_cbranch_execz .LBB35_18
.LBB35_14:                              ;   Parent Loop BB35_11 Depth=1
                                        ; =>  This Inner Loop Header: Depth=2
	global_load_dword v48, v[24:25], off
	s_waitcnt vmcnt(0)
	v_subrev_u32_e32 v48, s33, v48
	v_sub_u32_e32 v50, 0, v48
	v_max_i32_e32 v50, v48, v50
	v_mul_hi_u32 v51, v50, v44
	v_mul_lo_u32 v52, v51, s18
	v_sub_u32_e32 v50, v50, v52
	v_add_u32_e32 v53, 1, v51
	v_cmp_le_u32_e32 vcc, s18, v50
	v_subrev_u32_e32 v52, s18, v50
	v_ashrrev_i32_e32 v49, 31, v48
	v_cndmask_b32_e32 v51, v51, v53, vcc
	v_cndmask_b32_e32 v50, v50, v52, vcc
	v_add_u32_e32 v52, 1, v51
	v_cmp_le_u32_e32 vcc, s18, v50
	v_xor_b32_e32 v49, s16, v49
	s_nop 0
	v_cndmask_b32_e32 v50, v51, v52, vcc
	v_xor_b32_e32 v50, v50, v49
	v_sub_u32_e32 v50, v50, v49
	v_cmp_eq_u32_e32 vcc, v50, v3
	v_cmp_ne_u32_e64 s[0:1], v50, v3
	v_mov_b32_e32 v49, v47
	s_and_saveexec_b64 s[38:39], s[0:1]
	s_xor_b64 s[0:1], exec, s[38:39]
; %bb.15:                               ;   in Loop: Header=BB35_14 Depth=2
	v_min_i32_e32 v46, v50, v46
                                        ; implicit-def: $vgpr48
                                        ; implicit-def: $vgpr49
; %bb.16:                               ;   in Loop: Header=BB35_14 Depth=2
	s_or_saveexec_b64 s[0:1], s[0:1]
	v_mov_b32_e32 v47, v28
	s_xor_b64 exec, exec, s[0:1]
	s_cbranch_execz .LBB35_13
; %bb.17:                               ;   in Loop: Header=BB35_14 Depth=2
	global_load_dword v47, v[26:27], off
	v_sub_u32_e32 v48, v48, v29
	v_add_lshl_u32 v48, v32, v48, 2
	ds_write_b8 v30, v45 offset:8192
	s_waitcnt vmcnt(0)
	ds_write_b32 v48, v47
	v_mov_b32_e32 v47, v49
	s_branch .LBB35_13
.LBB35_18:                              ;   in Loop: Header=BB35_11 Depth=1
	s_or_b64 exec, exec, s[36:37]
.LBB35_19:                              ;   in Loop: Header=BB35_11 Depth=1
	s_or_b64 exec, exec, s[34:35]
	v_mov_b32_dpp v24, v47 row_shr:1 row_mask:0xf bank_mask:0xf
	v_min_i32_e32 v24, v24, v47
	s_waitcnt lgkmcnt(0)
	s_nop 0
	v_mov_b32_dpp v25, v24 row_shr:2 row_mask:0xf bank_mask:0xf
	v_min_i32_e32 v24, v25, v24
	ds_read_u8 v25, v30 offset:8192
	s_waitcnt lgkmcnt(0)
	v_and_b32_e32 v25, 1, v25
	v_mov_b32_dpp v26, v24 row_shr:4 row_mask:0xf bank_mask:0xe
	v_min_i32_e32 v24, v26, v24
	ds_bpermute_b32 v24, v34, v24
	v_cmp_eq_u32_e32 vcc, 1, v25
	v_mov_b32_e32 v25, 0
	s_and_saveexec_b64 s[34:35], vcc
	s_cbranch_execz .LBB35_10
; %bb.20:                               ;   in Loop: Header=BB35_11 Depth=1
	v_add_u32_e32 v25, s40, v3
	v_ashrrev_i32_e32 v3, 31, v2
	v_lshl_add_u64 v[26:27], v[2:3], 2, s[22:23]
	global_store_dword v[26:27], v25, off
	v_mul_lo_u32 v25, s41, v2
	v_mul_lo_u32 v3, s42, v3
	v_mad_u64_u32 v[26:27], s[0:1], s42, v2, 0
	v_add3_u32 v27, v27, v3, v25
	v_lshlrev_b64 v[26:27], 2, v[26:27]
	v_lshl_add_u64 v[28:29], v[4:5], 0, v[26:27]
	v_lshl_add_u64 v[26:27], v[6:7], 0, v[26:27]
	s_and_saveexec_b64 s[0:1], s[28:29]
	s_cbranch_execz .LBB35_24
; %bb.21:                               ;   in Loop: Header=BB35_11 Depth=1
	s_and_b64 vcc, exec, s[26:27]
	s_cbranch_vccz .LBB35_51
; %bb.22:                               ;   in Loop: Header=BB35_11 Depth=1
	ds_read_b32 v3, v36
	v_lshl_add_u64 v[48:49], v[8:9], 2, v[28:29]
	s_waitcnt lgkmcnt(0)
	global_store_dword v[48:49], v3, off
	s_cbranch_execnz .LBB35_24
.LBB35_23:                              ;   in Loop: Header=BB35_11 Depth=1
	ds_read_b32 v3, v36
	s_waitcnt lgkmcnt(0)
	global_store_dword v[26:27], v3, off
.LBB35_24:                              ;   in Loop: Header=BB35_11 Depth=1
	s_or_b64 exec, exec, s[0:1]
	v_cndmask_b32_e64 v3, 0, 1, s[26:27]
	v_cmp_ne_u32_e64 s[0:1], 1, v3
	s_and_saveexec_b64 s[36:37], s[2:3]
	s_cbranch_execz .LBB35_28
; %bb.25:                               ;   in Loop: Header=BB35_11 Depth=1
	s_and_b64 vcc, exec, s[0:1]
	s_cbranch_vccnz .LBB35_52
; %bb.26:                               ;   in Loop: Header=BB35_11 Depth=1
	ds_read_b32 v3, v36 offset:32
	v_lshl_add_u64 v[48:49], v[10:11], 2, v[28:29]
	s_waitcnt lgkmcnt(0)
	global_store_dword v[48:49], v3, off
	s_cbranch_execnz .LBB35_28
.LBB35_27:                              ;   in Loop: Header=BB35_11 Depth=1
	ds_read_b32 v3, v36 offset:32
	s_waitcnt lgkmcnt(0)
	global_store_dword v[26:27], v3, off offset:32
.LBB35_28:                              ;   in Loop: Header=BB35_11 Depth=1
	s_or_b64 exec, exec, s[36:37]
	s_and_saveexec_b64 s[36:37], s[4:5]
	s_cbranch_execz .LBB35_32
; %bb.29:                               ;   in Loop: Header=BB35_11 Depth=1
	s_and_b64 vcc, exec, s[0:1]
	s_cbranch_vccnz .LBB35_53
; %bb.30:                               ;   in Loop: Header=BB35_11 Depth=1
	ds_read_b32 v3, v36 offset:64
	v_lshl_add_u64 v[48:49], v[12:13], 2, v[28:29]
	s_waitcnt lgkmcnt(0)
	global_store_dword v[48:49], v3, off
	s_cbranch_execnz .LBB35_32
.LBB35_31:                              ;   in Loop: Header=BB35_11 Depth=1
	ds_read_b32 v3, v36 offset:64
	s_waitcnt lgkmcnt(0)
	global_store_dword v[26:27], v3, off offset:64
.LBB35_32:                              ;   in Loop: Header=BB35_11 Depth=1
	s_or_b64 exec, exec, s[36:37]
	s_and_saveexec_b64 s[36:37], s[6:7]
	s_cbranch_execz .LBB35_36
; %bb.33:                               ;   in Loop: Header=BB35_11 Depth=1
	s_and_b64 vcc, exec, s[0:1]
	s_cbranch_vccnz .LBB35_54
; %bb.34:                               ;   in Loop: Header=BB35_11 Depth=1
	ds_read_b32 v3, v36 offset:96
	v_lshl_add_u64 v[48:49], v[14:15], 2, v[28:29]
	s_waitcnt lgkmcnt(0)
	global_store_dword v[48:49], v3, off
	s_cbranch_execnz .LBB35_36
.LBB35_35:                              ;   in Loop: Header=BB35_11 Depth=1
	ds_read_b32 v3, v36 offset:96
	s_waitcnt lgkmcnt(0)
	global_store_dword v[26:27], v3, off offset:96
.LBB35_36:                              ;   in Loop: Header=BB35_11 Depth=1
	s_or_b64 exec, exec, s[36:37]
	s_and_saveexec_b64 s[36:37], s[8:9]
	s_cbranch_execz .LBB35_40
; %bb.37:                               ;   in Loop: Header=BB35_11 Depth=1
	s_and_b64 vcc, exec, s[0:1]
	s_cbranch_vccnz .LBB35_55
; %bb.38:                               ;   in Loop: Header=BB35_11 Depth=1
	ds_read_b32 v3, v36 offset:128
	v_lshl_add_u64 v[48:49], v[16:17], 2, v[28:29]
	s_waitcnt lgkmcnt(0)
	global_store_dword v[48:49], v3, off
	s_cbranch_execnz .LBB35_40
.LBB35_39:                              ;   in Loop: Header=BB35_11 Depth=1
	ds_read_b32 v3, v36 offset:128
	s_waitcnt lgkmcnt(0)
	global_store_dword v[26:27], v3, off offset:128
.LBB35_40:                              ;   in Loop: Header=BB35_11 Depth=1
	s_or_b64 exec, exec, s[36:37]
	s_and_saveexec_b64 s[36:37], s[10:11]
	s_cbranch_execz .LBB35_44
; %bb.41:                               ;   in Loop: Header=BB35_11 Depth=1
	s_and_b64 vcc, exec, s[0:1]
	s_cbranch_vccnz .LBB35_56
; %bb.42:                               ;   in Loop: Header=BB35_11 Depth=1
	ds_read_b32 v3, v36 offset:160
	v_lshl_add_u64 v[48:49], v[18:19], 2, v[28:29]
	s_waitcnt lgkmcnt(0)
	global_store_dword v[48:49], v3, off
	s_cbranch_execnz .LBB35_44
.LBB35_43:                              ;   in Loop: Header=BB35_11 Depth=1
	ds_read_b32 v3, v36 offset:160
	s_waitcnt lgkmcnt(0)
	global_store_dword v[26:27], v3, off offset:160
.LBB35_44:                              ;   in Loop: Header=BB35_11 Depth=1
	s_or_b64 exec, exec, s[36:37]
	s_and_saveexec_b64 s[36:37], s[12:13]
	s_cbranch_execz .LBB35_48
; %bb.45:                               ;   in Loop: Header=BB35_11 Depth=1
	s_and_b64 vcc, exec, s[0:1]
	s_cbranch_vccnz .LBB35_57
; %bb.46:                               ;   in Loop: Header=BB35_11 Depth=1
	ds_read_b32 v3, v36 offset:192
	v_lshl_add_u64 v[48:49], v[20:21], 2, v[28:29]
	s_waitcnt lgkmcnt(0)
	global_store_dword v[48:49], v3, off
	s_cbranch_execnz .LBB35_48
.LBB35_47:                              ;   in Loop: Header=BB35_11 Depth=1
	ds_read_b32 v3, v36 offset:192
	s_waitcnt lgkmcnt(0)
	global_store_dword v[26:27], v3, off offset:192
.LBB35_48:                              ;   in Loop: Header=BB35_11 Depth=1
	s_or_b64 exec, exec, s[36:37]
	v_mov_b32_e32 v25, 1
	s_and_saveexec_b64 s[36:37], s[14:15]
	s_cbranch_execz .LBB35_9
; %bb.49:                               ;   in Loop: Header=BB35_11 Depth=1
	s_and_b64 vcc, exec, s[0:1]
	s_cbranch_vccnz .LBB35_58
; %bb.50:                               ;   in Loop: Header=BB35_11 Depth=1
	ds_read_b32 v3, v36 offset:224
	v_lshl_add_u64 v[28:29], v[22:23], 2, v[28:29]
	s_mov_b32 s38, 1
	s_waitcnt lgkmcnt(0)
	global_store_dword v[28:29], v3, off
	s_cbranch_execnz .LBB35_8
	s_branch .LBB35_59
.LBB35_51:                              ;   in Loop: Header=BB35_11 Depth=1
	s_branch .LBB35_23
.LBB35_52:                              ;   in Loop: Header=BB35_11 Depth=1
	s_branch .LBB35_27
.LBB35_53:                              ;   in Loop: Header=BB35_11 Depth=1
	s_branch .LBB35_31
.LBB35_54:                              ;   in Loop: Header=BB35_11 Depth=1
	s_branch .LBB35_35
.LBB35_55:                              ;   in Loop: Header=BB35_11 Depth=1
	s_branch .LBB35_39
.LBB35_56:                              ;   in Loop: Header=BB35_11 Depth=1
	s_branch .LBB35_43
.LBB35_57:                              ;   in Loop: Header=BB35_11 Depth=1
	s_branch .LBB35_47
.LBB35_58:                              ;   in Loop: Header=BB35_11 Depth=1
                                        ; implicit-def: $sgpr38
.LBB35_59:                              ;   in Loop: Header=BB35_11 Depth=1
	ds_read_b32 v3, v36 offset:224
	s_mov_b32 s38, 1
	s_waitcnt lgkmcnt(0)
	global_store_dword v[26:27], v3, off offset:224
	s_branch .LBB35_8
.LBB35_60:
	s_endpgm
	.section	.rodata,"a",@progbits
	.p2align	6, 0x0
	.amdhsa_kernel _ZN9rocsparseL44csr2gebsr_wavefront_per_row_multipass_kernelILi256ELi4ELi64ELi32EfEEv20rocsparse_direction_iiiiii21rocsparse_index_base_PKT3_PKiS7_S2_PS3_PiS9_
		.amdhsa_group_segment_fixed_size 8200
		.amdhsa_private_segment_fixed_size 0
		.amdhsa_kernarg_size 88
		.amdhsa_user_sgpr_count 2
		.amdhsa_user_sgpr_dispatch_ptr 0
		.amdhsa_user_sgpr_queue_ptr 0
		.amdhsa_user_sgpr_kernarg_segment_ptr 1
		.amdhsa_user_sgpr_dispatch_id 0
		.amdhsa_user_sgpr_kernarg_preload_length 0
		.amdhsa_user_sgpr_kernarg_preload_offset 0
		.amdhsa_user_sgpr_private_segment_size 0
		.amdhsa_uses_dynamic_stack 0
		.amdhsa_enable_private_segment 0
		.amdhsa_system_sgpr_workgroup_id_x 1
		.amdhsa_system_sgpr_workgroup_id_y 0
		.amdhsa_system_sgpr_workgroup_id_z 0
		.amdhsa_system_sgpr_workgroup_info 0
		.amdhsa_system_vgpr_workitem_id 0
		.amdhsa_next_free_vgpr 54
		.amdhsa_next_free_sgpr 43
		.amdhsa_accum_offset 56
		.amdhsa_reserve_vcc 1
		.amdhsa_float_round_mode_32 0
		.amdhsa_float_round_mode_16_64 0
		.amdhsa_float_denorm_mode_32 3
		.amdhsa_float_denorm_mode_16_64 3
		.amdhsa_dx10_clamp 1
		.amdhsa_ieee_mode 1
		.amdhsa_fp16_overflow 0
		.amdhsa_tg_split 0
		.amdhsa_exception_fp_ieee_invalid_op 0
		.amdhsa_exception_fp_denorm_src 0
		.amdhsa_exception_fp_ieee_div_zero 0
		.amdhsa_exception_fp_ieee_overflow 0
		.amdhsa_exception_fp_ieee_underflow 0
		.amdhsa_exception_fp_ieee_inexact 0
		.amdhsa_exception_int_div_zero 0
	.end_amdhsa_kernel
	.section	.text._ZN9rocsparseL44csr2gebsr_wavefront_per_row_multipass_kernelILi256ELi4ELi64ELi32EfEEv20rocsparse_direction_iiiiii21rocsparse_index_base_PKT3_PKiS7_S2_PS3_PiS9_,"axG",@progbits,_ZN9rocsparseL44csr2gebsr_wavefront_per_row_multipass_kernelILi256ELi4ELi64ELi32EfEEv20rocsparse_direction_iiiiii21rocsparse_index_base_PKT3_PKiS7_S2_PS3_PiS9_,comdat
.Lfunc_end35:
	.size	_ZN9rocsparseL44csr2gebsr_wavefront_per_row_multipass_kernelILi256ELi4ELi64ELi32EfEEv20rocsparse_direction_iiiiii21rocsparse_index_base_PKT3_PKiS7_S2_PS3_PiS9_, .Lfunc_end35-_ZN9rocsparseL44csr2gebsr_wavefront_per_row_multipass_kernelILi256ELi4ELi64ELi32EfEEv20rocsparse_direction_iiiiii21rocsparse_index_base_PKT3_PKiS7_S2_PS3_PiS9_
                                        ; -- End function
	.section	.AMDGPU.csdata,"",@progbits
; Kernel info:
; codeLenInByte = 2068
; NumSgprs: 49
; NumVgprs: 54
; NumAgprs: 0
; TotalNumVgprs: 54
; ScratchSize: 0
; MemoryBound: 0
; FloatMode: 240
; IeeeMode: 1
; LDSByteSize: 8200 bytes/workgroup (compile time only)
; SGPRBlocks: 6
; VGPRBlocks: 6
; NumSGPRsForWavesPerEU: 49
; NumVGPRsForWavesPerEU: 54
; AccumOffset: 56
; Occupancy: 7
; WaveLimiterHint : 0
; COMPUTE_PGM_RSRC2:SCRATCH_EN: 0
; COMPUTE_PGM_RSRC2:USER_SGPR: 2
; COMPUTE_PGM_RSRC2:TRAP_HANDLER: 0
; COMPUTE_PGM_RSRC2:TGID_X_EN: 1
; COMPUTE_PGM_RSRC2:TGID_Y_EN: 0
; COMPUTE_PGM_RSRC2:TGID_Z_EN: 0
; COMPUTE_PGM_RSRC2:TIDIG_COMP_CNT: 0
; COMPUTE_PGM_RSRC3_GFX90A:ACCUM_OFFSET: 13
; COMPUTE_PGM_RSRC3_GFX90A:TG_SPLIT: 0
	.section	.text._ZN9rocsparseL44csr2gebsr_wavefront_per_row_multipass_kernelILi256ELi8ELi2ELi16EfEEv20rocsparse_direction_iiiiii21rocsparse_index_base_PKT3_PKiS7_S2_PS3_PiS9_,"axG",@progbits,_ZN9rocsparseL44csr2gebsr_wavefront_per_row_multipass_kernelILi256ELi8ELi2ELi16EfEEv20rocsparse_direction_iiiiii21rocsparse_index_base_PKT3_PKiS7_S2_PS3_PiS9_,comdat
	.globl	_ZN9rocsparseL44csr2gebsr_wavefront_per_row_multipass_kernelILi256ELi8ELi2ELi16EfEEv20rocsparse_direction_iiiiii21rocsparse_index_base_PKT3_PKiS7_S2_PS3_PiS9_ ; -- Begin function _ZN9rocsparseL44csr2gebsr_wavefront_per_row_multipass_kernelILi256ELi8ELi2ELi16EfEEv20rocsparse_direction_iiiiii21rocsparse_index_base_PKT3_PKiS7_S2_PS3_PiS9_
	.p2align	8
	.type	_ZN9rocsparseL44csr2gebsr_wavefront_per_row_multipass_kernelILi256ELi8ELi2ELi16EfEEv20rocsparse_direction_iiiiii21rocsparse_index_base_PKT3_PKiS7_S2_PS3_PiS9_,@function
_ZN9rocsparseL44csr2gebsr_wavefront_per_row_multipass_kernelILi256ELi8ELi2ELi16EfEEv20rocsparse_direction_iiiiii21rocsparse_index_base_PKT3_PKiS7_S2_PS3_PiS9_: ; @_ZN9rocsparseL44csr2gebsr_wavefront_per_row_multipass_kernelILi256ELi8ELi2ELi16EfEEv20rocsparse_direction_iiiiii21rocsparse_index_base_PKT3_PKiS7_S2_PS3_PiS9_
; %bb.0:
	s_load_dwordx2 s[14:15], s[0:1], 0x0
	s_load_dwordx4 s[4:7], s[0:1], 0xc
	s_load_dword s20, s[0:1], 0x1c
	s_load_dwordx2 s[8:9], s[0:1], 0x28
	v_lshrrev_b32_e32 v10, 4, v0
	v_bfe_u32 v8, v0, 1, 3
	v_lshl_or_b32 v4, s2, 4, v10
	s_waitcnt lgkmcnt(0)
	v_mad_u64_u32 v[2:3], s[2:3], v4, s6, v[8:9]
	v_cmp_gt_i32_e64 s[2:3], s15, v2
	v_cmp_gt_i32_e32 vcc, s6, v8
	s_and_b64 s[2:3], vcc, s[2:3]
	v_mov_b32_e32 v11, 0
	v_mov_b32_e32 v6, 0
	s_and_saveexec_b64 s[10:11], s[2:3]
	s_cbranch_execz .LBB36_2
; %bb.1:
	v_ashrrev_i32_e32 v3, 31, v2
	v_lshl_add_u64 v[6:7], v[2:3], 2, s[8:9]
	global_load_dword v1, v[6:7], off
	s_waitcnt vmcnt(0)
	v_subrev_u32_e32 v6, s20, v1
.LBB36_2:
	s_or_b64 exec, exec, s[10:11]
	s_and_saveexec_b64 s[10:11], s[2:3]
	s_cbranch_execz .LBB36_4
; %bb.3:
	v_ashrrev_i32_e32 v3, 31, v2
	v_lshl_add_u64 v[2:3], v[2:3], 2, s[8:9]
	global_load_dword v1, v[2:3], off offset:4
	s_waitcnt vmcnt(0)
	v_subrev_u32_e32 v11, s20, v1
.LBB36_4:
	s_or_b64 exec, exec, s[10:11]
	s_load_dword s21, s[0:1], 0x38
	v_cmp_gt_i32_e64 s[2:3], s4, v4
	v_mov_b32_e32 v2, 0
	s_and_saveexec_b64 s[8:9], s[2:3]
	s_cbranch_execz .LBB36_6
; %bb.5:
	s_load_dwordx2 s[2:3], s[0:1], 0x48
	v_ashrrev_i32_e32 v5, 31, v4
	s_waitcnt lgkmcnt(0)
	v_lshl_add_u64 v[2:3], v[4:5], 2, s[2:3]
	global_load_dword v1, v[2:3], off
	s_waitcnt vmcnt(0)
	v_subrev_u32_e32 v2, s21, v1
.LBB36_6:
	s_or_b64 exec, exec, s[8:9]
	s_cmp_lt_i32 s5, 1
	s_cbranch_scc1 .LBB36_21
; %bb.7:
	v_and_b32_e32 v4, 1, v0
	s_load_dwordx2 s[2:3], s[0:1], 0x20
	s_load_dwordx2 s[8:9], s[0:1], 0x50
	;; [unrolled: 1-line block ×4, first 2 shown]
	v_cmp_gt_u32_e64 s[0:1], s7, v4
	s_and_b64 s[12:13], vcc, s[0:1]
	s_cmp_eq_u32 s14, 0
	s_cselect_b64 vcc, -1, 0
	s_abs_i32 s4, s7
	v_cvt_f32_u32_e32 v7, s4
	v_and_b32_e32 v0, 0xf0, v0
	v_lshl_or_b32 v12, v8, 1, v0
	v_mbcnt_lo_u32_b32 v0, -1, 0
	v_mbcnt_hi_u32_b32 v0, -1, v0
	v_lshlrev_b32_e32 v3, 2, v0
	v_or_b32_e32 v0, v12, v4
	v_mov_b32_e32 v5, 0
	v_rcp_iflag_f32_e32 v7, v7
	v_lshlrev_b32_e32 v15, 2, v0
	v_mul_lo_u32 v0, v4, s6
	v_mov_b32_e32 v1, v5
	v_lshlrev_b32_e32 v16, 2, v8
	v_mul_lo_u32 v8, v8, s7
	s_waitcnt lgkmcnt(0)
	v_lshl_add_u64 v[0:1], v[0:1], 2, s[16:17]
	v_mov_b32_e32 v17, v5
	v_ashrrev_i32_e32 v9, 31, v8
	v_lshl_add_u64 v[0:1], v[0:1], 0, v[16:17]
	v_lshl_add_u64 v[8:9], v[8:9], 2, s[16:17]
	v_lshlrev_b32_e32 v16, 2, v4
	v_or_b32_e32 v14, 4, v3
	v_lshl_add_u64 v[8:9], v[8:9], 0, v[16:17]
	v_or_b32_e32 v16, 60, v3
	v_mul_f32_e32 v3, 0x4f7ffffe, v7
	v_cvt_u32_f32_e32 v3, v3
	s_ashr_i32 s22, s7, 31
	s_mul_hi_u32 s0, s7, s6
	s_mul_i32 s1, s22, s6
	s_add_i32 s23, s0, s1
	s_sub_i32 s0, 0, s4
	v_mul_lo_u32 v7, s0, v3
	v_mul_hi_u32 v7, v3, v7
	v_mov_b32_e32 v13, 0
	s_mul_i32 s6, s7, s6
	v_cndmask_b32_e32 v1, v1, v9, vcc
	v_cndmask_b32_e32 v0, v0, v8, vcc
	v_add_u32_e32 v17, v3, v7
	s_mov_b64 s[14:15], 0
	v_mov_b32_e32 v18, 1
	v_mov_b32_e32 v3, 0
	s_branch .LBB36_10
.LBB36_8:                               ;   in Loop: Header=BB36_10 Depth=1
	s_or_b64 exec, exec, s[16:17]
	v_mov_b32_e32 v7, 1
.LBB36_9:                               ;   in Loop: Header=BB36_10 Depth=1
	s_or_b64 exec, exec, s[0:1]
	v_mov_b32_dpp v3, v19 row_shr:1 row_mask:0xf bank_mask:0xf
	v_min_i32_e32 v3, v3, v19
	v_add_u32_e32 v2, v7, v2
	s_waitcnt lgkmcnt(0)
	v_mov_b32_dpp v8, v3 row_shr:2 row_mask:0xf bank_mask:0xf
	v_min_i32_e32 v3, v8, v3
	s_nop 1
	v_mov_b32_dpp v8, v3 row_shr:4 row_mask:0xf bank_mask:0xe
	v_min_i32_e32 v3, v8, v3
	s_nop 1
	v_mov_b32_dpp v8, v3 row_shr:8 row_mask:0xf bank_mask:0xc
	v_min_i32_e32 v3, v8, v3
	ds_bpermute_b32 v3, v16, v3
	s_waitcnt lgkmcnt(0)
	v_cmp_le_i32_e32 vcc, s5, v3
	s_or_b64 s[14:15], vcc, s[14:15]
	s_andn2_b64 exec, exec, s[14:15]
	s_cbranch_execz .LBB36_21
.LBB36_10:                              ; =>This Loop Header: Depth=1
                                        ;     Child Loop BB36_13 Depth 2
	v_add_u32_e32 v20, v6, v4
	v_cmp_lt_i32_e32 vcc, v20, v11
	v_mov_b32_e32 v19, s5
	v_mov_b32_e32 v22, v11
	ds_write_b8 v10, v13 offset:1024
	ds_write_b32 v15, v5
	s_waitcnt lgkmcnt(0)
	s_and_saveexec_b64 s[16:17], vcc
	s_cbranch_execz .LBB36_18
; %bb.11:                               ;   in Loop: Header=BB36_10 Depth=1
	v_ashrrev_i32_e32 v7, 31, v6
	v_lshl_add_u64 v[6:7], v[4:5], 0, v[6:7]
	v_lshlrev_b64 v[8:9], 2, v[6:7]
	v_mul_lo_u32 v21, v3, s7
	v_lshl_add_u64 v[6:7], s[10:11], 0, v[8:9]
	v_lshl_add_u64 v[8:9], s[2:3], 0, v[8:9]
	s_mov_b64 s[18:19], 0
	v_mov_b32_e32 v19, s5
	v_mov_b32_e32 v22, v11
	s_branch .LBB36_13
.LBB36_12:                              ;   in Loop: Header=BB36_13 Depth=2
	s_or_b64 exec, exec, s[0:1]
	v_add_u32_e32 v20, 2, v20
	v_cmp_ge_i32_e64 s[0:1], v20, v11
	s_xor_b64 s[24:25], vcc, -1
	s_or_b64 s[0:1], s[24:25], s[0:1]
	s_and_b64 s[0:1], exec, s[0:1]
	v_lshl_add_u64 v[6:7], v[6:7], 0, 8
	s_or_b64 s[18:19], s[0:1], s[18:19]
	v_lshl_add_u64 v[8:9], v[8:9], 0, 8
	s_andn2_b64 exec, exec, s[18:19]
	s_cbranch_execz .LBB36_17
.LBB36_13:                              ;   Parent Loop BB36_10 Depth=1
                                        ; =>  This Inner Loop Header: Depth=2
	global_load_dword v23, v[6:7], off
	s_waitcnt vmcnt(0)
	v_subrev_u32_e32 v23, s20, v23
	v_sub_u32_e32 v25, 0, v23
	v_max_i32_e32 v25, v23, v25
	v_mul_hi_u32 v26, v25, v17
	v_mul_lo_u32 v27, v26, s4
	v_sub_u32_e32 v25, v25, v27
	v_add_u32_e32 v28, 1, v26
	v_cmp_le_u32_e32 vcc, s4, v25
	v_subrev_u32_e32 v27, s4, v25
	v_ashrrev_i32_e32 v24, 31, v23
	v_cndmask_b32_e32 v26, v26, v28, vcc
	v_cndmask_b32_e32 v25, v25, v27, vcc
	v_add_u32_e32 v27, 1, v26
	v_cmp_le_u32_e32 vcc, s4, v25
	v_xor_b32_e32 v24, s22, v24
	s_nop 0
	v_cndmask_b32_e32 v25, v26, v27, vcc
	v_xor_b32_e32 v25, v25, v24
	v_sub_u32_e32 v25, v25, v24
	v_cmp_eq_u32_e32 vcc, v25, v3
	v_cmp_ne_u32_e64 s[0:1], v25, v3
	v_mov_b32_e32 v24, v22
	s_and_saveexec_b64 s[24:25], s[0:1]
	s_xor_b64 s[0:1], exec, s[24:25]
; %bb.14:                               ;   in Loop: Header=BB36_13 Depth=2
	v_min_i32_e32 v19, v25, v19
                                        ; implicit-def: $vgpr23
                                        ; implicit-def: $vgpr24
; %bb.15:                               ;   in Loop: Header=BB36_13 Depth=2
	s_or_saveexec_b64 s[0:1], s[0:1]
	v_mov_b32_e32 v22, v20
	s_xor_b64 exec, exec, s[0:1]
	s_cbranch_execz .LBB36_12
; %bb.16:                               ;   in Loop: Header=BB36_13 Depth=2
	global_load_dword v22, v[8:9], off
	v_sub_u32_e32 v23, v23, v21
	v_add_lshl_u32 v23, v12, v23, 2
	ds_write_b8 v10, v18 offset:1024
	s_waitcnt vmcnt(0)
	ds_write_b32 v23, v22
	v_mov_b32_e32 v22, v24
	s_branch .LBB36_12
.LBB36_17:                              ;   in Loop: Header=BB36_10 Depth=1
	s_or_b64 exec, exec, s[18:19]
.LBB36_18:                              ;   in Loop: Header=BB36_10 Depth=1
	s_or_b64 exec, exec, s[16:17]
	s_waitcnt lgkmcnt(0)
	ds_read_u8 v7, v10 offset:1024
	v_mov_b32_dpp v6, v22 row_shr:1 row_mask:0xf bank_mask:0xf
	v_min_i32_e32 v6, v6, v22
	ds_bpermute_b32 v6, v14, v6
	s_waitcnt lgkmcnt(1)
	v_and_b32_e32 v7, 1, v7
	v_cmp_eq_u32_e32 vcc, 1, v7
	v_mov_b32_e32 v7, 0
	s_and_saveexec_b64 s[0:1], vcc
	s_cbranch_execz .LBB36_9
; %bb.19:                               ;   in Loop: Header=BB36_10 Depth=1
	v_add_u32_e32 v7, s21, v3
	v_ashrrev_i32_e32 v3, 31, v2
	v_lshl_add_u64 v[8:9], v[2:3], 2, s[8:9]
	global_store_dword v[8:9], v7, off
	s_and_saveexec_b64 s[16:17], s[12:13]
	s_cbranch_execz .LBB36_8
; %bb.20:                               ;   in Loop: Header=BB36_10 Depth=1
	ds_read_b32 v7, v15
	v_mul_lo_u32 v20, s23, v2
	v_mul_lo_u32 v3, s6, v3
	v_mad_u64_u32 v[8:9], s[18:19], s6, v2, 0
	v_add3_u32 v9, v9, v3, v20
	v_lshl_add_u64 v[8:9], v[8:9], 2, v[0:1]
	s_waitcnt lgkmcnt(0)
	global_store_dword v[8:9], v7, off
	s_branch .LBB36_8
.LBB36_21:
	s_endpgm
	.section	.rodata,"a",@progbits
	.p2align	6, 0x0
	.amdhsa_kernel _ZN9rocsparseL44csr2gebsr_wavefront_per_row_multipass_kernelILi256ELi8ELi2ELi16EfEEv20rocsparse_direction_iiiiii21rocsparse_index_base_PKT3_PKiS7_S2_PS3_PiS9_
		.amdhsa_group_segment_fixed_size 1040
		.amdhsa_private_segment_fixed_size 0
		.amdhsa_kernarg_size 88
		.amdhsa_user_sgpr_count 2
		.amdhsa_user_sgpr_dispatch_ptr 0
		.amdhsa_user_sgpr_queue_ptr 0
		.amdhsa_user_sgpr_kernarg_segment_ptr 1
		.amdhsa_user_sgpr_dispatch_id 0
		.amdhsa_user_sgpr_kernarg_preload_length 0
		.amdhsa_user_sgpr_kernarg_preload_offset 0
		.amdhsa_user_sgpr_private_segment_size 0
		.amdhsa_uses_dynamic_stack 0
		.amdhsa_enable_private_segment 0
		.amdhsa_system_sgpr_workgroup_id_x 1
		.amdhsa_system_sgpr_workgroup_id_y 0
		.amdhsa_system_sgpr_workgroup_id_z 0
		.amdhsa_system_sgpr_workgroup_info 0
		.amdhsa_system_vgpr_workitem_id 0
		.amdhsa_next_free_vgpr 29
		.amdhsa_next_free_sgpr 26
		.amdhsa_accum_offset 32
		.amdhsa_reserve_vcc 1
		.amdhsa_float_round_mode_32 0
		.amdhsa_float_round_mode_16_64 0
		.amdhsa_float_denorm_mode_32 3
		.amdhsa_float_denorm_mode_16_64 3
		.amdhsa_dx10_clamp 1
		.amdhsa_ieee_mode 1
		.amdhsa_fp16_overflow 0
		.amdhsa_tg_split 0
		.amdhsa_exception_fp_ieee_invalid_op 0
		.amdhsa_exception_fp_denorm_src 0
		.amdhsa_exception_fp_ieee_div_zero 0
		.amdhsa_exception_fp_ieee_overflow 0
		.amdhsa_exception_fp_ieee_underflow 0
		.amdhsa_exception_fp_ieee_inexact 0
		.amdhsa_exception_int_div_zero 0
	.end_amdhsa_kernel
	.section	.text._ZN9rocsparseL44csr2gebsr_wavefront_per_row_multipass_kernelILi256ELi8ELi2ELi16EfEEv20rocsparse_direction_iiiiii21rocsparse_index_base_PKT3_PKiS7_S2_PS3_PiS9_,"axG",@progbits,_ZN9rocsparseL44csr2gebsr_wavefront_per_row_multipass_kernelILi256ELi8ELi2ELi16EfEEv20rocsparse_direction_iiiiii21rocsparse_index_base_PKT3_PKiS7_S2_PS3_PiS9_,comdat
.Lfunc_end36:
	.size	_ZN9rocsparseL44csr2gebsr_wavefront_per_row_multipass_kernelILi256ELi8ELi2ELi16EfEEv20rocsparse_direction_iiiiii21rocsparse_index_base_PKT3_PKiS7_S2_PS3_PiS9_, .Lfunc_end36-_ZN9rocsparseL44csr2gebsr_wavefront_per_row_multipass_kernelILi256ELi8ELi2ELi16EfEEv20rocsparse_direction_iiiiii21rocsparse_index_base_PKT3_PKiS7_S2_PS3_PiS9_
                                        ; -- End function
	.section	.AMDGPU.csdata,"",@progbits
; Kernel info:
; codeLenInByte = 1144
; NumSgprs: 32
; NumVgprs: 29
; NumAgprs: 0
; TotalNumVgprs: 29
; ScratchSize: 0
; MemoryBound: 0
; FloatMode: 240
; IeeeMode: 1
; LDSByteSize: 1040 bytes/workgroup (compile time only)
; SGPRBlocks: 3
; VGPRBlocks: 3
; NumSGPRsForWavesPerEU: 32
; NumVGPRsForWavesPerEU: 29
; AccumOffset: 32
; Occupancy: 8
; WaveLimiterHint : 0
; COMPUTE_PGM_RSRC2:SCRATCH_EN: 0
; COMPUTE_PGM_RSRC2:USER_SGPR: 2
; COMPUTE_PGM_RSRC2:TRAP_HANDLER: 0
; COMPUTE_PGM_RSRC2:TGID_X_EN: 1
; COMPUTE_PGM_RSRC2:TGID_Y_EN: 0
; COMPUTE_PGM_RSRC2:TGID_Z_EN: 0
; COMPUTE_PGM_RSRC2:TIDIG_COMP_CNT: 0
; COMPUTE_PGM_RSRC3_GFX90A:ACCUM_OFFSET: 7
; COMPUTE_PGM_RSRC3_GFX90A:TG_SPLIT: 0
	.section	.text._ZN9rocsparseL44csr2gebsr_wavefront_per_row_multipass_kernelILi256ELi8ELi4ELi32EfEEv20rocsparse_direction_iiiiii21rocsparse_index_base_PKT3_PKiS7_S2_PS3_PiS9_,"axG",@progbits,_ZN9rocsparseL44csr2gebsr_wavefront_per_row_multipass_kernelILi256ELi8ELi4ELi32EfEEv20rocsparse_direction_iiiiii21rocsparse_index_base_PKT3_PKiS7_S2_PS3_PiS9_,comdat
	.globl	_ZN9rocsparseL44csr2gebsr_wavefront_per_row_multipass_kernelILi256ELi8ELi4ELi32EfEEv20rocsparse_direction_iiiiii21rocsparse_index_base_PKT3_PKiS7_S2_PS3_PiS9_ ; -- Begin function _ZN9rocsparseL44csr2gebsr_wavefront_per_row_multipass_kernelILi256ELi8ELi4ELi32EfEEv20rocsparse_direction_iiiiii21rocsparse_index_base_PKT3_PKiS7_S2_PS3_PiS9_
	.p2align	8
	.type	_ZN9rocsparseL44csr2gebsr_wavefront_per_row_multipass_kernelILi256ELi8ELi4ELi32EfEEv20rocsparse_direction_iiiiii21rocsparse_index_base_PKT3_PKiS7_S2_PS3_PiS9_,@function
_ZN9rocsparseL44csr2gebsr_wavefront_per_row_multipass_kernelILi256ELi8ELi4ELi32EfEEv20rocsparse_direction_iiiiii21rocsparse_index_base_PKT3_PKiS7_S2_PS3_PiS9_: ; @_ZN9rocsparseL44csr2gebsr_wavefront_per_row_multipass_kernelILi256ELi8ELi4ELi32EfEEv20rocsparse_direction_iiiiii21rocsparse_index_base_PKT3_PKiS7_S2_PS3_PiS9_
; %bb.0:
	s_load_dwordx2 s[14:15], s[0:1], 0x0
	s_load_dwordx4 s[4:7], s[0:1], 0xc
	s_load_dword s20, s[0:1], 0x1c
	s_load_dwordx2 s[8:9], s[0:1], 0x28
	v_lshrrev_b32_e32 v10, 5, v0
	v_bfe_u32 v8, v0, 2, 3
	v_lshl_or_b32 v4, s2, 3, v10
	s_waitcnt lgkmcnt(0)
	v_mad_u64_u32 v[2:3], s[2:3], v4, s6, v[8:9]
	v_cmp_gt_i32_e64 s[2:3], s15, v2
	v_cmp_gt_i32_e32 vcc, s6, v8
	s_and_b64 s[2:3], vcc, s[2:3]
	v_mov_b32_e32 v11, 0
	v_mov_b32_e32 v6, 0
	s_and_saveexec_b64 s[10:11], s[2:3]
	s_cbranch_execz .LBB37_2
; %bb.1:
	v_ashrrev_i32_e32 v3, 31, v2
	v_lshl_add_u64 v[6:7], v[2:3], 2, s[8:9]
	global_load_dword v1, v[6:7], off
	s_waitcnt vmcnt(0)
	v_subrev_u32_e32 v6, s20, v1
.LBB37_2:
	s_or_b64 exec, exec, s[10:11]
	s_and_saveexec_b64 s[10:11], s[2:3]
	s_cbranch_execz .LBB37_4
; %bb.3:
	v_ashrrev_i32_e32 v3, 31, v2
	v_lshl_add_u64 v[2:3], v[2:3], 2, s[8:9]
	global_load_dword v1, v[2:3], off offset:4
	s_waitcnt vmcnt(0)
	v_subrev_u32_e32 v11, s20, v1
.LBB37_4:
	s_or_b64 exec, exec, s[10:11]
	s_load_dword s21, s[0:1], 0x38
	v_cmp_gt_i32_e64 s[2:3], s4, v4
	v_mov_b32_e32 v2, 0
	s_and_saveexec_b64 s[8:9], s[2:3]
	s_cbranch_execz .LBB37_6
; %bb.5:
	s_load_dwordx2 s[2:3], s[0:1], 0x48
	v_ashrrev_i32_e32 v5, 31, v4
	s_waitcnt lgkmcnt(0)
	v_lshl_add_u64 v[2:3], v[4:5], 2, s[2:3]
	global_load_dword v1, v[2:3], off
	s_waitcnt vmcnt(0)
	v_subrev_u32_e32 v2, s21, v1
.LBB37_6:
	s_or_b64 exec, exec, s[8:9]
	s_cmp_lt_i32 s5, 1
	s_cbranch_scc1 .LBB37_21
; %bb.7:
	s_load_dwordx2 s[2:3], s[0:1], 0x20
	s_load_dwordx2 s[8:9], s[0:1], 0x50
	;; [unrolled: 1-line block ×4, first 2 shown]
	v_and_b32_e32 v4, 3, v0
	v_lshlrev_b32_e32 v16, 2, v8
	s_movk_i32 s0, 0xe0
	v_and_or_b32 v12, v0, s0, v16
	v_cmp_gt_u32_e64 s[0:1], s7, v4
	s_and_b64 s[12:13], vcc, s[0:1]
	s_cmp_eq_u32 s14, 0
	s_cselect_b64 vcc, -1, 0
	s_abs_i32 s4, s7
	v_cvt_f32_u32_e32 v7, s4
	v_mbcnt_lo_u32_b32 v0, -1, 0
	v_mbcnt_hi_u32_b32 v0, -1, v0
	v_lshlrev_b32_e32 v3, 2, v0
	v_or_b32_e32 v0, v12, v4
	v_mov_b32_e32 v5, 0
	v_rcp_iflag_f32_e32 v7, v7
	v_lshlrev_b32_e32 v15, 2, v0
	v_mul_lo_u32 v0, v4, s6
	v_mov_b32_e32 v1, v5
	v_mul_lo_u32 v8, v8, s7
	s_waitcnt lgkmcnt(0)
	v_lshl_add_u64 v[0:1], v[0:1], 2, s[16:17]
	v_mov_b32_e32 v17, v5
	v_ashrrev_i32_e32 v9, 31, v8
	v_lshl_add_u64 v[0:1], v[0:1], 0, v[16:17]
	v_lshl_add_u64 v[8:9], v[8:9], 2, s[16:17]
	v_lshlrev_b32_e32 v16, 2, v4
	v_or_b32_e32 v14, 12, v3
	v_lshl_add_u64 v[8:9], v[8:9], 0, v[16:17]
	v_or_b32_e32 v16, 0x7c, v3
	v_mul_f32_e32 v3, 0x4f7ffffe, v7
	v_cvt_u32_f32_e32 v3, v3
	s_ashr_i32 s22, s7, 31
	s_mul_hi_u32 s0, s7, s6
	s_mul_i32 s1, s22, s6
	s_add_i32 s23, s0, s1
	s_sub_i32 s0, 0, s4
	v_mul_lo_u32 v7, s0, v3
	v_mul_hi_u32 v7, v3, v7
	v_mov_b32_e32 v13, 0
	s_mul_i32 s6, s7, s6
	v_cndmask_b32_e32 v1, v1, v9, vcc
	v_cndmask_b32_e32 v0, v0, v8, vcc
	v_add_u32_e32 v17, v3, v7
	s_mov_b64 s[14:15], 0
	v_mov_b32_e32 v18, 1
	v_mov_b32_e32 v3, 0
	s_branch .LBB37_10
.LBB37_8:                               ;   in Loop: Header=BB37_10 Depth=1
	s_or_b64 exec, exec, s[16:17]
	v_mov_b32_e32 v7, 1
.LBB37_9:                               ;   in Loop: Header=BB37_10 Depth=1
	s_or_b64 exec, exec, s[0:1]
	v_mov_b32_dpp v3, v19 row_shr:1 row_mask:0xf bank_mask:0xf
	v_min_i32_e32 v3, v3, v19
	v_add_u32_e32 v2, v7, v2
	s_waitcnt lgkmcnt(0)
	v_mov_b32_dpp v8, v3 row_shr:2 row_mask:0xf bank_mask:0xf
	v_min_i32_e32 v3, v8, v3
	s_nop 1
	v_mov_b32_dpp v8, v3 row_shr:4 row_mask:0xf bank_mask:0xe
	v_min_i32_e32 v3, v8, v3
	s_nop 1
	;; [unrolled: 3-line block ×3, first 2 shown]
	v_mov_b32_dpp v8, v3 row_bcast:15 row_mask:0xa bank_mask:0xf
	v_min_i32_e32 v3, v8, v3
	ds_bpermute_b32 v3, v16, v3
	s_waitcnt lgkmcnt(0)
	v_cmp_le_i32_e32 vcc, s5, v3
	s_or_b64 s[14:15], vcc, s[14:15]
	s_andn2_b64 exec, exec, s[14:15]
	s_cbranch_execz .LBB37_21
.LBB37_10:                              ; =>This Loop Header: Depth=1
                                        ;     Child Loop BB37_13 Depth 2
	v_add_u32_e32 v20, v6, v4
	v_cmp_lt_i32_e32 vcc, v20, v11
	v_mov_b32_e32 v19, s5
	v_mov_b32_e32 v22, v11
	ds_write_b8 v10, v13 offset:1024
	ds_write_b32 v15, v5
	s_waitcnt lgkmcnt(0)
	s_and_saveexec_b64 s[16:17], vcc
	s_cbranch_execz .LBB37_18
; %bb.11:                               ;   in Loop: Header=BB37_10 Depth=1
	v_ashrrev_i32_e32 v7, 31, v6
	v_lshl_add_u64 v[6:7], v[4:5], 0, v[6:7]
	v_lshlrev_b64 v[8:9], 2, v[6:7]
	v_mul_lo_u32 v21, v3, s7
	v_lshl_add_u64 v[6:7], s[10:11], 0, v[8:9]
	v_lshl_add_u64 v[8:9], s[2:3], 0, v[8:9]
	s_mov_b64 s[18:19], 0
	v_mov_b32_e32 v19, s5
	v_mov_b32_e32 v22, v11
	s_branch .LBB37_13
.LBB37_12:                              ;   in Loop: Header=BB37_13 Depth=2
	s_or_b64 exec, exec, s[0:1]
	v_add_u32_e32 v20, 4, v20
	v_cmp_ge_i32_e64 s[0:1], v20, v11
	s_xor_b64 s[24:25], vcc, -1
	s_or_b64 s[0:1], s[24:25], s[0:1]
	s_and_b64 s[0:1], exec, s[0:1]
	v_lshl_add_u64 v[6:7], v[6:7], 0, 16
	s_or_b64 s[18:19], s[0:1], s[18:19]
	v_lshl_add_u64 v[8:9], v[8:9], 0, 16
	s_andn2_b64 exec, exec, s[18:19]
	s_cbranch_execz .LBB37_17
.LBB37_13:                              ;   Parent Loop BB37_10 Depth=1
                                        ; =>  This Inner Loop Header: Depth=2
	global_load_dword v23, v[6:7], off
	s_waitcnt vmcnt(0)
	v_subrev_u32_e32 v23, s20, v23
	v_sub_u32_e32 v25, 0, v23
	v_max_i32_e32 v25, v23, v25
	v_mul_hi_u32 v26, v25, v17
	v_mul_lo_u32 v27, v26, s4
	v_sub_u32_e32 v25, v25, v27
	v_add_u32_e32 v28, 1, v26
	v_cmp_le_u32_e32 vcc, s4, v25
	v_subrev_u32_e32 v27, s4, v25
	v_ashrrev_i32_e32 v24, 31, v23
	v_cndmask_b32_e32 v26, v26, v28, vcc
	v_cndmask_b32_e32 v25, v25, v27, vcc
	v_add_u32_e32 v27, 1, v26
	v_cmp_le_u32_e32 vcc, s4, v25
	v_xor_b32_e32 v24, s22, v24
	s_nop 0
	v_cndmask_b32_e32 v25, v26, v27, vcc
	v_xor_b32_e32 v25, v25, v24
	v_sub_u32_e32 v25, v25, v24
	v_cmp_eq_u32_e32 vcc, v25, v3
	v_cmp_ne_u32_e64 s[0:1], v25, v3
	v_mov_b32_e32 v24, v22
	s_and_saveexec_b64 s[24:25], s[0:1]
	s_xor_b64 s[0:1], exec, s[24:25]
; %bb.14:                               ;   in Loop: Header=BB37_13 Depth=2
	v_min_i32_e32 v19, v25, v19
                                        ; implicit-def: $vgpr23
                                        ; implicit-def: $vgpr24
; %bb.15:                               ;   in Loop: Header=BB37_13 Depth=2
	s_or_saveexec_b64 s[0:1], s[0:1]
	v_mov_b32_e32 v22, v20
	s_xor_b64 exec, exec, s[0:1]
	s_cbranch_execz .LBB37_12
; %bb.16:                               ;   in Loop: Header=BB37_13 Depth=2
	global_load_dword v22, v[8:9], off
	v_sub_u32_e32 v23, v23, v21
	v_add_lshl_u32 v23, v12, v23, 2
	ds_write_b8 v10, v18 offset:1024
	s_waitcnt vmcnt(0)
	ds_write_b32 v23, v22
	v_mov_b32_e32 v22, v24
	s_branch .LBB37_12
.LBB37_17:                              ;   in Loop: Header=BB37_10 Depth=1
	s_or_b64 exec, exec, s[18:19]
.LBB37_18:                              ;   in Loop: Header=BB37_10 Depth=1
	s_or_b64 exec, exec, s[16:17]
	v_mov_b32_dpp v6, v22 row_shr:1 row_mask:0xf bank_mask:0xf
	v_min_i32_e32 v6, v6, v22
	s_waitcnt lgkmcnt(0)
	ds_read_u8 v7, v10 offset:1024
	v_mov_b32_dpp v8, v6 row_shr:2 row_mask:0xf bank_mask:0xf
	v_min_i32_e32 v6, v8, v6
	ds_bpermute_b32 v6, v14, v6
	s_waitcnt lgkmcnt(1)
	v_and_b32_e32 v7, 1, v7
	v_cmp_eq_u32_e32 vcc, 1, v7
	v_mov_b32_e32 v7, 0
	s_and_saveexec_b64 s[0:1], vcc
	s_cbranch_execz .LBB37_9
; %bb.19:                               ;   in Loop: Header=BB37_10 Depth=1
	v_add_u32_e32 v7, s21, v3
	v_ashrrev_i32_e32 v3, 31, v2
	v_lshl_add_u64 v[8:9], v[2:3], 2, s[8:9]
	global_store_dword v[8:9], v7, off
	s_and_saveexec_b64 s[16:17], s[12:13]
	s_cbranch_execz .LBB37_8
; %bb.20:                               ;   in Loop: Header=BB37_10 Depth=1
	ds_read_b32 v7, v15
	v_mul_lo_u32 v20, s23, v2
	v_mul_lo_u32 v3, s6, v3
	v_mad_u64_u32 v[8:9], s[18:19], s6, v2, 0
	v_add3_u32 v9, v9, v3, v20
	v_lshl_add_u64 v[8:9], v[8:9], 2, v[0:1]
	s_waitcnt lgkmcnt(0)
	global_store_dword v[8:9], v7, off
	s_branch .LBB37_8
.LBB37_21:
	s_endpgm
	.section	.rodata,"a",@progbits
	.p2align	6, 0x0
	.amdhsa_kernel _ZN9rocsparseL44csr2gebsr_wavefront_per_row_multipass_kernelILi256ELi8ELi4ELi32EfEEv20rocsparse_direction_iiiiii21rocsparse_index_base_PKT3_PKiS7_S2_PS3_PiS9_
		.amdhsa_group_segment_fixed_size 1032
		.amdhsa_private_segment_fixed_size 0
		.amdhsa_kernarg_size 88
		.amdhsa_user_sgpr_count 2
		.amdhsa_user_sgpr_dispatch_ptr 0
		.amdhsa_user_sgpr_queue_ptr 0
		.amdhsa_user_sgpr_kernarg_segment_ptr 1
		.amdhsa_user_sgpr_dispatch_id 0
		.amdhsa_user_sgpr_kernarg_preload_length 0
		.amdhsa_user_sgpr_kernarg_preload_offset 0
		.amdhsa_user_sgpr_private_segment_size 0
		.amdhsa_uses_dynamic_stack 0
		.amdhsa_enable_private_segment 0
		.amdhsa_system_sgpr_workgroup_id_x 1
		.amdhsa_system_sgpr_workgroup_id_y 0
		.amdhsa_system_sgpr_workgroup_id_z 0
		.amdhsa_system_sgpr_workgroup_info 0
		.amdhsa_system_vgpr_workitem_id 0
		.amdhsa_next_free_vgpr 29
		.amdhsa_next_free_sgpr 26
		.amdhsa_accum_offset 32
		.amdhsa_reserve_vcc 1
		.amdhsa_float_round_mode_32 0
		.amdhsa_float_round_mode_16_64 0
		.amdhsa_float_denorm_mode_32 3
		.amdhsa_float_denorm_mode_16_64 3
		.amdhsa_dx10_clamp 1
		.amdhsa_ieee_mode 1
		.amdhsa_fp16_overflow 0
		.amdhsa_tg_split 0
		.amdhsa_exception_fp_ieee_invalid_op 0
		.amdhsa_exception_fp_denorm_src 0
		.amdhsa_exception_fp_ieee_div_zero 0
		.amdhsa_exception_fp_ieee_overflow 0
		.amdhsa_exception_fp_ieee_underflow 0
		.amdhsa_exception_fp_ieee_inexact 0
		.amdhsa_exception_int_div_zero 0
	.end_amdhsa_kernel
	.section	.text._ZN9rocsparseL44csr2gebsr_wavefront_per_row_multipass_kernelILi256ELi8ELi4ELi32EfEEv20rocsparse_direction_iiiiii21rocsparse_index_base_PKT3_PKiS7_S2_PS3_PiS9_,"axG",@progbits,_ZN9rocsparseL44csr2gebsr_wavefront_per_row_multipass_kernelILi256ELi8ELi4ELi32EfEEv20rocsparse_direction_iiiiii21rocsparse_index_base_PKT3_PKiS7_S2_PS3_PiS9_,comdat
.Lfunc_end37:
	.size	_ZN9rocsparseL44csr2gebsr_wavefront_per_row_multipass_kernelILi256ELi8ELi4ELi32EfEEv20rocsparse_direction_iiiiii21rocsparse_index_base_PKT3_PKiS7_S2_PS3_PiS9_, .Lfunc_end37-_ZN9rocsparseL44csr2gebsr_wavefront_per_row_multipass_kernelILi256ELi8ELi4ELi32EfEEv20rocsparse_direction_iiiiii21rocsparse_index_base_PKT3_PKiS7_S2_PS3_PiS9_
                                        ; -- End function
	.section	.AMDGPU.csdata,"",@progbits
; Kernel info:
; codeLenInByte = 1172
; NumSgprs: 32
; NumVgprs: 29
; NumAgprs: 0
; TotalNumVgprs: 29
; ScratchSize: 0
; MemoryBound: 0
; FloatMode: 240
; IeeeMode: 1
; LDSByteSize: 1032 bytes/workgroup (compile time only)
; SGPRBlocks: 3
; VGPRBlocks: 3
; NumSGPRsForWavesPerEU: 32
; NumVGPRsForWavesPerEU: 29
; AccumOffset: 32
; Occupancy: 8
; WaveLimiterHint : 0
; COMPUTE_PGM_RSRC2:SCRATCH_EN: 0
; COMPUTE_PGM_RSRC2:USER_SGPR: 2
; COMPUTE_PGM_RSRC2:TRAP_HANDLER: 0
; COMPUTE_PGM_RSRC2:TGID_X_EN: 1
; COMPUTE_PGM_RSRC2:TGID_Y_EN: 0
; COMPUTE_PGM_RSRC2:TGID_Z_EN: 0
; COMPUTE_PGM_RSRC2:TIDIG_COMP_CNT: 0
; COMPUTE_PGM_RSRC3_GFX90A:ACCUM_OFFSET: 7
; COMPUTE_PGM_RSRC3_GFX90A:TG_SPLIT: 0
	.section	.text._ZN9rocsparseL44csr2gebsr_wavefront_per_row_multipass_kernelILi256ELi8ELi8ELi64EfEEv20rocsparse_direction_iiiiii21rocsparse_index_base_PKT3_PKiS7_S2_PS3_PiS9_,"axG",@progbits,_ZN9rocsparseL44csr2gebsr_wavefront_per_row_multipass_kernelILi256ELi8ELi8ELi64EfEEv20rocsparse_direction_iiiiii21rocsparse_index_base_PKT3_PKiS7_S2_PS3_PiS9_,comdat
	.globl	_ZN9rocsparseL44csr2gebsr_wavefront_per_row_multipass_kernelILi256ELi8ELi8ELi64EfEEv20rocsparse_direction_iiiiii21rocsparse_index_base_PKT3_PKiS7_S2_PS3_PiS9_ ; -- Begin function _ZN9rocsparseL44csr2gebsr_wavefront_per_row_multipass_kernelILi256ELi8ELi8ELi64EfEEv20rocsparse_direction_iiiiii21rocsparse_index_base_PKT3_PKiS7_S2_PS3_PiS9_
	.p2align	8
	.type	_ZN9rocsparseL44csr2gebsr_wavefront_per_row_multipass_kernelILi256ELi8ELi8ELi64EfEEv20rocsparse_direction_iiiiii21rocsparse_index_base_PKT3_PKiS7_S2_PS3_PiS9_,@function
_ZN9rocsparseL44csr2gebsr_wavefront_per_row_multipass_kernelILi256ELi8ELi8ELi64EfEEv20rocsparse_direction_iiiiii21rocsparse_index_base_PKT3_PKiS7_S2_PS3_PiS9_: ; @_ZN9rocsparseL44csr2gebsr_wavefront_per_row_multipass_kernelILi256ELi8ELi8ELi64EfEEv20rocsparse_direction_iiiiii21rocsparse_index_base_PKT3_PKiS7_S2_PS3_PiS9_
; %bb.0:
	s_load_dwordx2 s[14:15], s[0:1], 0x0
	s_load_dwordx4 s[4:7], s[0:1], 0xc
	s_load_dword s20, s[0:1], 0x1c
	s_load_dwordx2 s[8:9], s[0:1], 0x28
	v_lshrrev_b32_e32 v10, 6, v0
	v_bfe_u32 v8, v0, 3, 3
	v_lshl_or_b32 v4, s2, 2, v10
	s_waitcnt lgkmcnt(0)
	v_mad_u64_u32 v[2:3], s[2:3], v4, s6, v[8:9]
	v_cmp_gt_i32_e64 s[2:3], s15, v2
	v_cmp_gt_i32_e32 vcc, s6, v8
	s_and_b64 s[2:3], vcc, s[2:3]
	v_mov_b32_e32 v11, 0
	v_mov_b32_e32 v6, 0
	s_and_saveexec_b64 s[10:11], s[2:3]
	s_cbranch_execz .LBB38_2
; %bb.1:
	v_ashrrev_i32_e32 v3, 31, v2
	v_lshl_add_u64 v[6:7], v[2:3], 2, s[8:9]
	global_load_dword v1, v[6:7], off
	s_waitcnt vmcnt(0)
	v_subrev_u32_e32 v6, s20, v1
.LBB38_2:
	s_or_b64 exec, exec, s[10:11]
	s_and_saveexec_b64 s[10:11], s[2:3]
	s_cbranch_execz .LBB38_4
; %bb.3:
	v_ashrrev_i32_e32 v3, 31, v2
	v_lshl_add_u64 v[2:3], v[2:3], 2, s[8:9]
	global_load_dword v1, v[2:3], off offset:4
	s_waitcnt vmcnt(0)
	v_subrev_u32_e32 v11, s20, v1
.LBB38_4:
	s_or_b64 exec, exec, s[10:11]
	s_load_dword s21, s[0:1], 0x38
	v_cmp_gt_i32_e64 s[2:3], s4, v4
	v_mov_b32_e32 v2, 0
	s_and_saveexec_b64 s[8:9], s[2:3]
	s_cbranch_execz .LBB38_6
; %bb.5:
	s_load_dwordx2 s[2:3], s[0:1], 0x48
	v_ashrrev_i32_e32 v5, 31, v4
	s_waitcnt lgkmcnt(0)
	v_lshl_add_u64 v[2:3], v[4:5], 2, s[2:3]
	global_load_dword v1, v[2:3], off
	s_waitcnt vmcnt(0)
	v_subrev_u32_e32 v2, s21, v1
.LBB38_6:
	s_or_b64 exec, exec, s[8:9]
	s_cmp_lt_i32 s5, 1
	s_cbranch_scc1 .LBB38_21
; %bb.7:
	v_and_b32_e32 v4, 7, v0
	s_load_dwordx2 s[2:3], s[0:1], 0x20
	s_load_dwordx2 s[8:9], s[0:1], 0x50
	;; [unrolled: 1-line block ×4, first 2 shown]
	v_cmp_gt_u32_e64 s[0:1], s7, v4
	s_and_b64 s[12:13], vcc, s[0:1]
	s_cmp_eq_u32 s14, 0
	s_cselect_b64 vcc, -1, 0
	s_abs_i32 s4, s7
	v_cvt_f32_u32_e32 v7, s4
	v_and_b32_e32 v0, 0xc0, v0
	v_lshl_or_b32 v12, v8, 3, v0
	v_mbcnt_lo_u32_b32 v0, -1, 0
	v_mbcnt_hi_u32_b32 v0, -1, v0
	v_lshlrev_b32_e32 v3, 2, v0
	v_or_b32_e32 v0, v12, v4
	v_mov_b32_e32 v5, 0
	v_rcp_iflag_f32_e32 v7, v7
	v_lshlrev_b32_e32 v15, 2, v0
	v_mul_lo_u32 v0, v4, s6
	v_mov_b32_e32 v1, v5
	v_lshlrev_b32_e32 v16, 2, v8
	v_mul_lo_u32 v8, v8, s7
	s_waitcnt lgkmcnt(0)
	v_lshl_add_u64 v[0:1], v[0:1], 2, s[16:17]
	v_mov_b32_e32 v17, v5
	v_ashrrev_i32_e32 v9, 31, v8
	v_lshl_add_u64 v[0:1], v[0:1], 0, v[16:17]
	v_lshl_add_u64 v[8:9], v[8:9], 2, s[16:17]
	v_lshlrev_b32_e32 v16, 2, v4
	v_or_b32_e32 v14, 28, v3
	v_lshl_add_u64 v[8:9], v[8:9], 0, v[16:17]
	v_or_b32_e32 v16, 0xfc, v3
	v_mul_f32_e32 v3, 0x4f7ffffe, v7
	v_cvt_u32_f32_e32 v3, v3
	s_ashr_i32 s22, s7, 31
	s_mul_hi_u32 s0, s7, s6
	s_mul_i32 s1, s22, s6
	s_add_i32 s23, s0, s1
	s_sub_i32 s0, 0, s4
	v_mul_lo_u32 v7, s0, v3
	v_mul_hi_u32 v7, v3, v7
	v_mov_b32_e32 v13, 0
	s_mul_i32 s6, s7, s6
	v_cndmask_b32_e32 v1, v1, v9, vcc
	v_cndmask_b32_e32 v0, v0, v8, vcc
	v_add_u32_e32 v17, v3, v7
	s_mov_b64 s[14:15], 0
	v_mov_b32_e32 v18, 1
	v_mov_b32_e32 v3, 0
	s_branch .LBB38_10
.LBB38_8:                               ;   in Loop: Header=BB38_10 Depth=1
	s_or_b64 exec, exec, s[16:17]
	v_mov_b32_e32 v7, 1
.LBB38_9:                               ;   in Loop: Header=BB38_10 Depth=1
	s_or_b64 exec, exec, s[0:1]
	v_mov_b32_dpp v3, v19 row_shr:1 row_mask:0xf bank_mask:0xf
	v_min_i32_e32 v3, v3, v19
	v_add_u32_e32 v2, v7, v2
	s_waitcnt lgkmcnt(0)
	v_mov_b32_dpp v8, v3 row_shr:2 row_mask:0xf bank_mask:0xf
	v_min_i32_e32 v3, v8, v3
	s_nop 1
	v_mov_b32_dpp v8, v3 row_shr:4 row_mask:0xf bank_mask:0xe
	v_min_i32_e32 v3, v8, v3
	s_nop 1
	;; [unrolled: 3-line block ×3, first 2 shown]
	v_mov_b32_dpp v8, v3 row_bcast:15 row_mask:0xa bank_mask:0xf
	v_min_i32_e32 v3, v8, v3
	s_nop 1
	v_mov_b32_dpp v8, v3 row_bcast:31 row_mask:0xc bank_mask:0xf
	v_min_i32_e32 v3, v8, v3
	ds_bpermute_b32 v3, v16, v3
	s_waitcnt lgkmcnt(0)
	v_cmp_le_i32_e32 vcc, s5, v3
	s_or_b64 s[14:15], vcc, s[14:15]
	s_andn2_b64 exec, exec, s[14:15]
	s_cbranch_execz .LBB38_21
.LBB38_10:                              ; =>This Loop Header: Depth=1
                                        ;     Child Loop BB38_13 Depth 2
	v_add_u32_e32 v20, v6, v4
	v_cmp_lt_i32_e32 vcc, v20, v11
	v_mov_b32_e32 v19, s5
	v_mov_b32_e32 v22, v11
	ds_write_b8 v10, v13 offset:1024
	ds_write_b32 v15, v5
	s_waitcnt lgkmcnt(0)
	s_and_saveexec_b64 s[16:17], vcc
	s_cbranch_execz .LBB38_18
; %bb.11:                               ;   in Loop: Header=BB38_10 Depth=1
	v_ashrrev_i32_e32 v7, 31, v6
	v_lshl_add_u64 v[6:7], v[4:5], 0, v[6:7]
	v_lshlrev_b64 v[8:9], 2, v[6:7]
	v_mul_lo_u32 v21, v3, s7
	v_lshl_add_u64 v[6:7], s[10:11], 0, v[8:9]
	v_lshl_add_u64 v[8:9], s[2:3], 0, v[8:9]
	s_mov_b64 s[18:19], 0
	v_mov_b32_e32 v19, s5
	v_mov_b32_e32 v22, v11
	s_branch .LBB38_13
.LBB38_12:                              ;   in Loop: Header=BB38_13 Depth=2
	s_or_b64 exec, exec, s[0:1]
	v_add_u32_e32 v20, 8, v20
	v_cmp_ge_i32_e64 s[0:1], v20, v11
	s_xor_b64 s[24:25], vcc, -1
	s_or_b64 s[0:1], s[24:25], s[0:1]
	s_and_b64 s[0:1], exec, s[0:1]
	v_lshl_add_u64 v[6:7], v[6:7], 0, 32
	s_or_b64 s[18:19], s[0:1], s[18:19]
	v_lshl_add_u64 v[8:9], v[8:9], 0, 32
	s_andn2_b64 exec, exec, s[18:19]
	s_cbranch_execz .LBB38_17
.LBB38_13:                              ;   Parent Loop BB38_10 Depth=1
                                        ; =>  This Inner Loop Header: Depth=2
	global_load_dword v23, v[6:7], off
	s_waitcnt vmcnt(0)
	v_subrev_u32_e32 v23, s20, v23
	v_sub_u32_e32 v25, 0, v23
	v_max_i32_e32 v25, v23, v25
	v_mul_hi_u32 v26, v25, v17
	v_mul_lo_u32 v27, v26, s4
	v_sub_u32_e32 v25, v25, v27
	v_add_u32_e32 v28, 1, v26
	v_cmp_le_u32_e32 vcc, s4, v25
	v_subrev_u32_e32 v27, s4, v25
	v_ashrrev_i32_e32 v24, 31, v23
	v_cndmask_b32_e32 v26, v26, v28, vcc
	v_cndmask_b32_e32 v25, v25, v27, vcc
	v_add_u32_e32 v27, 1, v26
	v_cmp_le_u32_e32 vcc, s4, v25
	v_xor_b32_e32 v24, s22, v24
	s_nop 0
	v_cndmask_b32_e32 v25, v26, v27, vcc
	v_xor_b32_e32 v25, v25, v24
	v_sub_u32_e32 v25, v25, v24
	v_cmp_eq_u32_e32 vcc, v25, v3
	v_cmp_ne_u32_e64 s[0:1], v25, v3
	v_mov_b32_e32 v24, v22
	s_and_saveexec_b64 s[24:25], s[0:1]
	s_xor_b64 s[0:1], exec, s[24:25]
; %bb.14:                               ;   in Loop: Header=BB38_13 Depth=2
	v_min_i32_e32 v19, v25, v19
                                        ; implicit-def: $vgpr23
                                        ; implicit-def: $vgpr24
; %bb.15:                               ;   in Loop: Header=BB38_13 Depth=2
	s_or_saveexec_b64 s[0:1], s[0:1]
	v_mov_b32_e32 v22, v20
	s_xor_b64 exec, exec, s[0:1]
	s_cbranch_execz .LBB38_12
; %bb.16:                               ;   in Loop: Header=BB38_13 Depth=2
	global_load_dword v22, v[8:9], off
	v_sub_u32_e32 v23, v23, v21
	v_add_lshl_u32 v23, v12, v23, 2
	ds_write_b8 v10, v18 offset:1024
	s_waitcnt vmcnt(0)
	ds_write_b32 v23, v22
	v_mov_b32_e32 v22, v24
	s_branch .LBB38_12
.LBB38_17:                              ;   in Loop: Header=BB38_10 Depth=1
	s_or_b64 exec, exec, s[18:19]
.LBB38_18:                              ;   in Loop: Header=BB38_10 Depth=1
	s_or_b64 exec, exec, s[16:17]
	v_mov_b32_dpp v6, v22 row_shr:1 row_mask:0xf bank_mask:0xf
	v_min_i32_e32 v6, v6, v22
	s_waitcnt lgkmcnt(0)
	s_nop 0
	v_mov_b32_dpp v7, v6 row_shr:2 row_mask:0xf bank_mask:0xf
	v_min_i32_e32 v6, v7, v6
	ds_read_u8 v7, v10 offset:1024
	s_waitcnt lgkmcnt(0)
	v_and_b32_e32 v7, 1, v7
	v_mov_b32_dpp v8, v6 row_shr:4 row_mask:0xf bank_mask:0xe
	v_min_i32_e32 v6, v8, v6
	ds_bpermute_b32 v6, v14, v6
	v_cmp_eq_u32_e32 vcc, 1, v7
	v_mov_b32_e32 v7, 0
	s_and_saveexec_b64 s[0:1], vcc
	s_cbranch_execz .LBB38_9
; %bb.19:                               ;   in Loop: Header=BB38_10 Depth=1
	v_add_u32_e32 v7, s21, v3
	v_ashrrev_i32_e32 v3, 31, v2
	v_lshl_add_u64 v[8:9], v[2:3], 2, s[8:9]
	global_store_dword v[8:9], v7, off
	s_and_saveexec_b64 s[16:17], s[12:13]
	s_cbranch_execz .LBB38_8
; %bb.20:                               ;   in Loop: Header=BB38_10 Depth=1
	ds_read_b32 v7, v15
	v_mul_lo_u32 v20, s23, v2
	v_mul_lo_u32 v3, s6, v3
	v_mad_u64_u32 v[8:9], s[18:19], s6, v2, 0
	v_add3_u32 v9, v9, v3, v20
	v_lshl_add_u64 v[8:9], v[8:9], 2, v[0:1]
	s_waitcnt lgkmcnt(0)
	global_store_dword v[8:9], v7, off
	s_branch .LBB38_8
.LBB38_21:
	s_endpgm
	.section	.rodata,"a",@progbits
	.p2align	6, 0x0
	.amdhsa_kernel _ZN9rocsparseL44csr2gebsr_wavefront_per_row_multipass_kernelILi256ELi8ELi8ELi64EfEEv20rocsparse_direction_iiiiii21rocsparse_index_base_PKT3_PKiS7_S2_PS3_PiS9_
		.amdhsa_group_segment_fixed_size 1028
		.amdhsa_private_segment_fixed_size 0
		.amdhsa_kernarg_size 88
		.amdhsa_user_sgpr_count 2
		.amdhsa_user_sgpr_dispatch_ptr 0
		.amdhsa_user_sgpr_queue_ptr 0
		.amdhsa_user_sgpr_kernarg_segment_ptr 1
		.amdhsa_user_sgpr_dispatch_id 0
		.amdhsa_user_sgpr_kernarg_preload_length 0
		.amdhsa_user_sgpr_kernarg_preload_offset 0
		.amdhsa_user_sgpr_private_segment_size 0
		.amdhsa_uses_dynamic_stack 0
		.amdhsa_enable_private_segment 0
		.amdhsa_system_sgpr_workgroup_id_x 1
		.amdhsa_system_sgpr_workgroup_id_y 0
		.amdhsa_system_sgpr_workgroup_id_z 0
		.amdhsa_system_sgpr_workgroup_info 0
		.amdhsa_system_vgpr_workitem_id 0
		.amdhsa_next_free_vgpr 29
		.amdhsa_next_free_sgpr 26
		.amdhsa_accum_offset 32
		.amdhsa_reserve_vcc 1
		.amdhsa_float_round_mode_32 0
		.amdhsa_float_round_mode_16_64 0
		.amdhsa_float_denorm_mode_32 3
		.amdhsa_float_denorm_mode_16_64 3
		.amdhsa_dx10_clamp 1
		.amdhsa_ieee_mode 1
		.amdhsa_fp16_overflow 0
		.amdhsa_tg_split 0
		.amdhsa_exception_fp_ieee_invalid_op 0
		.amdhsa_exception_fp_denorm_src 0
		.amdhsa_exception_fp_ieee_div_zero 0
		.amdhsa_exception_fp_ieee_overflow 0
		.amdhsa_exception_fp_ieee_underflow 0
		.amdhsa_exception_fp_ieee_inexact 0
		.amdhsa_exception_int_div_zero 0
	.end_amdhsa_kernel
	.section	.text._ZN9rocsparseL44csr2gebsr_wavefront_per_row_multipass_kernelILi256ELi8ELi8ELi64EfEEv20rocsparse_direction_iiiiii21rocsparse_index_base_PKT3_PKiS7_S2_PS3_PiS9_,"axG",@progbits,_ZN9rocsparseL44csr2gebsr_wavefront_per_row_multipass_kernelILi256ELi8ELi8ELi64EfEEv20rocsparse_direction_iiiiii21rocsparse_index_base_PKT3_PKiS7_S2_PS3_PiS9_,comdat
.Lfunc_end38:
	.size	_ZN9rocsparseL44csr2gebsr_wavefront_per_row_multipass_kernelILi256ELi8ELi8ELi64EfEEv20rocsparse_direction_iiiiii21rocsparse_index_base_PKT3_PKiS7_S2_PS3_PiS9_, .Lfunc_end38-_ZN9rocsparseL44csr2gebsr_wavefront_per_row_multipass_kernelILi256ELi8ELi8ELi64EfEEv20rocsparse_direction_iiiiii21rocsparse_index_base_PKT3_PKiS7_S2_PS3_PiS9_
                                        ; -- End function
	.section	.AMDGPU.csdata,"",@progbits
; Kernel info:
; codeLenInByte = 1208
; NumSgprs: 32
; NumVgprs: 29
; NumAgprs: 0
; TotalNumVgprs: 29
; ScratchSize: 0
; MemoryBound: 0
; FloatMode: 240
; IeeeMode: 1
; LDSByteSize: 1028 bytes/workgroup (compile time only)
; SGPRBlocks: 3
; VGPRBlocks: 3
; NumSGPRsForWavesPerEU: 32
; NumVGPRsForWavesPerEU: 29
; AccumOffset: 32
; Occupancy: 8
; WaveLimiterHint : 0
; COMPUTE_PGM_RSRC2:SCRATCH_EN: 0
; COMPUTE_PGM_RSRC2:USER_SGPR: 2
; COMPUTE_PGM_RSRC2:TRAP_HANDLER: 0
; COMPUTE_PGM_RSRC2:TGID_X_EN: 1
; COMPUTE_PGM_RSRC2:TGID_Y_EN: 0
; COMPUTE_PGM_RSRC2:TGID_Z_EN: 0
; COMPUTE_PGM_RSRC2:TIDIG_COMP_CNT: 0
; COMPUTE_PGM_RSRC3_GFX90A:ACCUM_OFFSET: 7
; COMPUTE_PGM_RSRC3_GFX90A:TG_SPLIT: 0
	.section	.text._ZN9rocsparseL44csr2gebsr_wavefront_per_row_multipass_kernelILi256ELi8ELi8ELi32EfEEv20rocsparse_direction_iiiiii21rocsparse_index_base_PKT3_PKiS7_S2_PS3_PiS9_,"axG",@progbits,_ZN9rocsparseL44csr2gebsr_wavefront_per_row_multipass_kernelILi256ELi8ELi8ELi32EfEEv20rocsparse_direction_iiiiii21rocsparse_index_base_PKT3_PKiS7_S2_PS3_PiS9_,comdat
	.globl	_ZN9rocsparseL44csr2gebsr_wavefront_per_row_multipass_kernelILi256ELi8ELi8ELi32EfEEv20rocsparse_direction_iiiiii21rocsparse_index_base_PKT3_PKiS7_S2_PS3_PiS9_ ; -- Begin function _ZN9rocsparseL44csr2gebsr_wavefront_per_row_multipass_kernelILi256ELi8ELi8ELi32EfEEv20rocsparse_direction_iiiiii21rocsparse_index_base_PKT3_PKiS7_S2_PS3_PiS9_
	.p2align	8
	.type	_ZN9rocsparseL44csr2gebsr_wavefront_per_row_multipass_kernelILi256ELi8ELi8ELi32EfEEv20rocsparse_direction_iiiiii21rocsparse_index_base_PKT3_PKiS7_S2_PS3_PiS9_,@function
_ZN9rocsparseL44csr2gebsr_wavefront_per_row_multipass_kernelILi256ELi8ELi8ELi32EfEEv20rocsparse_direction_iiiiii21rocsparse_index_base_PKT3_PKiS7_S2_PS3_PiS9_: ; @_ZN9rocsparseL44csr2gebsr_wavefront_per_row_multipass_kernelILi256ELi8ELi8ELi32EfEEv20rocsparse_direction_iiiiii21rocsparse_index_base_PKT3_PKiS7_S2_PS3_PiS9_
; %bb.0:
	s_load_dwordx2 s[14:15], s[0:1], 0x0
	s_load_dwordx4 s[4:7], s[0:1], 0xc
	s_load_dword s24, s[0:1], 0x1c
	s_load_dwordx2 s[8:9], s[0:1], 0x28
	v_lshrrev_b32_e32 v18, 5, v0
	v_bfe_u32 v6, v0, 2, 3
	v_lshl_or_b32 v4, s2, 3, v18
	s_waitcnt lgkmcnt(0)
	v_mad_u64_u32 v[2:3], s[2:3], v4, s6, v[6:7]
	v_cmp_gt_i32_e64 s[2:3], s15, v2
	v_cmp_gt_i32_e32 vcc, s6, v6
	s_and_b64 s[2:3], vcc, s[2:3]
	v_mov_b32_e32 v19, 0
	v_mov_b32_e32 v12, 0
	s_and_saveexec_b64 s[10:11], s[2:3]
	s_cbranch_execz .LBB39_2
; %bb.1:
	v_ashrrev_i32_e32 v3, 31, v2
	v_lshl_add_u64 v[8:9], v[2:3], 2, s[8:9]
	global_load_dword v1, v[8:9], off
	s_waitcnt vmcnt(0)
	v_subrev_u32_e32 v12, s24, v1
.LBB39_2:
	s_or_b64 exec, exec, s[10:11]
	s_and_saveexec_b64 s[10:11], s[2:3]
	s_cbranch_execz .LBB39_4
; %bb.3:
	v_ashrrev_i32_e32 v3, 31, v2
	v_lshl_add_u64 v[2:3], v[2:3], 2, s[8:9]
	global_load_dword v1, v[2:3], off offset:4
	s_waitcnt vmcnt(0)
	v_subrev_u32_e32 v19, s24, v1
.LBB39_4:
	s_or_b64 exec, exec, s[10:11]
	s_load_dword s25, s[0:1], 0x38
	v_cmp_gt_i32_e64 s[2:3], s4, v4
	v_mov_b32_e32 v2, 0
	s_and_saveexec_b64 s[8:9], s[2:3]
	s_cbranch_execz .LBB39_6
; %bb.5:
	s_load_dwordx2 s[2:3], s[0:1], 0x48
	v_ashrrev_i32_e32 v5, 31, v4
	s_waitcnt lgkmcnt(0)
	v_lshl_add_u64 v[2:3], v[4:5], 2, s[2:3]
	global_load_dword v1, v[2:3], off
	s_waitcnt vmcnt(0)
	v_subrev_u32_e32 v2, s25, v1
.LBB39_6:
	s_or_b64 exec, exec, s[8:9]
	s_cmp_lt_i32 s5, 1
	s_cbranch_scc1 .LBB39_30
; %bb.7:
	v_lshlrev_b32_e32 v1, 6, v18
	v_lshl_or_b32 v20, v6, 3, v1
	v_mbcnt_lo_u32_b32 v1, -1, 0
	v_mbcnt_hi_u32_b32 v1, -1, v1
	s_cmp_lg_u32 s14, 0
	v_lshlrev_b32_e32 v3, 2, v1
	s_cselect_b64 s[14:15], -1, 0
	s_abs_i32 s28, s7
	v_or_b32_e32 v22, 12, v3
	v_or_b32_e32 v23, 0x7c, v3
	v_cvt_f32_u32_e32 v3, s28
	s_load_dwordx2 s[8:9], s[0:1], 0x20
	s_load_dwordx2 s[10:11], s[0:1], 0x50
	;; [unrolled: 1-line block ×4, first 2 shown]
	s_ashr_i32 s4, s7, 31
	v_and_b32_e32 v0, 3, v0
	v_rcp_iflag_f32_e32 v3, v3
	s_mul_hi_u32 s0, s7, s6
	s_mul_i32 s1, s4, s6
	s_add_i32 s26, s0, s1
	v_mul_f32_e32 v3, 0x4f7ffffe, v3
	v_cvt_u32_f32_e32 v3, v3
	v_lshlrev_b32_e32 v4, 2, v6
	v_mul_lo_u32 v6, v6, s7
	v_cmp_gt_u32_e64 s[0:1], s7, v0
	v_or_b32_e32 v10, v20, v0
	v_mov_b32_e32 v1, 0
	v_ashrrev_i32_e32 v7, 31, v6
	s_and_b64 s[16:17], s[0:1], vcc
	s_sub_i32 s0, 0, s28
	v_mov_b32_e32 v5, v1
	s_waitcnt lgkmcnt(0)
	v_lshl_add_u64 v[6:7], v[6:7], 2, s[2:3]
	v_lshlrev_b32_e32 v8, 2, v0
	v_mov_b32_e32 v9, v1
	v_lshlrev_b32_e32 v24, 2, v10
	v_or_b32_e32 v10, 4, v0
	v_mul_lo_u32 v13, s0, v3
	v_lshl_add_u64 v[4:5], s[2:3], 0, v[4:5]
	v_lshl_add_u64 v[6:7], v[6:7], 0, v[8:9]
	v_mul_lo_u32 v8, v0, s6
	v_cmp_gt_u32_e64 s[2:3], s7, v10
	v_mul_hi_u32 v13, v3, v13
	v_mov_b32_e32 v21, 0
	s_mul_i32 s27, s7, s6
	v_lshl_add_u32 v10, s6, 2, v8
	v_mov_b32_e32 v11, v1
	v_or_b32_e32 v25, 16, v24
	s_and_b64 s[2:3], vcc, s[2:3]
	v_add_u32_e32 v26, v3, v13
	s_mov_b64 s[18:19], 0
	v_mov_b32_e32 v27, 1
	v_mov_b32_e32 v3, 0
	s_branch .LBB39_11
.LBB39_8:                               ;   in Loop: Header=BB39_11 Depth=1
	v_mov_b32_e32 v13, s6
.LBB39_9:                               ;   in Loop: Header=BB39_11 Depth=1
	s_or_b64 exec, exec, s[20:21]
.LBB39_10:                              ;   in Loop: Header=BB39_11 Depth=1
	s_or_b64 exec, exec, s[0:1]
	v_mov_b32_dpp v3, v28 row_shr:1 row_mask:0xf bank_mask:0xf
	v_min_i32_e32 v3, v3, v28
	v_add_u32_e32 v2, v13, v2
	s_waitcnt lgkmcnt(0)
	v_mov_b32_dpp v14, v3 row_shr:2 row_mask:0xf bank_mask:0xf
	v_min_i32_e32 v3, v14, v3
	s_nop 1
	v_mov_b32_dpp v14, v3 row_shr:4 row_mask:0xf bank_mask:0xe
	v_min_i32_e32 v3, v14, v3
	s_nop 1
	;; [unrolled: 3-line block ×3, first 2 shown]
	v_mov_b32_dpp v14, v3 row_bcast:15 row_mask:0xa bank_mask:0xf
	v_min_i32_e32 v3, v14, v3
	ds_bpermute_b32 v3, v23, v3
	s_waitcnt lgkmcnt(0)
	v_cmp_le_i32_e32 vcc, s5, v3
	s_or_b64 s[18:19], vcc, s[18:19]
	s_andn2_b64 exec, exec, s[18:19]
	s_cbranch_execz .LBB39_30
.LBB39_11:                              ; =>This Loop Header: Depth=1
                                        ;     Child Loop BB39_14 Depth 2
	v_add_u32_e32 v16, v12, v0
	v_cmp_lt_i32_e32 vcc, v16, v19
	v_mov_b32_e32 v28, s5
	v_mov_b32_e32 v29, v19
	ds_write_b8 v18, v21 offset:2048
	ds_write_b32 v24, v1
	ds_write_b32 v25, v1
	s_waitcnt lgkmcnt(0)
	s_and_saveexec_b64 s[20:21], vcc
	s_cbranch_execz .LBB39_19
; %bb.12:                               ;   in Loop: Header=BB39_11 Depth=1
	v_ashrrev_i32_e32 v13, 31, v12
	v_lshl_add_u64 v[12:13], v[0:1], 0, v[12:13]
	v_lshlrev_b64 v[14:15], 2, v[12:13]
	v_mul_lo_u32 v17, v3, s7
	v_lshl_add_u64 v[12:13], s[12:13], 0, v[14:15]
	v_lshl_add_u64 v[14:15], s[8:9], 0, v[14:15]
	s_mov_b64 s[22:23], 0
	v_mov_b32_e32 v28, s5
	v_mov_b32_e32 v29, v19
	s_branch .LBB39_14
.LBB39_13:                              ;   in Loop: Header=BB39_14 Depth=2
	s_or_b64 exec, exec, s[0:1]
	v_add_u32_e32 v16, 4, v16
	v_cmp_ge_i32_e64 s[0:1], v16, v19
	s_xor_b64 s[30:31], vcc, -1
	s_or_b64 s[0:1], s[30:31], s[0:1]
	s_and_b64 s[0:1], exec, s[0:1]
	v_lshl_add_u64 v[12:13], v[12:13], 0, 16
	s_or_b64 s[22:23], s[0:1], s[22:23]
	v_lshl_add_u64 v[14:15], v[14:15], 0, 16
	s_andn2_b64 exec, exec, s[22:23]
	s_cbranch_execz .LBB39_18
.LBB39_14:                              ;   Parent Loop BB39_11 Depth=1
                                        ; =>  This Inner Loop Header: Depth=2
	global_load_dword v30, v[12:13], off
	s_waitcnt vmcnt(0)
	v_subrev_u32_e32 v30, s24, v30
	v_sub_u32_e32 v32, 0, v30
	v_max_i32_e32 v32, v30, v32
	v_mul_hi_u32 v33, v32, v26
	v_mul_lo_u32 v34, v33, s28
	v_sub_u32_e32 v32, v32, v34
	v_add_u32_e32 v35, 1, v33
	v_cmp_le_u32_e32 vcc, s28, v32
	v_subrev_u32_e32 v34, s28, v32
	v_ashrrev_i32_e32 v31, 31, v30
	v_cndmask_b32_e32 v33, v33, v35, vcc
	v_cndmask_b32_e32 v32, v32, v34, vcc
	v_add_u32_e32 v34, 1, v33
	v_cmp_le_u32_e32 vcc, s28, v32
	v_xor_b32_e32 v31, s4, v31
	s_nop 0
	v_cndmask_b32_e32 v32, v33, v34, vcc
	v_xor_b32_e32 v32, v32, v31
	v_sub_u32_e32 v32, v32, v31
	v_cmp_eq_u32_e32 vcc, v32, v3
	v_cmp_ne_u32_e64 s[0:1], v32, v3
	v_mov_b32_e32 v31, v29
	s_and_saveexec_b64 s[30:31], s[0:1]
	s_xor_b64 s[0:1], exec, s[30:31]
; %bb.15:                               ;   in Loop: Header=BB39_14 Depth=2
	v_min_i32_e32 v28, v32, v28
                                        ; implicit-def: $vgpr30
                                        ; implicit-def: $vgpr31
; %bb.16:                               ;   in Loop: Header=BB39_14 Depth=2
	s_or_saveexec_b64 s[0:1], s[0:1]
	v_mov_b32_e32 v29, v16
	s_xor_b64 exec, exec, s[0:1]
	s_cbranch_execz .LBB39_13
; %bb.17:                               ;   in Loop: Header=BB39_14 Depth=2
	global_load_dword v29, v[14:15], off
	v_sub_u32_e32 v30, v30, v17
	v_add_lshl_u32 v30, v20, v30, 2
	ds_write_b8 v18, v27 offset:2048
	s_waitcnt vmcnt(0)
	ds_write_b32 v30, v29
	v_mov_b32_e32 v29, v31
	s_branch .LBB39_13
.LBB39_18:                              ;   in Loop: Header=BB39_11 Depth=1
	s_or_b64 exec, exec, s[22:23]
.LBB39_19:                              ;   in Loop: Header=BB39_11 Depth=1
	s_or_b64 exec, exec, s[20:21]
	v_mov_b32_dpp v12, v29 row_shr:1 row_mask:0xf bank_mask:0xf
	v_min_i32_e32 v12, v12, v29
	s_waitcnt lgkmcnt(0)
	ds_read_u8 v13, v18 offset:2048
	v_mov_b32_dpp v14, v12 row_shr:2 row_mask:0xf bank_mask:0xf
	v_min_i32_e32 v12, v14, v12
	ds_bpermute_b32 v12, v22, v12
	s_waitcnt lgkmcnt(1)
	v_and_b32_e32 v13, 1, v13
	v_cmp_eq_u32_e32 vcc, 1, v13
	v_mov_b32_e32 v13, 0
	s_and_saveexec_b64 s[0:1], vcc
	s_cbranch_execz .LBB39_10
; %bb.20:                               ;   in Loop: Header=BB39_11 Depth=1
	v_add_u32_e32 v13, s25, v3
	v_ashrrev_i32_e32 v3, 31, v2
	v_lshl_add_u64 v[14:15], v[2:3], 2, s[10:11]
	global_store_dword v[14:15], v13, off
	v_mul_lo_u32 v13, s26, v2
	v_mul_lo_u32 v3, s27, v3
	v_mad_u64_u32 v[14:15], s[20:21], s27, v2, 0
	v_add3_u32 v15, v15, v3, v13
	v_lshlrev_b64 v[14:15], 2, v[14:15]
	v_lshl_add_u64 v[16:17], v[4:5], 0, v[14:15]
	v_lshl_add_u64 v[14:15], v[6:7], 0, v[14:15]
	s_and_saveexec_b64 s[20:21], s[16:17]
	s_cbranch_execz .LBB39_24
; %bb.21:                               ;   in Loop: Header=BB39_11 Depth=1
	s_and_b64 vcc, exec, s[14:15]
	s_cbranch_vccz .LBB39_27
; %bb.22:                               ;   in Loop: Header=BB39_11 Depth=1
	ds_read_b32 v3, v24
	v_lshl_add_u64 v[30:31], v[8:9], 2, v[16:17]
	s_waitcnt lgkmcnt(0)
	global_store_dword v[30:31], v3, off
	s_cbranch_execnz .LBB39_24
.LBB39_23:                              ;   in Loop: Header=BB39_11 Depth=1
	ds_read_b32 v3, v24
	s_waitcnt lgkmcnt(0)
	global_store_dword v[14:15], v3, off
.LBB39_24:                              ;   in Loop: Header=BB39_11 Depth=1
	s_or_b64 exec, exec, s[20:21]
	v_mov_b32_e32 v13, 1
	s_and_saveexec_b64 s[20:21], s[2:3]
	s_cbranch_execz .LBB39_9
; %bb.25:                               ;   in Loop: Header=BB39_11 Depth=1
	s_andn2_b64 vcc, exec, s[14:15]
	s_cbranch_vccnz .LBB39_28
; %bb.26:                               ;   in Loop: Header=BB39_11 Depth=1
	ds_read_b32 v3, v24 offset:16
	v_lshl_add_u64 v[16:17], v[10:11], 2, v[16:17]
	s_mov_b32 s6, 1
	s_waitcnt lgkmcnt(0)
	global_store_dword v[16:17], v3, off
	s_cbranch_execnz .LBB39_8
	s_branch .LBB39_29
.LBB39_27:                              ;   in Loop: Header=BB39_11 Depth=1
	s_branch .LBB39_23
.LBB39_28:                              ;   in Loop: Header=BB39_11 Depth=1
                                        ; implicit-def: $sgpr6
.LBB39_29:                              ;   in Loop: Header=BB39_11 Depth=1
	ds_read_b32 v3, v24 offset:16
	s_mov_b32 s6, 1
	s_waitcnt lgkmcnt(0)
	global_store_dword v[14:15], v3, off offset:16
	s_branch .LBB39_8
.LBB39_30:
	s_endpgm
	.section	.rodata,"a",@progbits
	.p2align	6, 0x0
	.amdhsa_kernel _ZN9rocsparseL44csr2gebsr_wavefront_per_row_multipass_kernelILi256ELi8ELi8ELi32EfEEv20rocsparse_direction_iiiiii21rocsparse_index_base_PKT3_PKiS7_S2_PS3_PiS9_
		.amdhsa_group_segment_fixed_size 2056
		.amdhsa_private_segment_fixed_size 0
		.amdhsa_kernarg_size 88
		.amdhsa_user_sgpr_count 2
		.amdhsa_user_sgpr_dispatch_ptr 0
		.amdhsa_user_sgpr_queue_ptr 0
		.amdhsa_user_sgpr_kernarg_segment_ptr 1
		.amdhsa_user_sgpr_dispatch_id 0
		.amdhsa_user_sgpr_kernarg_preload_length 0
		.amdhsa_user_sgpr_kernarg_preload_offset 0
		.amdhsa_user_sgpr_private_segment_size 0
		.amdhsa_uses_dynamic_stack 0
		.amdhsa_enable_private_segment 0
		.amdhsa_system_sgpr_workgroup_id_x 1
		.amdhsa_system_sgpr_workgroup_id_y 0
		.amdhsa_system_sgpr_workgroup_id_z 0
		.amdhsa_system_sgpr_workgroup_info 0
		.amdhsa_system_vgpr_workitem_id 0
		.amdhsa_next_free_vgpr 36
		.amdhsa_next_free_sgpr 32
		.amdhsa_accum_offset 36
		.amdhsa_reserve_vcc 1
		.amdhsa_float_round_mode_32 0
		.amdhsa_float_round_mode_16_64 0
		.amdhsa_float_denorm_mode_32 3
		.amdhsa_float_denorm_mode_16_64 3
		.amdhsa_dx10_clamp 1
		.amdhsa_ieee_mode 1
		.amdhsa_fp16_overflow 0
		.amdhsa_tg_split 0
		.amdhsa_exception_fp_ieee_invalid_op 0
		.amdhsa_exception_fp_denorm_src 0
		.amdhsa_exception_fp_ieee_div_zero 0
		.amdhsa_exception_fp_ieee_overflow 0
		.amdhsa_exception_fp_ieee_underflow 0
		.amdhsa_exception_fp_ieee_inexact 0
		.amdhsa_exception_int_div_zero 0
	.end_amdhsa_kernel
	.section	.text._ZN9rocsparseL44csr2gebsr_wavefront_per_row_multipass_kernelILi256ELi8ELi8ELi32EfEEv20rocsparse_direction_iiiiii21rocsparse_index_base_PKT3_PKiS7_S2_PS3_PiS9_,"axG",@progbits,_ZN9rocsparseL44csr2gebsr_wavefront_per_row_multipass_kernelILi256ELi8ELi8ELi32EfEEv20rocsparse_direction_iiiiii21rocsparse_index_base_PKT3_PKiS7_S2_PS3_PiS9_,comdat
.Lfunc_end39:
	.size	_ZN9rocsparseL44csr2gebsr_wavefront_per_row_multipass_kernelILi256ELi8ELi8ELi32EfEEv20rocsparse_direction_iiiiii21rocsparse_index_base_PKT3_PKiS7_S2_PS3_PiS9_, .Lfunc_end39-_ZN9rocsparseL44csr2gebsr_wavefront_per_row_multipass_kernelILi256ELi8ELi8ELi32EfEEv20rocsparse_direction_iiiiii21rocsparse_index_base_PKT3_PKiS7_S2_PS3_PiS9_
                                        ; -- End function
	.section	.AMDGPU.csdata,"",@progbits
; Kernel info:
; codeLenInByte = 1344
; NumSgprs: 38
; NumVgprs: 36
; NumAgprs: 0
; TotalNumVgprs: 36
; ScratchSize: 0
; MemoryBound: 0
; FloatMode: 240
; IeeeMode: 1
; LDSByteSize: 2056 bytes/workgroup (compile time only)
; SGPRBlocks: 4
; VGPRBlocks: 4
; NumSGPRsForWavesPerEU: 38
; NumVGPRsForWavesPerEU: 36
; AccumOffset: 36
; Occupancy: 8
; WaveLimiterHint : 0
; COMPUTE_PGM_RSRC2:SCRATCH_EN: 0
; COMPUTE_PGM_RSRC2:USER_SGPR: 2
; COMPUTE_PGM_RSRC2:TRAP_HANDLER: 0
; COMPUTE_PGM_RSRC2:TGID_X_EN: 1
; COMPUTE_PGM_RSRC2:TGID_Y_EN: 0
; COMPUTE_PGM_RSRC2:TGID_Z_EN: 0
; COMPUTE_PGM_RSRC2:TIDIG_COMP_CNT: 0
; COMPUTE_PGM_RSRC3_GFX90A:ACCUM_OFFSET: 8
; COMPUTE_PGM_RSRC3_GFX90A:TG_SPLIT: 0
	.section	.text._ZN9rocsparseL44csr2gebsr_wavefront_per_row_multipass_kernelILi256ELi8ELi16ELi64EfEEv20rocsparse_direction_iiiiii21rocsparse_index_base_PKT3_PKiS7_S2_PS3_PiS9_,"axG",@progbits,_ZN9rocsparseL44csr2gebsr_wavefront_per_row_multipass_kernelILi256ELi8ELi16ELi64EfEEv20rocsparse_direction_iiiiii21rocsparse_index_base_PKT3_PKiS7_S2_PS3_PiS9_,comdat
	.globl	_ZN9rocsparseL44csr2gebsr_wavefront_per_row_multipass_kernelILi256ELi8ELi16ELi64EfEEv20rocsparse_direction_iiiiii21rocsparse_index_base_PKT3_PKiS7_S2_PS3_PiS9_ ; -- Begin function _ZN9rocsparseL44csr2gebsr_wavefront_per_row_multipass_kernelILi256ELi8ELi16ELi64EfEEv20rocsparse_direction_iiiiii21rocsparse_index_base_PKT3_PKiS7_S2_PS3_PiS9_
	.p2align	8
	.type	_ZN9rocsparseL44csr2gebsr_wavefront_per_row_multipass_kernelILi256ELi8ELi16ELi64EfEEv20rocsparse_direction_iiiiii21rocsparse_index_base_PKT3_PKiS7_S2_PS3_PiS9_,@function
_ZN9rocsparseL44csr2gebsr_wavefront_per_row_multipass_kernelILi256ELi8ELi16ELi64EfEEv20rocsparse_direction_iiiiii21rocsparse_index_base_PKT3_PKiS7_S2_PS3_PiS9_: ; @_ZN9rocsparseL44csr2gebsr_wavefront_per_row_multipass_kernelILi256ELi8ELi16ELi64EfEEv20rocsparse_direction_iiiiii21rocsparse_index_base_PKT3_PKiS7_S2_PS3_PiS9_
; %bb.0:
	s_load_dwordx2 s[14:15], s[0:1], 0x0
	s_load_dwordx4 s[4:7], s[0:1], 0xc
	s_load_dword s24, s[0:1], 0x1c
	s_load_dwordx2 s[8:9], s[0:1], 0x28
	v_lshrrev_b32_e32 v18, 6, v0
	v_bfe_u32 v6, v0, 3, 3
	v_lshl_or_b32 v4, s2, 2, v18
	s_waitcnt lgkmcnt(0)
	v_mad_u64_u32 v[2:3], s[2:3], v4, s6, v[6:7]
	v_cmp_gt_i32_e64 s[2:3], s15, v2
	v_cmp_gt_i32_e32 vcc, s6, v6
	s_and_b64 s[2:3], vcc, s[2:3]
	v_mov_b32_e32 v19, 0
	v_mov_b32_e32 v12, 0
	s_and_saveexec_b64 s[10:11], s[2:3]
	s_cbranch_execz .LBB40_2
; %bb.1:
	v_ashrrev_i32_e32 v3, 31, v2
	v_lshl_add_u64 v[8:9], v[2:3], 2, s[8:9]
	global_load_dword v1, v[8:9], off
	s_waitcnt vmcnt(0)
	v_subrev_u32_e32 v12, s24, v1
.LBB40_2:
	s_or_b64 exec, exec, s[10:11]
	s_and_saveexec_b64 s[10:11], s[2:3]
	s_cbranch_execz .LBB40_4
; %bb.3:
	v_ashrrev_i32_e32 v3, 31, v2
	v_lshl_add_u64 v[2:3], v[2:3], 2, s[8:9]
	global_load_dword v1, v[2:3], off offset:4
	s_waitcnt vmcnt(0)
	v_subrev_u32_e32 v19, s24, v1
.LBB40_4:
	s_or_b64 exec, exec, s[10:11]
	s_load_dword s25, s[0:1], 0x38
	v_cmp_gt_i32_e64 s[2:3], s4, v4
	v_mov_b32_e32 v2, 0
	s_and_saveexec_b64 s[8:9], s[2:3]
	s_cbranch_execz .LBB40_6
; %bb.5:
	s_load_dwordx2 s[2:3], s[0:1], 0x48
	v_ashrrev_i32_e32 v5, 31, v4
	s_waitcnt lgkmcnt(0)
	v_lshl_add_u64 v[2:3], v[4:5], 2, s[2:3]
	global_load_dword v1, v[2:3], off
	s_waitcnt vmcnt(0)
	v_subrev_u32_e32 v2, s25, v1
.LBB40_6:
	s_or_b64 exec, exec, s[8:9]
	s_cmp_lt_i32 s5, 1
	s_cbranch_scc1 .LBB40_30
; %bb.7:
	v_lshlrev_b32_e32 v1, 7, v18
	v_lshl_or_b32 v20, v6, 4, v1
	v_mbcnt_lo_u32_b32 v1, -1, 0
	v_mbcnt_hi_u32_b32 v1, -1, v1
	s_cmp_lg_u32 s14, 0
	v_lshlrev_b32_e32 v3, 2, v1
	s_cselect_b64 s[14:15], -1, 0
	s_abs_i32 s28, s7
	v_or_b32_e32 v22, 28, v3
	v_or_b32_e32 v23, 0xfc, v3
	v_cvt_f32_u32_e32 v3, s28
	s_load_dwordx2 s[8:9], s[0:1], 0x20
	s_load_dwordx2 s[10:11], s[0:1], 0x50
	;; [unrolled: 1-line block ×4, first 2 shown]
	s_ashr_i32 s4, s7, 31
	v_and_b32_e32 v0, 7, v0
	v_rcp_iflag_f32_e32 v3, v3
	s_mul_hi_u32 s0, s7, s6
	s_mul_i32 s1, s4, s6
	s_add_i32 s26, s0, s1
	v_mul_f32_e32 v3, 0x4f7ffffe, v3
	v_cvt_u32_f32_e32 v3, v3
	v_lshlrev_b32_e32 v4, 2, v6
	v_mul_lo_u32 v6, v6, s7
	v_cmp_gt_u32_e64 s[0:1], s7, v0
	v_or_b32_e32 v10, v20, v0
	v_mov_b32_e32 v1, 0
	v_ashrrev_i32_e32 v7, 31, v6
	s_and_b64 s[16:17], s[0:1], vcc
	s_sub_i32 s0, 0, s28
	v_mov_b32_e32 v5, v1
	s_waitcnt lgkmcnt(0)
	v_lshl_add_u64 v[6:7], v[6:7], 2, s[2:3]
	v_lshlrev_b32_e32 v8, 2, v0
	v_mov_b32_e32 v9, v1
	v_lshlrev_b32_e32 v24, 2, v10
	v_or_b32_e32 v10, 8, v0
	v_mul_lo_u32 v13, s0, v3
	v_lshl_add_u64 v[4:5], s[2:3], 0, v[4:5]
	v_lshl_add_u64 v[6:7], v[6:7], 0, v[8:9]
	v_mul_lo_u32 v8, v0, s6
	v_cmp_gt_u32_e64 s[2:3], s7, v10
	v_mul_hi_u32 v13, v3, v13
	v_mov_b32_e32 v21, 0
	s_mul_i32 s27, s7, s6
	v_lshl_add_u32 v10, s6, 3, v8
	v_mov_b32_e32 v11, v1
	v_or_b32_e32 v25, 32, v24
	s_and_b64 s[2:3], vcc, s[2:3]
	v_add_u32_e32 v26, v3, v13
	s_mov_b64 s[18:19], 0
	v_mov_b32_e32 v27, 1
	v_mov_b32_e32 v3, 0
	s_branch .LBB40_11
.LBB40_8:                               ;   in Loop: Header=BB40_11 Depth=1
	v_mov_b32_e32 v13, s6
.LBB40_9:                               ;   in Loop: Header=BB40_11 Depth=1
	s_or_b64 exec, exec, s[20:21]
.LBB40_10:                              ;   in Loop: Header=BB40_11 Depth=1
	s_or_b64 exec, exec, s[0:1]
	v_mov_b32_dpp v3, v28 row_shr:1 row_mask:0xf bank_mask:0xf
	v_min_i32_e32 v3, v3, v28
	v_add_u32_e32 v2, v13, v2
	s_waitcnt lgkmcnt(0)
	v_mov_b32_dpp v14, v3 row_shr:2 row_mask:0xf bank_mask:0xf
	v_min_i32_e32 v3, v14, v3
	s_nop 1
	v_mov_b32_dpp v14, v3 row_shr:4 row_mask:0xf bank_mask:0xe
	v_min_i32_e32 v3, v14, v3
	s_nop 1
	;; [unrolled: 3-line block ×3, first 2 shown]
	v_mov_b32_dpp v14, v3 row_bcast:15 row_mask:0xa bank_mask:0xf
	v_min_i32_e32 v3, v14, v3
	s_nop 1
	v_mov_b32_dpp v14, v3 row_bcast:31 row_mask:0xc bank_mask:0xf
	v_min_i32_e32 v3, v14, v3
	ds_bpermute_b32 v3, v23, v3
	s_waitcnt lgkmcnt(0)
	v_cmp_le_i32_e32 vcc, s5, v3
	s_or_b64 s[18:19], vcc, s[18:19]
	s_andn2_b64 exec, exec, s[18:19]
	s_cbranch_execz .LBB40_30
.LBB40_11:                              ; =>This Loop Header: Depth=1
                                        ;     Child Loop BB40_14 Depth 2
	v_add_u32_e32 v16, v12, v0
	v_cmp_lt_i32_e32 vcc, v16, v19
	v_mov_b32_e32 v28, s5
	v_mov_b32_e32 v29, v19
	ds_write_b8 v18, v21 offset:2048
	ds_write_b32 v24, v1
	ds_write_b32 v25, v1
	s_waitcnt lgkmcnt(0)
	s_and_saveexec_b64 s[20:21], vcc
	s_cbranch_execz .LBB40_19
; %bb.12:                               ;   in Loop: Header=BB40_11 Depth=1
	v_ashrrev_i32_e32 v13, 31, v12
	v_lshl_add_u64 v[12:13], v[0:1], 0, v[12:13]
	v_lshlrev_b64 v[14:15], 2, v[12:13]
	v_mul_lo_u32 v17, v3, s7
	v_lshl_add_u64 v[12:13], s[12:13], 0, v[14:15]
	v_lshl_add_u64 v[14:15], s[8:9], 0, v[14:15]
	s_mov_b64 s[22:23], 0
	v_mov_b32_e32 v28, s5
	v_mov_b32_e32 v29, v19
	s_branch .LBB40_14
.LBB40_13:                              ;   in Loop: Header=BB40_14 Depth=2
	s_or_b64 exec, exec, s[0:1]
	v_add_u32_e32 v16, 8, v16
	v_cmp_ge_i32_e64 s[0:1], v16, v19
	s_xor_b64 s[30:31], vcc, -1
	s_or_b64 s[0:1], s[30:31], s[0:1]
	s_and_b64 s[0:1], exec, s[0:1]
	v_lshl_add_u64 v[12:13], v[12:13], 0, 32
	s_or_b64 s[22:23], s[0:1], s[22:23]
	v_lshl_add_u64 v[14:15], v[14:15], 0, 32
	s_andn2_b64 exec, exec, s[22:23]
	s_cbranch_execz .LBB40_18
.LBB40_14:                              ;   Parent Loop BB40_11 Depth=1
                                        ; =>  This Inner Loop Header: Depth=2
	global_load_dword v30, v[12:13], off
	s_waitcnt vmcnt(0)
	v_subrev_u32_e32 v30, s24, v30
	v_sub_u32_e32 v32, 0, v30
	v_max_i32_e32 v32, v30, v32
	v_mul_hi_u32 v33, v32, v26
	v_mul_lo_u32 v34, v33, s28
	v_sub_u32_e32 v32, v32, v34
	v_add_u32_e32 v35, 1, v33
	v_cmp_le_u32_e32 vcc, s28, v32
	v_subrev_u32_e32 v34, s28, v32
	v_ashrrev_i32_e32 v31, 31, v30
	v_cndmask_b32_e32 v33, v33, v35, vcc
	v_cndmask_b32_e32 v32, v32, v34, vcc
	v_add_u32_e32 v34, 1, v33
	v_cmp_le_u32_e32 vcc, s28, v32
	v_xor_b32_e32 v31, s4, v31
	s_nop 0
	v_cndmask_b32_e32 v32, v33, v34, vcc
	v_xor_b32_e32 v32, v32, v31
	v_sub_u32_e32 v32, v32, v31
	v_cmp_eq_u32_e32 vcc, v32, v3
	v_cmp_ne_u32_e64 s[0:1], v32, v3
	v_mov_b32_e32 v31, v29
	s_and_saveexec_b64 s[30:31], s[0:1]
	s_xor_b64 s[0:1], exec, s[30:31]
; %bb.15:                               ;   in Loop: Header=BB40_14 Depth=2
	v_min_i32_e32 v28, v32, v28
                                        ; implicit-def: $vgpr30
                                        ; implicit-def: $vgpr31
; %bb.16:                               ;   in Loop: Header=BB40_14 Depth=2
	s_or_saveexec_b64 s[0:1], s[0:1]
	v_mov_b32_e32 v29, v16
	s_xor_b64 exec, exec, s[0:1]
	s_cbranch_execz .LBB40_13
; %bb.17:                               ;   in Loop: Header=BB40_14 Depth=2
	global_load_dword v29, v[14:15], off
	v_sub_u32_e32 v30, v30, v17
	v_add_lshl_u32 v30, v20, v30, 2
	ds_write_b8 v18, v27 offset:2048
	s_waitcnt vmcnt(0)
	ds_write_b32 v30, v29
	v_mov_b32_e32 v29, v31
	s_branch .LBB40_13
.LBB40_18:                              ;   in Loop: Header=BB40_11 Depth=1
	s_or_b64 exec, exec, s[22:23]
.LBB40_19:                              ;   in Loop: Header=BB40_11 Depth=1
	s_or_b64 exec, exec, s[20:21]
	v_mov_b32_dpp v12, v29 row_shr:1 row_mask:0xf bank_mask:0xf
	v_min_i32_e32 v12, v12, v29
	s_waitcnt lgkmcnt(0)
	s_nop 0
	v_mov_b32_dpp v13, v12 row_shr:2 row_mask:0xf bank_mask:0xf
	v_min_i32_e32 v12, v13, v12
	ds_read_u8 v13, v18 offset:2048
	s_waitcnt lgkmcnt(0)
	v_and_b32_e32 v13, 1, v13
	v_mov_b32_dpp v14, v12 row_shr:4 row_mask:0xf bank_mask:0xe
	v_min_i32_e32 v12, v14, v12
	ds_bpermute_b32 v12, v22, v12
	v_cmp_eq_u32_e32 vcc, 1, v13
	v_mov_b32_e32 v13, 0
	s_and_saveexec_b64 s[0:1], vcc
	s_cbranch_execz .LBB40_10
; %bb.20:                               ;   in Loop: Header=BB40_11 Depth=1
	v_add_u32_e32 v13, s25, v3
	v_ashrrev_i32_e32 v3, 31, v2
	v_lshl_add_u64 v[14:15], v[2:3], 2, s[10:11]
	global_store_dword v[14:15], v13, off
	v_mul_lo_u32 v13, s26, v2
	v_mul_lo_u32 v3, s27, v3
	v_mad_u64_u32 v[14:15], s[20:21], s27, v2, 0
	v_add3_u32 v15, v15, v3, v13
	v_lshlrev_b64 v[14:15], 2, v[14:15]
	v_lshl_add_u64 v[16:17], v[4:5], 0, v[14:15]
	v_lshl_add_u64 v[14:15], v[6:7], 0, v[14:15]
	s_and_saveexec_b64 s[20:21], s[16:17]
	s_cbranch_execz .LBB40_24
; %bb.21:                               ;   in Loop: Header=BB40_11 Depth=1
	s_and_b64 vcc, exec, s[14:15]
	s_cbranch_vccz .LBB40_27
; %bb.22:                               ;   in Loop: Header=BB40_11 Depth=1
	ds_read_b32 v3, v24
	v_lshl_add_u64 v[30:31], v[8:9], 2, v[16:17]
	s_waitcnt lgkmcnt(0)
	global_store_dword v[30:31], v3, off
	s_cbranch_execnz .LBB40_24
.LBB40_23:                              ;   in Loop: Header=BB40_11 Depth=1
	ds_read_b32 v3, v24
	s_waitcnt lgkmcnt(0)
	global_store_dword v[14:15], v3, off
.LBB40_24:                              ;   in Loop: Header=BB40_11 Depth=1
	s_or_b64 exec, exec, s[20:21]
	v_mov_b32_e32 v13, 1
	s_and_saveexec_b64 s[20:21], s[2:3]
	s_cbranch_execz .LBB40_9
; %bb.25:                               ;   in Loop: Header=BB40_11 Depth=1
	s_andn2_b64 vcc, exec, s[14:15]
	s_cbranch_vccnz .LBB40_28
; %bb.26:                               ;   in Loop: Header=BB40_11 Depth=1
	ds_read_b32 v3, v24 offset:32
	v_lshl_add_u64 v[16:17], v[10:11], 2, v[16:17]
	s_mov_b32 s6, 1
	s_waitcnt lgkmcnt(0)
	global_store_dword v[16:17], v3, off
	s_cbranch_execnz .LBB40_8
	s_branch .LBB40_29
.LBB40_27:                              ;   in Loop: Header=BB40_11 Depth=1
	s_branch .LBB40_23
.LBB40_28:                              ;   in Loop: Header=BB40_11 Depth=1
                                        ; implicit-def: $sgpr6
.LBB40_29:                              ;   in Loop: Header=BB40_11 Depth=1
	ds_read_b32 v3, v24 offset:32
	s_mov_b32 s6, 1
	s_waitcnt lgkmcnt(0)
	global_store_dword v[14:15], v3, off offset:32
	s_branch .LBB40_8
.LBB40_30:
	s_endpgm
	.section	.rodata,"a",@progbits
	.p2align	6, 0x0
	.amdhsa_kernel _ZN9rocsparseL44csr2gebsr_wavefront_per_row_multipass_kernelILi256ELi8ELi16ELi64EfEEv20rocsparse_direction_iiiiii21rocsparse_index_base_PKT3_PKiS7_S2_PS3_PiS9_
		.amdhsa_group_segment_fixed_size 2052
		.amdhsa_private_segment_fixed_size 0
		.amdhsa_kernarg_size 88
		.amdhsa_user_sgpr_count 2
		.amdhsa_user_sgpr_dispatch_ptr 0
		.amdhsa_user_sgpr_queue_ptr 0
		.amdhsa_user_sgpr_kernarg_segment_ptr 1
		.amdhsa_user_sgpr_dispatch_id 0
		.amdhsa_user_sgpr_kernarg_preload_length 0
		.amdhsa_user_sgpr_kernarg_preload_offset 0
		.amdhsa_user_sgpr_private_segment_size 0
		.amdhsa_uses_dynamic_stack 0
		.amdhsa_enable_private_segment 0
		.amdhsa_system_sgpr_workgroup_id_x 1
		.amdhsa_system_sgpr_workgroup_id_y 0
		.amdhsa_system_sgpr_workgroup_id_z 0
		.amdhsa_system_sgpr_workgroup_info 0
		.amdhsa_system_vgpr_workitem_id 0
		.amdhsa_next_free_vgpr 36
		.amdhsa_next_free_sgpr 32
		.amdhsa_accum_offset 36
		.amdhsa_reserve_vcc 1
		.amdhsa_float_round_mode_32 0
		.amdhsa_float_round_mode_16_64 0
		.amdhsa_float_denorm_mode_32 3
		.amdhsa_float_denorm_mode_16_64 3
		.amdhsa_dx10_clamp 1
		.amdhsa_ieee_mode 1
		.amdhsa_fp16_overflow 0
		.amdhsa_tg_split 0
		.amdhsa_exception_fp_ieee_invalid_op 0
		.amdhsa_exception_fp_denorm_src 0
		.amdhsa_exception_fp_ieee_div_zero 0
		.amdhsa_exception_fp_ieee_overflow 0
		.amdhsa_exception_fp_ieee_underflow 0
		.amdhsa_exception_fp_ieee_inexact 0
		.amdhsa_exception_int_div_zero 0
	.end_amdhsa_kernel
	.section	.text._ZN9rocsparseL44csr2gebsr_wavefront_per_row_multipass_kernelILi256ELi8ELi16ELi64EfEEv20rocsparse_direction_iiiiii21rocsparse_index_base_PKT3_PKiS7_S2_PS3_PiS9_,"axG",@progbits,_ZN9rocsparseL44csr2gebsr_wavefront_per_row_multipass_kernelILi256ELi8ELi16ELi64EfEEv20rocsparse_direction_iiiiii21rocsparse_index_base_PKT3_PKiS7_S2_PS3_PiS9_,comdat
.Lfunc_end40:
	.size	_ZN9rocsparseL44csr2gebsr_wavefront_per_row_multipass_kernelILi256ELi8ELi16ELi64EfEEv20rocsparse_direction_iiiiii21rocsparse_index_base_PKT3_PKiS7_S2_PS3_PiS9_, .Lfunc_end40-_ZN9rocsparseL44csr2gebsr_wavefront_per_row_multipass_kernelILi256ELi8ELi16ELi64EfEEv20rocsparse_direction_iiiiii21rocsparse_index_base_PKT3_PKiS7_S2_PS3_PiS9_
                                        ; -- End function
	.section	.AMDGPU.csdata,"",@progbits
; Kernel info:
; codeLenInByte = 1376
; NumSgprs: 38
; NumVgprs: 36
; NumAgprs: 0
; TotalNumVgprs: 36
; ScratchSize: 0
; MemoryBound: 0
; FloatMode: 240
; IeeeMode: 1
; LDSByteSize: 2052 bytes/workgroup (compile time only)
; SGPRBlocks: 4
; VGPRBlocks: 4
; NumSGPRsForWavesPerEU: 38
; NumVGPRsForWavesPerEU: 36
; AccumOffset: 36
; Occupancy: 8
; WaveLimiterHint : 0
; COMPUTE_PGM_RSRC2:SCRATCH_EN: 0
; COMPUTE_PGM_RSRC2:USER_SGPR: 2
; COMPUTE_PGM_RSRC2:TRAP_HANDLER: 0
; COMPUTE_PGM_RSRC2:TGID_X_EN: 1
; COMPUTE_PGM_RSRC2:TGID_Y_EN: 0
; COMPUTE_PGM_RSRC2:TGID_Z_EN: 0
; COMPUTE_PGM_RSRC2:TIDIG_COMP_CNT: 0
; COMPUTE_PGM_RSRC3_GFX90A:ACCUM_OFFSET: 8
; COMPUTE_PGM_RSRC3_GFX90A:TG_SPLIT: 0
	.section	.text._ZN9rocsparseL44csr2gebsr_wavefront_per_row_multipass_kernelILi256ELi8ELi16ELi32EfEEv20rocsparse_direction_iiiiii21rocsparse_index_base_PKT3_PKiS7_S2_PS3_PiS9_,"axG",@progbits,_ZN9rocsparseL44csr2gebsr_wavefront_per_row_multipass_kernelILi256ELi8ELi16ELi32EfEEv20rocsparse_direction_iiiiii21rocsparse_index_base_PKT3_PKiS7_S2_PS3_PiS9_,comdat
	.globl	_ZN9rocsparseL44csr2gebsr_wavefront_per_row_multipass_kernelILi256ELi8ELi16ELi32EfEEv20rocsparse_direction_iiiiii21rocsparse_index_base_PKT3_PKiS7_S2_PS3_PiS9_ ; -- Begin function _ZN9rocsparseL44csr2gebsr_wavefront_per_row_multipass_kernelILi256ELi8ELi16ELi32EfEEv20rocsparse_direction_iiiiii21rocsparse_index_base_PKT3_PKiS7_S2_PS3_PiS9_
	.p2align	8
	.type	_ZN9rocsparseL44csr2gebsr_wavefront_per_row_multipass_kernelILi256ELi8ELi16ELi32EfEEv20rocsparse_direction_iiiiii21rocsparse_index_base_PKT3_PKiS7_S2_PS3_PiS9_,@function
_ZN9rocsparseL44csr2gebsr_wavefront_per_row_multipass_kernelILi256ELi8ELi16ELi32EfEEv20rocsparse_direction_iiiiii21rocsparse_index_base_PKT3_PKiS7_S2_PS3_PiS9_: ; @_ZN9rocsparseL44csr2gebsr_wavefront_per_row_multipass_kernelILi256ELi8ELi16ELi32EfEEv20rocsparse_direction_iiiiii21rocsparse_index_base_PKT3_PKiS7_S2_PS3_PiS9_
; %bb.0:
	s_load_dwordx2 s[4:5], s[0:1], 0x0
	s_load_dwordx4 s[8:11], s[0:1], 0xc
	s_load_dword s30, s[0:1], 0x1c
	s_load_dwordx2 s[6:7], s[0:1], 0x28
	v_lshrrev_b32_e32 v22, 5, v0
	v_bfe_u32 v6, v0, 2, 3
	v_lshl_or_b32 v4, s2, 3, v22
	s_waitcnt lgkmcnt(0)
	v_mad_u64_u32 v[2:3], s[2:3], v4, s10, v[6:7]
	v_cmp_gt_i32_e64 s[2:3], s5, v2
	v_cmp_gt_i32_e32 vcc, s10, v6
	s_and_b64 s[2:3], vcc, s[2:3]
	v_mov_b32_e32 v23, 0
	v_mov_b32_e32 v16, 0
	s_and_saveexec_b64 s[12:13], s[2:3]
	s_cbranch_execz .LBB41_2
; %bb.1:
	v_ashrrev_i32_e32 v3, 31, v2
	v_lshl_add_u64 v[8:9], v[2:3], 2, s[6:7]
	global_load_dword v1, v[8:9], off
	s_waitcnt vmcnt(0)
	v_subrev_u32_e32 v16, s30, v1
.LBB41_2:
	s_or_b64 exec, exec, s[12:13]
	s_and_saveexec_b64 s[12:13], s[2:3]
	s_cbranch_execz .LBB41_4
; %bb.3:
	v_ashrrev_i32_e32 v3, 31, v2
	v_lshl_add_u64 v[2:3], v[2:3], 2, s[6:7]
	global_load_dword v1, v[2:3], off offset:4
	s_waitcnt vmcnt(0)
	v_subrev_u32_e32 v23, s30, v1
.LBB41_4:
	s_or_b64 exec, exec, s[12:13]
	s_load_dword s31, s[0:1], 0x38
	v_cmp_gt_i32_e64 s[2:3], s8, v4
	v_mov_b32_e32 v2, 0
	s_and_saveexec_b64 s[6:7], s[2:3]
	s_cbranch_execz .LBB41_6
; %bb.5:
	s_load_dwordx2 s[2:3], s[0:1], 0x48
	v_ashrrev_i32_e32 v5, 31, v4
	s_waitcnt lgkmcnt(0)
	v_lshl_add_u64 v[2:3], v[4:5], 2, s[2:3]
	global_load_dword v1, v[2:3], off
	s_waitcnt vmcnt(0)
	v_subrev_u32_e32 v2, s31, v1
.LBB41_6:
	s_or_b64 exec, exec, s[6:7]
	s_cmp_lt_i32 s9, 1
	s_cbranch_scc1 .LBB41_40
; %bb.7:
	s_load_dwordx2 s[12:13], s[0:1], 0x20
	s_load_dwordx2 s[14:15], s[0:1], 0x50
	;; [unrolled: 1-line block ×4, first 2 shown]
	v_lshlrev_b32_e32 v1, 7, v22
	v_lshl_or_b32 v24, v6, 4, v1
	v_mbcnt_lo_u32_b32 v1, -1, 0
	v_mbcnt_hi_u32_b32 v1, -1, v1
	v_lshlrev_b32_e32 v4, 2, v6
	v_mul_lo_u32 v6, v6, s11
	v_and_b32_e32 v0, 3, v0
	v_lshlrev_b32_e32 v3, 2, v1
	s_cmp_lg_u32 s4, 0
	v_mov_b32_e32 v1, 0
	v_ashrrev_i32_e32 v7, 31, v6
	s_cselect_b64 s[18:19], -1, 0
	s_ashr_i32 s8, s11, 31
	s_waitcnt lgkmcnt(0)
	v_lshl_add_u64 v[6:7], v[6:7], 2, s[2:3]
	v_lshlrev_b32_e32 v8, 2, v0
	v_mov_b32_e32 v9, v1
	v_or_b32_e32 v10, v24, v0
	s_mul_hi_u32 s0, s11, s10
	s_mul_i32 s1, s8, s10
	s_mul_i32 s34, s11, s10
	v_lshl_add_u64 v[6:7], v[6:7], 0, v[8:9]
	v_mul_lo_u32 v8, v0, s10
	s_lshl_b32 s10, s10, 2
	v_or_b32_e32 v26, 12, v3
	v_mov_b32_e32 v5, v1
	v_or_b32_e32 v27, 0x7c, v3
	v_lshlrev_b32_e32 v28, 2, v10
	v_or_b32_e32 v3, 4, v0
	v_add_u32_e32 v10, s10, v8
	v_lshl_add_u64 v[4:5], s[2:3], 0, v[4:5]
	v_cmp_gt_u32_e64 s[2:3], s11, v3
	v_or_b32_e32 v3, 8, v0
	v_add_u32_e32 v12, s10, v10
	v_cmp_gt_u32_e64 s[4:5], s11, v3
	v_or_b32_e32 v3, 12, v0
	v_add_u32_e32 v14, s10, v12
	s_abs_i32 s10, s11
	v_cmp_gt_u32_e64 s[6:7], s11, v3
	v_cvt_f32_u32_e32 v3, s10
	s_add_i32 s33, s0, s1
	v_cmp_gt_u32_e64 s[0:1], s11, v0
	s_and_b64 s[20:21], s[0:1], vcc
	v_rcp_iflag_f32_e32 v3, v3
	s_sub_i32 s0, 0, s10
	v_mov_b32_e32 v25, 0
	v_mov_b32_e32 v11, v1
	v_mul_f32_e32 v3, 0x4f7ffffe, v3
	v_cvt_u32_f32_e32 v3, v3
	v_mov_b32_e32 v13, v1
	v_mov_b32_e32 v15, v1
	v_or_b32_e32 v29, 16, v28
	v_mul_lo_u32 v17, s0, v3
	v_mul_hi_u32 v17, v3, v17
	v_or_b32_e32 v30, 32, v28
	v_or_b32_e32 v31, 48, v28
	s_and_b64 s[2:3], vcc, s[2:3]
	s_and_b64 s[4:5], vcc, s[4:5]
	;; [unrolled: 1-line block ×3, first 2 shown]
	v_add_u32_e32 v32, v3, v17
	s_mov_b64 s[22:23], 0
	v_mov_b32_e32 v33, 1
	v_mov_b32_e32 v3, 0
	s_branch .LBB41_11
.LBB41_8:                               ;   in Loop: Header=BB41_11 Depth=1
	v_mov_b32_e32 v17, s28
.LBB41_9:                               ;   in Loop: Header=BB41_11 Depth=1
	s_or_b64 exec, exec, s[26:27]
.LBB41_10:                              ;   in Loop: Header=BB41_11 Depth=1
	s_or_b64 exec, exec, s[24:25]
	v_mov_b32_dpp v3, v34 row_shr:1 row_mask:0xf bank_mask:0xf
	v_min_i32_e32 v3, v3, v34
	v_add_u32_e32 v2, v17, v2
	s_waitcnt lgkmcnt(0)
	v_mov_b32_dpp v18, v3 row_shr:2 row_mask:0xf bank_mask:0xf
	v_min_i32_e32 v3, v18, v3
	s_nop 1
	v_mov_b32_dpp v18, v3 row_shr:4 row_mask:0xf bank_mask:0xe
	v_min_i32_e32 v3, v18, v3
	s_nop 1
	;; [unrolled: 3-line block ×3, first 2 shown]
	v_mov_b32_dpp v18, v3 row_bcast:15 row_mask:0xa bank_mask:0xf
	v_min_i32_e32 v3, v18, v3
	ds_bpermute_b32 v3, v27, v3
	s_waitcnt lgkmcnt(0)
	v_cmp_le_i32_e32 vcc, s9, v3
	s_or_b64 s[22:23], vcc, s[22:23]
	s_andn2_b64 exec, exec, s[22:23]
	s_cbranch_execz .LBB41_40
.LBB41_11:                              ; =>This Loop Header: Depth=1
                                        ;     Child Loop BB41_14 Depth 2
	v_add_u32_e32 v20, v16, v0
	v_cmp_lt_i32_e32 vcc, v20, v23
	v_mov_b32_e32 v34, s9
	v_mov_b32_e32 v35, v23
	ds_write_b8 v22, v25 offset:4096
	ds_write_b32 v28, v1
	ds_write_b32 v29, v1
	;; [unrolled: 1-line block ×4, first 2 shown]
	s_waitcnt lgkmcnt(0)
	s_and_saveexec_b64 s[24:25], vcc
	s_cbranch_execz .LBB41_19
; %bb.12:                               ;   in Loop: Header=BB41_11 Depth=1
	v_ashrrev_i32_e32 v17, 31, v16
	v_lshl_add_u64 v[16:17], v[0:1], 0, v[16:17]
	v_lshlrev_b64 v[18:19], 2, v[16:17]
	v_mul_lo_u32 v21, v3, s11
	v_lshl_add_u64 v[16:17], s[16:17], 0, v[18:19]
	v_lshl_add_u64 v[18:19], s[12:13], 0, v[18:19]
	s_mov_b64 s[26:27], 0
	v_mov_b32_e32 v34, s9
	v_mov_b32_e32 v35, v23
	s_branch .LBB41_14
.LBB41_13:                              ;   in Loop: Header=BB41_14 Depth=2
	s_or_b64 exec, exec, s[0:1]
	v_add_u32_e32 v20, 4, v20
	v_cmp_ge_i32_e64 s[0:1], v20, v23
	s_xor_b64 s[28:29], vcc, -1
	s_or_b64 s[0:1], s[28:29], s[0:1]
	s_and_b64 s[0:1], exec, s[0:1]
	v_lshl_add_u64 v[16:17], v[16:17], 0, 16
	s_or_b64 s[26:27], s[0:1], s[26:27]
	v_lshl_add_u64 v[18:19], v[18:19], 0, 16
	s_andn2_b64 exec, exec, s[26:27]
	s_cbranch_execz .LBB41_18
.LBB41_14:                              ;   Parent Loop BB41_11 Depth=1
                                        ; =>  This Inner Loop Header: Depth=2
	global_load_dword v36, v[16:17], off
	s_waitcnt vmcnt(0)
	v_subrev_u32_e32 v36, s30, v36
	v_sub_u32_e32 v38, 0, v36
	v_max_i32_e32 v38, v36, v38
	v_mul_hi_u32 v39, v38, v32
	v_mul_lo_u32 v40, v39, s10
	v_sub_u32_e32 v38, v38, v40
	v_add_u32_e32 v41, 1, v39
	v_cmp_le_u32_e32 vcc, s10, v38
	v_subrev_u32_e32 v40, s10, v38
	v_ashrrev_i32_e32 v37, 31, v36
	v_cndmask_b32_e32 v39, v39, v41, vcc
	v_cndmask_b32_e32 v38, v38, v40, vcc
	v_add_u32_e32 v40, 1, v39
	v_cmp_le_u32_e32 vcc, s10, v38
	v_xor_b32_e32 v37, s8, v37
	s_nop 0
	v_cndmask_b32_e32 v38, v39, v40, vcc
	v_xor_b32_e32 v38, v38, v37
	v_sub_u32_e32 v38, v38, v37
	v_cmp_eq_u32_e32 vcc, v38, v3
	v_cmp_ne_u32_e64 s[0:1], v38, v3
	v_mov_b32_e32 v37, v35
	s_and_saveexec_b64 s[28:29], s[0:1]
	s_xor_b64 s[0:1], exec, s[28:29]
; %bb.15:                               ;   in Loop: Header=BB41_14 Depth=2
	v_min_i32_e32 v34, v38, v34
                                        ; implicit-def: $vgpr36
                                        ; implicit-def: $vgpr37
; %bb.16:                               ;   in Loop: Header=BB41_14 Depth=2
	s_or_saveexec_b64 s[0:1], s[0:1]
	v_mov_b32_e32 v35, v20
	s_xor_b64 exec, exec, s[0:1]
	s_cbranch_execz .LBB41_13
; %bb.17:                               ;   in Loop: Header=BB41_14 Depth=2
	global_load_dword v35, v[18:19], off
	v_sub_u32_e32 v36, v36, v21
	v_add_lshl_u32 v36, v24, v36, 2
	ds_write_b8 v22, v33 offset:4096
	s_waitcnt vmcnt(0)
	ds_write_b32 v36, v35
	v_mov_b32_e32 v35, v37
	s_branch .LBB41_13
.LBB41_18:                              ;   in Loop: Header=BB41_11 Depth=1
	s_or_b64 exec, exec, s[26:27]
.LBB41_19:                              ;   in Loop: Header=BB41_11 Depth=1
	s_or_b64 exec, exec, s[24:25]
	v_mov_b32_dpp v16, v35 row_shr:1 row_mask:0xf bank_mask:0xf
	v_min_i32_e32 v16, v16, v35
	s_waitcnt lgkmcnt(0)
	ds_read_u8 v17, v22 offset:4096
	v_mov_b32_dpp v18, v16 row_shr:2 row_mask:0xf bank_mask:0xf
	v_min_i32_e32 v16, v18, v16
	ds_bpermute_b32 v16, v26, v16
	s_waitcnt lgkmcnt(1)
	v_and_b32_e32 v17, 1, v17
	v_cmp_eq_u32_e32 vcc, 1, v17
	v_mov_b32_e32 v17, 0
	s_and_saveexec_b64 s[24:25], vcc
	s_cbranch_execz .LBB41_10
; %bb.20:                               ;   in Loop: Header=BB41_11 Depth=1
	v_add_u32_e32 v17, s31, v3
	v_ashrrev_i32_e32 v3, 31, v2
	v_lshl_add_u64 v[18:19], v[2:3], 2, s[14:15]
	global_store_dword v[18:19], v17, off
	v_mul_lo_u32 v17, s33, v2
	v_mul_lo_u32 v3, s34, v3
	v_mad_u64_u32 v[18:19], s[0:1], s34, v2, 0
	v_add3_u32 v19, v19, v3, v17
	v_lshlrev_b64 v[18:19], 2, v[18:19]
	v_lshl_add_u64 v[20:21], v[4:5], 0, v[18:19]
	v_lshl_add_u64 v[18:19], v[6:7], 0, v[18:19]
	s_and_saveexec_b64 s[0:1], s[20:21]
	s_cbranch_execz .LBB41_24
; %bb.21:                               ;   in Loop: Header=BB41_11 Depth=1
	s_and_b64 vcc, exec, s[18:19]
	s_cbranch_vccz .LBB41_35
; %bb.22:                               ;   in Loop: Header=BB41_11 Depth=1
	ds_read_b32 v3, v28
	v_lshl_add_u64 v[36:37], v[8:9], 2, v[20:21]
	s_waitcnt lgkmcnt(0)
	global_store_dword v[36:37], v3, off
	s_cbranch_execnz .LBB41_24
.LBB41_23:                              ;   in Loop: Header=BB41_11 Depth=1
	ds_read_b32 v3, v28
	s_waitcnt lgkmcnt(0)
	global_store_dword v[18:19], v3, off
.LBB41_24:                              ;   in Loop: Header=BB41_11 Depth=1
	s_or_b64 exec, exec, s[0:1]
	v_cndmask_b32_e64 v3, 0, 1, s[18:19]
	v_cmp_ne_u32_e64 s[0:1], 1, v3
	s_and_saveexec_b64 s[26:27], s[2:3]
	s_cbranch_execz .LBB41_28
; %bb.25:                               ;   in Loop: Header=BB41_11 Depth=1
	s_and_b64 vcc, exec, s[0:1]
	s_cbranch_vccnz .LBB41_36
; %bb.26:                               ;   in Loop: Header=BB41_11 Depth=1
	ds_read_b32 v3, v28 offset:16
	v_lshl_add_u64 v[36:37], v[10:11], 2, v[20:21]
	s_waitcnt lgkmcnt(0)
	global_store_dword v[36:37], v3, off
	s_cbranch_execnz .LBB41_28
.LBB41_27:                              ;   in Loop: Header=BB41_11 Depth=1
	ds_read_b32 v3, v28 offset:16
	s_waitcnt lgkmcnt(0)
	global_store_dword v[18:19], v3, off offset:16
.LBB41_28:                              ;   in Loop: Header=BB41_11 Depth=1
	s_or_b64 exec, exec, s[26:27]
	s_and_saveexec_b64 s[26:27], s[4:5]
	s_cbranch_execz .LBB41_32
; %bb.29:                               ;   in Loop: Header=BB41_11 Depth=1
	s_and_b64 vcc, exec, s[0:1]
	s_cbranch_vccnz .LBB41_37
; %bb.30:                               ;   in Loop: Header=BB41_11 Depth=1
	ds_read_b32 v3, v28 offset:32
	v_lshl_add_u64 v[36:37], v[12:13], 2, v[20:21]
	s_waitcnt lgkmcnt(0)
	global_store_dword v[36:37], v3, off
	s_cbranch_execnz .LBB41_32
.LBB41_31:                              ;   in Loop: Header=BB41_11 Depth=1
	ds_read_b32 v3, v28 offset:32
	s_waitcnt lgkmcnt(0)
	global_store_dword v[18:19], v3, off offset:32
.LBB41_32:                              ;   in Loop: Header=BB41_11 Depth=1
	s_or_b64 exec, exec, s[26:27]
	v_mov_b32_e32 v17, 1
	s_and_saveexec_b64 s[26:27], s[6:7]
	s_cbranch_execz .LBB41_9
; %bb.33:                               ;   in Loop: Header=BB41_11 Depth=1
	s_and_b64 vcc, exec, s[0:1]
	s_cbranch_vccnz .LBB41_38
; %bb.34:                               ;   in Loop: Header=BB41_11 Depth=1
	ds_read_b32 v3, v28 offset:48
	v_lshl_add_u64 v[20:21], v[14:15], 2, v[20:21]
	s_mov_b32 s28, 1
	s_waitcnt lgkmcnt(0)
	global_store_dword v[20:21], v3, off
	s_cbranch_execnz .LBB41_8
	s_branch .LBB41_39
.LBB41_35:                              ;   in Loop: Header=BB41_11 Depth=1
	s_branch .LBB41_23
.LBB41_36:                              ;   in Loop: Header=BB41_11 Depth=1
	s_branch .LBB41_27
.LBB41_37:                              ;   in Loop: Header=BB41_11 Depth=1
	s_branch .LBB41_31
.LBB41_38:                              ;   in Loop: Header=BB41_11 Depth=1
                                        ; implicit-def: $sgpr28
.LBB41_39:                              ;   in Loop: Header=BB41_11 Depth=1
	ds_read_b32 v3, v28 offset:48
	s_mov_b32 s28, 1
	s_waitcnt lgkmcnt(0)
	global_store_dword v[18:19], v3, off offset:48
	s_branch .LBB41_8
.LBB41_40:
	s_endpgm
	.section	.rodata,"a",@progbits
	.p2align	6, 0x0
	.amdhsa_kernel _ZN9rocsparseL44csr2gebsr_wavefront_per_row_multipass_kernelILi256ELi8ELi16ELi32EfEEv20rocsparse_direction_iiiiii21rocsparse_index_base_PKT3_PKiS7_S2_PS3_PiS9_
		.amdhsa_group_segment_fixed_size 4104
		.amdhsa_private_segment_fixed_size 0
		.amdhsa_kernarg_size 88
		.amdhsa_user_sgpr_count 2
		.amdhsa_user_sgpr_dispatch_ptr 0
		.amdhsa_user_sgpr_queue_ptr 0
		.amdhsa_user_sgpr_kernarg_segment_ptr 1
		.amdhsa_user_sgpr_dispatch_id 0
		.amdhsa_user_sgpr_kernarg_preload_length 0
		.amdhsa_user_sgpr_kernarg_preload_offset 0
		.amdhsa_user_sgpr_private_segment_size 0
		.amdhsa_uses_dynamic_stack 0
		.amdhsa_enable_private_segment 0
		.amdhsa_system_sgpr_workgroup_id_x 1
		.amdhsa_system_sgpr_workgroup_id_y 0
		.amdhsa_system_sgpr_workgroup_id_z 0
		.amdhsa_system_sgpr_workgroup_info 0
		.amdhsa_system_vgpr_workitem_id 0
		.amdhsa_next_free_vgpr 42
		.amdhsa_next_free_sgpr 35
		.amdhsa_accum_offset 44
		.amdhsa_reserve_vcc 1
		.amdhsa_float_round_mode_32 0
		.amdhsa_float_round_mode_16_64 0
		.amdhsa_float_denorm_mode_32 3
		.amdhsa_float_denorm_mode_16_64 3
		.amdhsa_dx10_clamp 1
		.amdhsa_ieee_mode 1
		.amdhsa_fp16_overflow 0
		.amdhsa_tg_split 0
		.amdhsa_exception_fp_ieee_invalid_op 0
		.amdhsa_exception_fp_denorm_src 0
		.amdhsa_exception_fp_ieee_div_zero 0
		.amdhsa_exception_fp_ieee_overflow 0
		.amdhsa_exception_fp_ieee_underflow 0
		.amdhsa_exception_fp_ieee_inexact 0
		.amdhsa_exception_int_div_zero 0
	.end_amdhsa_kernel
	.section	.text._ZN9rocsparseL44csr2gebsr_wavefront_per_row_multipass_kernelILi256ELi8ELi16ELi32EfEEv20rocsparse_direction_iiiiii21rocsparse_index_base_PKT3_PKiS7_S2_PS3_PiS9_,"axG",@progbits,_ZN9rocsparseL44csr2gebsr_wavefront_per_row_multipass_kernelILi256ELi8ELi16ELi32EfEEv20rocsparse_direction_iiiiii21rocsparse_index_base_PKT3_PKiS7_S2_PS3_PiS9_,comdat
.Lfunc_end41:
	.size	_ZN9rocsparseL44csr2gebsr_wavefront_per_row_multipass_kernelILi256ELi8ELi16ELi32EfEEv20rocsparse_direction_iiiiii21rocsparse_index_base_PKT3_PKiS7_S2_PS3_PiS9_, .Lfunc_end41-_ZN9rocsparseL44csr2gebsr_wavefront_per_row_multipass_kernelILi256ELi8ELi16ELi32EfEEv20rocsparse_direction_iiiiii21rocsparse_index_base_PKT3_PKiS7_S2_PS3_PiS9_
                                        ; -- End function
	.section	.AMDGPU.csdata,"",@progbits
; Kernel info:
; codeLenInByte = 1584
; NumSgprs: 41
; NumVgprs: 42
; NumAgprs: 0
; TotalNumVgprs: 42
; ScratchSize: 0
; MemoryBound: 0
; FloatMode: 240
; IeeeMode: 1
; LDSByteSize: 4104 bytes/workgroup (compile time only)
; SGPRBlocks: 5
; VGPRBlocks: 5
; NumSGPRsForWavesPerEU: 41
; NumVGPRsForWavesPerEU: 42
; AccumOffset: 44
; Occupancy: 8
; WaveLimiterHint : 0
; COMPUTE_PGM_RSRC2:SCRATCH_EN: 0
; COMPUTE_PGM_RSRC2:USER_SGPR: 2
; COMPUTE_PGM_RSRC2:TRAP_HANDLER: 0
; COMPUTE_PGM_RSRC2:TGID_X_EN: 1
; COMPUTE_PGM_RSRC2:TGID_Y_EN: 0
; COMPUTE_PGM_RSRC2:TGID_Z_EN: 0
; COMPUTE_PGM_RSRC2:TIDIG_COMP_CNT: 0
; COMPUTE_PGM_RSRC3_GFX90A:ACCUM_OFFSET: 10
; COMPUTE_PGM_RSRC3_GFX90A:TG_SPLIT: 0
	.section	.text._ZN9rocsparseL44csr2gebsr_wavefront_per_row_multipass_kernelILi256ELi8ELi32ELi64EfEEv20rocsparse_direction_iiiiii21rocsparse_index_base_PKT3_PKiS7_S2_PS3_PiS9_,"axG",@progbits,_ZN9rocsparseL44csr2gebsr_wavefront_per_row_multipass_kernelILi256ELi8ELi32ELi64EfEEv20rocsparse_direction_iiiiii21rocsparse_index_base_PKT3_PKiS7_S2_PS3_PiS9_,comdat
	.globl	_ZN9rocsparseL44csr2gebsr_wavefront_per_row_multipass_kernelILi256ELi8ELi32ELi64EfEEv20rocsparse_direction_iiiiii21rocsparse_index_base_PKT3_PKiS7_S2_PS3_PiS9_ ; -- Begin function _ZN9rocsparseL44csr2gebsr_wavefront_per_row_multipass_kernelILi256ELi8ELi32ELi64EfEEv20rocsparse_direction_iiiiii21rocsparse_index_base_PKT3_PKiS7_S2_PS3_PiS9_
	.p2align	8
	.type	_ZN9rocsparseL44csr2gebsr_wavefront_per_row_multipass_kernelILi256ELi8ELi32ELi64EfEEv20rocsparse_direction_iiiiii21rocsparse_index_base_PKT3_PKiS7_S2_PS3_PiS9_,@function
_ZN9rocsparseL44csr2gebsr_wavefront_per_row_multipass_kernelILi256ELi8ELi32ELi64EfEEv20rocsparse_direction_iiiiii21rocsparse_index_base_PKT3_PKiS7_S2_PS3_PiS9_: ; @_ZN9rocsparseL44csr2gebsr_wavefront_per_row_multipass_kernelILi256ELi8ELi32ELi64EfEEv20rocsparse_direction_iiiiii21rocsparse_index_base_PKT3_PKiS7_S2_PS3_PiS9_
; %bb.0:
	s_load_dwordx2 s[4:5], s[0:1], 0x0
	s_load_dwordx4 s[8:11], s[0:1], 0xc
	s_load_dword s30, s[0:1], 0x1c
	s_load_dwordx2 s[6:7], s[0:1], 0x28
	v_lshrrev_b32_e32 v22, 6, v0
	v_bfe_u32 v6, v0, 3, 3
	v_lshl_or_b32 v4, s2, 2, v22
	s_waitcnt lgkmcnt(0)
	v_mad_u64_u32 v[2:3], s[2:3], v4, s10, v[6:7]
	v_cmp_gt_i32_e64 s[2:3], s5, v2
	v_cmp_gt_i32_e32 vcc, s10, v6
	s_and_b64 s[2:3], vcc, s[2:3]
	v_mov_b32_e32 v23, 0
	v_mov_b32_e32 v16, 0
	s_and_saveexec_b64 s[12:13], s[2:3]
	s_cbranch_execz .LBB42_2
; %bb.1:
	v_ashrrev_i32_e32 v3, 31, v2
	v_lshl_add_u64 v[8:9], v[2:3], 2, s[6:7]
	global_load_dword v1, v[8:9], off
	s_waitcnt vmcnt(0)
	v_subrev_u32_e32 v16, s30, v1
.LBB42_2:
	s_or_b64 exec, exec, s[12:13]
	s_and_saveexec_b64 s[12:13], s[2:3]
	s_cbranch_execz .LBB42_4
; %bb.3:
	v_ashrrev_i32_e32 v3, 31, v2
	v_lshl_add_u64 v[2:3], v[2:3], 2, s[6:7]
	global_load_dword v1, v[2:3], off offset:4
	s_waitcnt vmcnt(0)
	v_subrev_u32_e32 v23, s30, v1
.LBB42_4:
	s_or_b64 exec, exec, s[12:13]
	s_load_dword s31, s[0:1], 0x38
	v_cmp_gt_i32_e64 s[2:3], s8, v4
	v_mov_b32_e32 v2, 0
	s_and_saveexec_b64 s[6:7], s[2:3]
	s_cbranch_execz .LBB42_6
; %bb.5:
	s_load_dwordx2 s[2:3], s[0:1], 0x48
	v_ashrrev_i32_e32 v5, 31, v4
	s_waitcnt lgkmcnt(0)
	v_lshl_add_u64 v[2:3], v[4:5], 2, s[2:3]
	global_load_dword v1, v[2:3], off
	s_waitcnt vmcnt(0)
	v_subrev_u32_e32 v2, s31, v1
.LBB42_6:
	s_or_b64 exec, exec, s[6:7]
	s_cmp_lt_i32 s9, 1
	s_cbranch_scc1 .LBB42_40
; %bb.7:
	s_load_dwordx2 s[12:13], s[0:1], 0x20
	s_load_dwordx2 s[14:15], s[0:1], 0x50
	;; [unrolled: 1-line block ×4, first 2 shown]
	v_lshlrev_b32_e32 v1, 8, v22
	v_lshl_or_b32 v24, v6, 5, v1
	v_mbcnt_lo_u32_b32 v1, -1, 0
	v_mbcnt_hi_u32_b32 v1, -1, v1
	v_lshlrev_b32_e32 v4, 2, v6
	v_mul_lo_u32 v6, v6, s11
	v_and_b32_e32 v0, 7, v0
	v_lshlrev_b32_e32 v3, 2, v1
	s_cmp_lg_u32 s4, 0
	v_mov_b32_e32 v1, 0
	v_ashrrev_i32_e32 v7, 31, v6
	s_cselect_b64 s[18:19], -1, 0
	s_ashr_i32 s8, s11, 31
	s_waitcnt lgkmcnt(0)
	v_lshl_add_u64 v[6:7], v[6:7], 2, s[2:3]
	v_lshlrev_b32_e32 v8, 2, v0
	v_mov_b32_e32 v9, v1
	v_or_b32_e32 v10, v24, v0
	s_mul_hi_u32 s0, s11, s10
	s_mul_i32 s1, s8, s10
	s_mul_i32 s34, s11, s10
	v_lshl_add_u64 v[6:7], v[6:7], 0, v[8:9]
	v_mul_lo_u32 v8, v0, s10
	s_lshl_b32 s10, s10, 3
	v_or_b32_e32 v26, 28, v3
	v_mov_b32_e32 v5, v1
	v_or_b32_e32 v27, 0xfc, v3
	v_lshlrev_b32_e32 v28, 2, v10
	v_or_b32_e32 v3, 8, v0
	v_add_u32_e32 v10, s10, v8
	v_lshl_add_u64 v[4:5], s[2:3], 0, v[4:5]
	v_cmp_gt_u32_e64 s[2:3], s11, v3
	v_or_b32_e32 v3, 16, v0
	v_add_u32_e32 v12, s10, v10
	v_cmp_gt_u32_e64 s[4:5], s11, v3
	v_or_b32_e32 v3, 24, v0
	v_add_u32_e32 v14, s10, v12
	s_abs_i32 s10, s11
	v_cmp_gt_u32_e64 s[6:7], s11, v3
	v_cvt_f32_u32_e32 v3, s10
	s_add_i32 s33, s0, s1
	v_cmp_gt_u32_e64 s[0:1], s11, v0
	s_and_b64 s[20:21], s[0:1], vcc
	v_rcp_iflag_f32_e32 v3, v3
	s_sub_i32 s0, 0, s10
	v_mov_b32_e32 v25, 0
	v_mov_b32_e32 v11, v1
	v_mul_f32_e32 v3, 0x4f7ffffe, v3
	v_cvt_u32_f32_e32 v3, v3
	v_mov_b32_e32 v13, v1
	v_mov_b32_e32 v15, v1
	v_or_b32_e32 v29, 32, v28
	v_mul_lo_u32 v17, s0, v3
	v_mul_hi_u32 v17, v3, v17
	v_or_b32_e32 v30, 64, v28
	v_or_b32_e32 v31, 0x60, v28
	s_and_b64 s[2:3], vcc, s[2:3]
	s_and_b64 s[4:5], vcc, s[4:5]
	;; [unrolled: 1-line block ×3, first 2 shown]
	v_add_u32_e32 v32, v3, v17
	s_mov_b64 s[22:23], 0
	v_mov_b32_e32 v33, 1
	v_mov_b32_e32 v3, 0
	s_branch .LBB42_11
.LBB42_8:                               ;   in Loop: Header=BB42_11 Depth=1
	v_mov_b32_e32 v17, s28
.LBB42_9:                               ;   in Loop: Header=BB42_11 Depth=1
	s_or_b64 exec, exec, s[26:27]
.LBB42_10:                              ;   in Loop: Header=BB42_11 Depth=1
	s_or_b64 exec, exec, s[24:25]
	v_mov_b32_dpp v3, v34 row_shr:1 row_mask:0xf bank_mask:0xf
	v_min_i32_e32 v3, v3, v34
	v_add_u32_e32 v2, v17, v2
	s_waitcnt lgkmcnt(0)
	v_mov_b32_dpp v18, v3 row_shr:2 row_mask:0xf bank_mask:0xf
	v_min_i32_e32 v3, v18, v3
	s_nop 1
	v_mov_b32_dpp v18, v3 row_shr:4 row_mask:0xf bank_mask:0xe
	v_min_i32_e32 v3, v18, v3
	s_nop 1
	;; [unrolled: 3-line block ×3, first 2 shown]
	v_mov_b32_dpp v18, v3 row_bcast:15 row_mask:0xa bank_mask:0xf
	v_min_i32_e32 v3, v18, v3
	s_nop 1
	v_mov_b32_dpp v18, v3 row_bcast:31 row_mask:0xc bank_mask:0xf
	v_min_i32_e32 v3, v18, v3
	ds_bpermute_b32 v3, v27, v3
	s_waitcnt lgkmcnt(0)
	v_cmp_le_i32_e32 vcc, s9, v3
	s_or_b64 s[22:23], vcc, s[22:23]
	s_andn2_b64 exec, exec, s[22:23]
	s_cbranch_execz .LBB42_40
.LBB42_11:                              ; =>This Loop Header: Depth=1
                                        ;     Child Loop BB42_14 Depth 2
	v_add_u32_e32 v20, v16, v0
	v_cmp_lt_i32_e32 vcc, v20, v23
	v_mov_b32_e32 v34, s9
	v_mov_b32_e32 v35, v23
	ds_write_b8 v22, v25 offset:4096
	ds_write_b32 v28, v1
	ds_write_b32 v29, v1
	;; [unrolled: 1-line block ×4, first 2 shown]
	s_waitcnt lgkmcnt(0)
	s_and_saveexec_b64 s[24:25], vcc
	s_cbranch_execz .LBB42_19
; %bb.12:                               ;   in Loop: Header=BB42_11 Depth=1
	v_ashrrev_i32_e32 v17, 31, v16
	v_lshl_add_u64 v[16:17], v[0:1], 0, v[16:17]
	v_lshlrev_b64 v[18:19], 2, v[16:17]
	v_mul_lo_u32 v21, v3, s11
	v_lshl_add_u64 v[16:17], s[16:17], 0, v[18:19]
	v_lshl_add_u64 v[18:19], s[12:13], 0, v[18:19]
	s_mov_b64 s[26:27], 0
	v_mov_b32_e32 v34, s9
	v_mov_b32_e32 v35, v23
	s_branch .LBB42_14
.LBB42_13:                              ;   in Loop: Header=BB42_14 Depth=2
	s_or_b64 exec, exec, s[0:1]
	v_add_u32_e32 v20, 8, v20
	v_cmp_ge_i32_e64 s[0:1], v20, v23
	s_xor_b64 s[28:29], vcc, -1
	s_or_b64 s[0:1], s[28:29], s[0:1]
	s_and_b64 s[0:1], exec, s[0:1]
	v_lshl_add_u64 v[16:17], v[16:17], 0, 32
	s_or_b64 s[26:27], s[0:1], s[26:27]
	v_lshl_add_u64 v[18:19], v[18:19], 0, 32
	s_andn2_b64 exec, exec, s[26:27]
	s_cbranch_execz .LBB42_18
.LBB42_14:                              ;   Parent Loop BB42_11 Depth=1
                                        ; =>  This Inner Loop Header: Depth=2
	global_load_dword v36, v[16:17], off
	s_waitcnt vmcnt(0)
	v_subrev_u32_e32 v36, s30, v36
	v_sub_u32_e32 v38, 0, v36
	v_max_i32_e32 v38, v36, v38
	v_mul_hi_u32 v39, v38, v32
	v_mul_lo_u32 v40, v39, s10
	v_sub_u32_e32 v38, v38, v40
	v_add_u32_e32 v41, 1, v39
	v_cmp_le_u32_e32 vcc, s10, v38
	v_subrev_u32_e32 v40, s10, v38
	v_ashrrev_i32_e32 v37, 31, v36
	v_cndmask_b32_e32 v39, v39, v41, vcc
	v_cndmask_b32_e32 v38, v38, v40, vcc
	v_add_u32_e32 v40, 1, v39
	v_cmp_le_u32_e32 vcc, s10, v38
	v_xor_b32_e32 v37, s8, v37
	s_nop 0
	v_cndmask_b32_e32 v38, v39, v40, vcc
	v_xor_b32_e32 v38, v38, v37
	v_sub_u32_e32 v38, v38, v37
	v_cmp_eq_u32_e32 vcc, v38, v3
	v_cmp_ne_u32_e64 s[0:1], v38, v3
	v_mov_b32_e32 v37, v35
	s_and_saveexec_b64 s[28:29], s[0:1]
	s_xor_b64 s[0:1], exec, s[28:29]
; %bb.15:                               ;   in Loop: Header=BB42_14 Depth=2
	v_min_i32_e32 v34, v38, v34
                                        ; implicit-def: $vgpr36
                                        ; implicit-def: $vgpr37
; %bb.16:                               ;   in Loop: Header=BB42_14 Depth=2
	s_or_saveexec_b64 s[0:1], s[0:1]
	v_mov_b32_e32 v35, v20
	s_xor_b64 exec, exec, s[0:1]
	s_cbranch_execz .LBB42_13
; %bb.17:                               ;   in Loop: Header=BB42_14 Depth=2
	global_load_dword v35, v[18:19], off
	v_sub_u32_e32 v36, v36, v21
	v_add_lshl_u32 v36, v24, v36, 2
	ds_write_b8 v22, v33 offset:4096
	s_waitcnt vmcnt(0)
	ds_write_b32 v36, v35
	v_mov_b32_e32 v35, v37
	s_branch .LBB42_13
.LBB42_18:                              ;   in Loop: Header=BB42_11 Depth=1
	s_or_b64 exec, exec, s[26:27]
.LBB42_19:                              ;   in Loop: Header=BB42_11 Depth=1
	s_or_b64 exec, exec, s[24:25]
	v_mov_b32_dpp v16, v35 row_shr:1 row_mask:0xf bank_mask:0xf
	v_min_i32_e32 v16, v16, v35
	s_waitcnt lgkmcnt(0)
	s_nop 0
	v_mov_b32_dpp v17, v16 row_shr:2 row_mask:0xf bank_mask:0xf
	v_min_i32_e32 v16, v17, v16
	ds_read_u8 v17, v22 offset:4096
	s_waitcnt lgkmcnt(0)
	v_and_b32_e32 v17, 1, v17
	v_mov_b32_dpp v18, v16 row_shr:4 row_mask:0xf bank_mask:0xe
	v_min_i32_e32 v16, v18, v16
	ds_bpermute_b32 v16, v26, v16
	v_cmp_eq_u32_e32 vcc, 1, v17
	v_mov_b32_e32 v17, 0
	s_and_saveexec_b64 s[24:25], vcc
	s_cbranch_execz .LBB42_10
; %bb.20:                               ;   in Loop: Header=BB42_11 Depth=1
	v_add_u32_e32 v17, s31, v3
	v_ashrrev_i32_e32 v3, 31, v2
	v_lshl_add_u64 v[18:19], v[2:3], 2, s[14:15]
	global_store_dword v[18:19], v17, off
	v_mul_lo_u32 v17, s33, v2
	v_mul_lo_u32 v3, s34, v3
	v_mad_u64_u32 v[18:19], s[0:1], s34, v2, 0
	v_add3_u32 v19, v19, v3, v17
	v_lshlrev_b64 v[18:19], 2, v[18:19]
	v_lshl_add_u64 v[20:21], v[4:5], 0, v[18:19]
	v_lshl_add_u64 v[18:19], v[6:7], 0, v[18:19]
	s_and_saveexec_b64 s[0:1], s[20:21]
	s_cbranch_execz .LBB42_24
; %bb.21:                               ;   in Loop: Header=BB42_11 Depth=1
	s_and_b64 vcc, exec, s[18:19]
	s_cbranch_vccz .LBB42_35
; %bb.22:                               ;   in Loop: Header=BB42_11 Depth=1
	ds_read_b32 v3, v28
	v_lshl_add_u64 v[36:37], v[8:9], 2, v[20:21]
	s_waitcnt lgkmcnt(0)
	global_store_dword v[36:37], v3, off
	s_cbranch_execnz .LBB42_24
.LBB42_23:                              ;   in Loop: Header=BB42_11 Depth=1
	ds_read_b32 v3, v28
	s_waitcnt lgkmcnt(0)
	global_store_dword v[18:19], v3, off
.LBB42_24:                              ;   in Loop: Header=BB42_11 Depth=1
	s_or_b64 exec, exec, s[0:1]
	v_cndmask_b32_e64 v3, 0, 1, s[18:19]
	v_cmp_ne_u32_e64 s[0:1], 1, v3
	s_and_saveexec_b64 s[26:27], s[2:3]
	s_cbranch_execz .LBB42_28
; %bb.25:                               ;   in Loop: Header=BB42_11 Depth=1
	s_and_b64 vcc, exec, s[0:1]
	s_cbranch_vccnz .LBB42_36
; %bb.26:                               ;   in Loop: Header=BB42_11 Depth=1
	ds_read_b32 v3, v28 offset:32
	v_lshl_add_u64 v[36:37], v[10:11], 2, v[20:21]
	s_waitcnt lgkmcnt(0)
	global_store_dword v[36:37], v3, off
	s_cbranch_execnz .LBB42_28
.LBB42_27:                              ;   in Loop: Header=BB42_11 Depth=1
	ds_read_b32 v3, v28 offset:32
	s_waitcnt lgkmcnt(0)
	global_store_dword v[18:19], v3, off offset:32
.LBB42_28:                              ;   in Loop: Header=BB42_11 Depth=1
	s_or_b64 exec, exec, s[26:27]
	s_and_saveexec_b64 s[26:27], s[4:5]
	s_cbranch_execz .LBB42_32
; %bb.29:                               ;   in Loop: Header=BB42_11 Depth=1
	s_and_b64 vcc, exec, s[0:1]
	s_cbranch_vccnz .LBB42_37
; %bb.30:                               ;   in Loop: Header=BB42_11 Depth=1
	ds_read_b32 v3, v28 offset:64
	v_lshl_add_u64 v[36:37], v[12:13], 2, v[20:21]
	s_waitcnt lgkmcnt(0)
	global_store_dword v[36:37], v3, off
	s_cbranch_execnz .LBB42_32
.LBB42_31:                              ;   in Loop: Header=BB42_11 Depth=1
	ds_read_b32 v3, v28 offset:64
	s_waitcnt lgkmcnt(0)
	global_store_dword v[18:19], v3, off offset:64
.LBB42_32:                              ;   in Loop: Header=BB42_11 Depth=1
	s_or_b64 exec, exec, s[26:27]
	v_mov_b32_e32 v17, 1
	s_and_saveexec_b64 s[26:27], s[6:7]
	s_cbranch_execz .LBB42_9
; %bb.33:                               ;   in Loop: Header=BB42_11 Depth=1
	s_and_b64 vcc, exec, s[0:1]
	s_cbranch_vccnz .LBB42_38
; %bb.34:                               ;   in Loop: Header=BB42_11 Depth=1
	ds_read_b32 v3, v28 offset:96
	v_lshl_add_u64 v[20:21], v[14:15], 2, v[20:21]
	s_mov_b32 s28, 1
	s_waitcnt lgkmcnt(0)
	global_store_dword v[20:21], v3, off
	s_cbranch_execnz .LBB42_8
	s_branch .LBB42_39
.LBB42_35:                              ;   in Loop: Header=BB42_11 Depth=1
	s_branch .LBB42_23
.LBB42_36:                              ;   in Loop: Header=BB42_11 Depth=1
	s_branch .LBB42_27
.LBB42_37:                              ;   in Loop: Header=BB42_11 Depth=1
	s_branch .LBB42_31
.LBB42_38:                              ;   in Loop: Header=BB42_11 Depth=1
                                        ; implicit-def: $sgpr28
.LBB42_39:                              ;   in Loop: Header=BB42_11 Depth=1
	ds_read_b32 v3, v28 offset:96
	s_mov_b32 s28, 1
	s_waitcnt lgkmcnt(0)
	global_store_dword v[18:19], v3, off offset:96
	s_branch .LBB42_8
.LBB42_40:
	s_endpgm
	.section	.rodata,"a",@progbits
	.p2align	6, 0x0
	.amdhsa_kernel _ZN9rocsparseL44csr2gebsr_wavefront_per_row_multipass_kernelILi256ELi8ELi32ELi64EfEEv20rocsparse_direction_iiiiii21rocsparse_index_base_PKT3_PKiS7_S2_PS3_PiS9_
		.amdhsa_group_segment_fixed_size 4100
		.amdhsa_private_segment_fixed_size 0
		.amdhsa_kernarg_size 88
		.amdhsa_user_sgpr_count 2
		.amdhsa_user_sgpr_dispatch_ptr 0
		.amdhsa_user_sgpr_queue_ptr 0
		.amdhsa_user_sgpr_kernarg_segment_ptr 1
		.amdhsa_user_sgpr_dispatch_id 0
		.amdhsa_user_sgpr_kernarg_preload_length 0
		.amdhsa_user_sgpr_kernarg_preload_offset 0
		.amdhsa_user_sgpr_private_segment_size 0
		.amdhsa_uses_dynamic_stack 0
		.amdhsa_enable_private_segment 0
		.amdhsa_system_sgpr_workgroup_id_x 1
		.amdhsa_system_sgpr_workgroup_id_y 0
		.amdhsa_system_sgpr_workgroup_id_z 0
		.amdhsa_system_sgpr_workgroup_info 0
		.amdhsa_system_vgpr_workitem_id 0
		.amdhsa_next_free_vgpr 42
		.amdhsa_next_free_sgpr 35
		.amdhsa_accum_offset 44
		.amdhsa_reserve_vcc 1
		.amdhsa_float_round_mode_32 0
		.amdhsa_float_round_mode_16_64 0
		.amdhsa_float_denorm_mode_32 3
		.amdhsa_float_denorm_mode_16_64 3
		.amdhsa_dx10_clamp 1
		.amdhsa_ieee_mode 1
		.amdhsa_fp16_overflow 0
		.amdhsa_tg_split 0
		.amdhsa_exception_fp_ieee_invalid_op 0
		.amdhsa_exception_fp_denorm_src 0
		.amdhsa_exception_fp_ieee_div_zero 0
		.amdhsa_exception_fp_ieee_overflow 0
		.amdhsa_exception_fp_ieee_underflow 0
		.amdhsa_exception_fp_ieee_inexact 0
		.amdhsa_exception_int_div_zero 0
	.end_amdhsa_kernel
	.section	.text._ZN9rocsparseL44csr2gebsr_wavefront_per_row_multipass_kernelILi256ELi8ELi32ELi64EfEEv20rocsparse_direction_iiiiii21rocsparse_index_base_PKT3_PKiS7_S2_PS3_PiS9_,"axG",@progbits,_ZN9rocsparseL44csr2gebsr_wavefront_per_row_multipass_kernelILi256ELi8ELi32ELi64EfEEv20rocsparse_direction_iiiiii21rocsparse_index_base_PKT3_PKiS7_S2_PS3_PiS9_,comdat
.Lfunc_end42:
	.size	_ZN9rocsparseL44csr2gebsr_wavefront_per_row_multipass_kernelILi256ELi8ELi32ELi64EfEEv20rocsparse_direction_iiiiii21rocsparse_index_base_PKT3_PKiS7_S2_PS3_PiS9_, .Lfunc_end42-_ZN9rocsparseL44csr2gebsr_wavefront_per_row_multipass_kernelILi256ELi8ELi32ELi64EfEEv20rocsparse_direction_iiiiii21rocsparse_index_base_PKT3_PKiS7_S2_PS3_PiS9_
                                        ; -- End function
	.section	.AMDGPU.csdata,"",@progbits
; Kernel info:
; codeLenInByte = 1620
; NumSgprs: 41
; NumVgprs: 42
; NumAgprs: 0
; TotalNumVgprs: 42
; ScratchSize: 0
; MemoryBound: 0
; FloatMode: 240
; IeeeMode: 1
; LDSByteSize: 4100 bytes/workgroup (compile time only)
; SGPRBlocks: 5
; VGPRBlocks: 5
; NumSGPRsForWavesPerEU: 41
; NumVGPRsForWavesPerEU: 42
; AccumOffset: 44
; Occupancy: 8
; WaveLimiterHint : 0
; COMPUTE_PGM_RSRC2:SCRATCH_EN: 0
; COMPUTE_PGM_RSRC2:USER_SGPR: 2
; COMPUTE_PGM_RSRC2:TRAP_HANDLER: 0
; COMPUTE_PGM_RSRC2:TGID_X_EN: 1
; COMPUTE_PGM_RSRC2:TGID_Y_EN: 0
; COMPUTE_PGM_RSRC2:TGID_Z_EN: 0
; COMPUTE_PGM_RSRC2:TIDIG_COMP_CNT: 0
; COMPUTE_PGM_RSRC3_GFX90A:ACCUM_OFFSET: 10
; COMPUTE_PGM_RSRC3_GFX90A:TG_SPLIT: 0
	.section	.text._ZN9rocsparseL44csr2gebsr_wavefront_per_row_multipass_kernelILi256ELi8ELi32ELi32EfEEv20rocsparse_direction_iiiiii21rocsparse_index_base_PKT3_PKiS7_S2_PS3_PiS9_,"axG",@progbits,_ZN9rocsparseL44csr2gebsr_wavefront_per_row_multipass_kernelILi256ELi8ELi32ELi32EfEEv20rocsparse_direction_iiiiii21rocsparse_index_base_PKT3_PKiS7_S2_PS3_PiS9_,comdat
	.globl	_ZN9rocsparseL44csr2gebsr_wavefront_per_row_multipass_kernelILi256ELi8ELi32ELi32EfEEv20rocsparse_direction_iiiiii21rocsparse_index_base_PKT3_PKiS7_S2_PS3_PiS9_ ; -- Begin function _ZN9rocsparseL44csr2gebsr_wavefront_per_row_multipass_kernelILi256ELi8ELi32ELi32EfEEv20rocsparse_direction_iiiiii21rocsparse_index_base_PKT3_PKiS7_S2_PS3_PiS9_
	.p2align	8
	.type	_ZN9rocsparseL44csr2gebsr_wavefront_per_row_multipass_kernelILi256ELi8ELi32ELi32EfEEv20rocsparse_direction_iiiiii21rocsparse_index_base_PKT3_PKiS7_S2_PS3_PiS9_,@function
_ZN9rocsparseL44csr2gebsr_wavefront_per_row_multipass_kernelILi256ELi8ELi32ELi32EfEEv20rocsparse_direction_iiiiii21rocsparse_index_base_PKT3_PKiS7_S2_PS3_PiS9_: ; @_ZN9rocsparseL44csr2gebsr_wavefront_per_row_multipass_kernelILi256ELi8ELi32ELi32EfEEv20rocsparse_direction_iiiiii21rocsparse_index_base_PKT3_PKiS7_S2_PS3_PiS9_
; %bb.0:
	s_load_dwordx2 s[4:5], s[0:1], 0x0
	s_load_dwordx4 s[16:19], s[0:1], 0xc
	s_load_dword s33, s[0:1], 0x1c
	s_load_dwordx2 s[6:7], s[0:1], 0x28
	v_lshrrev_b32_e32 v30, 5, v0
	v_bfe_u32 v6, v0, 2, 3
	v_lshl_or_b32 v4, s2, 3, v30
	s_waitcnt lgkmcnt(0)
	v_mad_u64_u32 v[2:3], s[2:3], v4, s18, v[6:7]
	v_cmp_gt_i32_e64 s[2:3], s5, v2
	v_cmp_gt_i32_e32 vcc, s18, v6
	s_and_b64 s[2:3], vcc, s[2:3]
	v_mov_b32_e32 v31, 0
	v_mov_b32_e32 v22, 0
	s_and_saveexec_b64 s[8:9], s[2:3]
	s_cbranch_execz .LBB43_2
; %bb.1:
	v_ashrrev_i32_e32 v3, 31, v2
	v_lshl_add_u64 v[8:9], v[2:3], 2, s[6:7]
	global_load_dword v1, v[8:9], off
	s_waitcnt vmcnt(0)
	v_subrev_u32_e32 v22, s33, v1
.LBB43_2:
	s_or_b64 exec, exec, s[8:9]
	s_and_saveexec_b64 s[8:9], s[2:3]
	s_cbranch_execz .LBB43_4
; %bb.3:
	v_ashrrev_i32_e32 v3, 31, v2
	v_lshl_add_u64 v[2:3], v[2:3], 2, s[6:7]
	global_load_dword v1, v[2:3], off offset:4
	s_waitcnt vmcnt(0)
	v_subrev_u32_e32 v31, s33, v1
.LBB43_4:
	s_or_b64 exec, exec, s[8:9]
	s_load_dword s40, s[0:1], 0x38
	v_cmp_gt_i32_e64 s[2:3], s16, v4
	v_mov_b32_e32 v2, 0
	s_and_saveexec_b64 s[6:7], s[2:3]
	s_cbranch_execz .LBB43_6
; %bb.5:
	s_load_dwordx2 s[2:3], s[0:1], 0x48
	v_ashrrev_i32_e32 v5, 31, v4
	s_waitcnt lgkmcnt(0)
	v_lshl_add_u64 v[2:3], v[4:5], 2, s[2:3]
	global_load_dword v1, v[2:3], off
	s_waitcnt vmcnt(0)
	v_subrev_u32_e32 v2, s40, v1
.LBB43_6:
	s_or_b64 exec, exec, s[6:7]
	s_cmp_lt_i32 s17, 1
	s_cbranch_scc1 .LBB43_60
; %bb.7:
	s_load_dwordx2 s[20:21], s[0:1], 0x20
	s_load_dwordx2 s[22:23], s[0:1], 0x50
	s_load_dwordx2 s[2:3], s[0:1], 0x40
	s_load_dwordx2 s[24:25], s[0:1], 0x30
	v_lshlrev_b32_e32 v1, 8, v30
	v_lshl_or_b32 v32, v6, 5, v1
	v_mbcnt_lo_u32_b32 v1, -1, 0
	v_mbcnt_hi_u32_b32 v1, -1, v1
	v_lshlrev_b32_e32 v4, 2, v6
	v_mul_lo_u32 v6, v6, s19
	v_and_b32_e32 v0, 3, v0
	v_lshlrev_b32_e32 v3, 2, v1
	s_cmp_lg_u32 s4, 0
	v_mov_b32_e32 v1, 0
	v_ashrrev_i32_e32 v7, 31, v6
	s_cselect_b64 s[26:27], -1, 0
	s_ashr_i32 s16, s19, 31
	s_waitcnt lgkmcnt(0)
	v_lshl_add_u64 v[6:7], v[6:7], 2, s[2:3]
	v_lshlrev_b32_e32 v8, 2, v0
	v_mov_b32_e32 v9, v1
	v_or_b32_e32 v10, v32, v0
	s_mul_hi_u32 s0, s19, s18
	s_mul_i32 s1, s16, s18
	s_mul_i32 s42, s19, s18
	v_lshl_add_u64 v[6:7], v[6:7], 0, v[8:9]
	v_mul_lo_u32 v8, v0, s18
	s_lshl_b32 s18, s18, 2
	v_or_b32_e32 v34, 12, v3
	v_mov_b32_e32 v5, v1
	v_or_b32_e32 v35, 0x7c, v3
	v_lshlrev_b32_e32 v36, 2, v10
	v_or_b32_e32 v3, 4, v0
	v_add_u32_e32 v10, s18, v8
	v_lshl_add_u64 v[4:5], s[2:3], 0, v[4:5]
	v_cmp_gt_u32_e64 s[2:3], s19, v3
	v_or_b32_e32 v3, 8, v0
	v_add_u32_e32 v12, s18, v10
	v_cmp_gt_u32_e64 s[4:5], s19, v3
	v_or_b32_e32 v3, 12, v0
	v_add_u32_e32 v14, s18, v12
	;; [unrolled: 3-line block ×6, first 2 shown]
	s_abs_i32 s18, s19
	v_cmp_gt_u32_e64 s[14:15], s19, v3
	v_cvt_f32_u32_e32 v3, s18
	s_add_i32 s41, s0, s1
	v_cmp_gt_u32_e64 s[0:1], s19, v0
	s_and_b64 s[28:29], s[0:1], vcc
	v_rcp_iflag_f32_e32 v3, v3
	s_sub_i32 s0, 0, s18
	v_mov_b32_e32 v33, 0
	v_mov_b32_e32 v11, v1
	v_mul_f32_e32 v3, 0x4f7ffffe, v3
	v_cvt_u32_f32_e32 v3, v3
	v_mov_b32_e32 v13, v1
	v_mov_b32_e32 v15, v1
	;; [unrolled: 1-line block ×3, first 2 shown]
	v_mul_lo_u32 v23, s0, v3
	v_mul_hi_u32 v23, v3, v23
	v_mov_b32_e32 v19, v1
	v_mov_b32_e32 v21, v1
	;; [unrolled: 1-line block ×3, first 2 shown]
	v_or_b32_e32 v37, 16, v36
	v_or_b32_e32 v38, 32, v36
	;; [unrolled: 1-line block ×7, first 2 shown]
	s_and_b64 s[2:3], vcc, s[2:3]
	s_and_b64 s[4:5], vcc, s[4:5]
	;; [unrolled: 1-line block ×7, first 2 shown]
	v_add_u32_e32 v44, v3, v23
	s_mov_b64 s[30:31], 0
	v_mov_b32_e32 v45, 1
	v_mov_b32_e32 v3, 0
	s_branch .LBB43_11
.LBB43_8:                               ;   in Loop: Header=BB43_11 Depth=1
	v_mov_b32_e32 v23, s38
.LBB43_9:                               ;   in Loop: Header=BB43_11 Depth=1
	s_or_b64 exec, exec, s[36:37]
.LBB43_10:                              ;   in Loop: Header=BB43_11 Depth=1
	s_or_b64 exec, exec, s[34:35]
	v_mov_b32_dpp v3, v46 row_shr:1 row_mask:0xf bank_mask:0xf
	v_min_i32_e32 v3, v3, v46
	v_add_u32_e32 v2, v23, v2
	s_waitcnt lgkmcnt(0)
	v_mov_b32_dpp v26, v3 row_shr:2 row_mask:0xf bank_mask:0xf
	v_min_i32_e32 v3, v26, v3
	s_nop 1
	v_mov_b32_dpp v26, v3 row_shr:4 row_mask:0xf bank_mask:0xe
	v_min_i32_e32 v3, v26, v3
	s_nop 1
	;; [unrolled: 3-line block ×3, first 2 shown]
	v_mov_b32_dpp v26, v3 row_bcast:15 row_mask:0xa bank_mask:0xf
	v_min_i32_e32 v3, v26, v3
	ds_bpermute_b32 v3, v35, v3
	s_waitcnt lgkmcnt(0)
	v_cmp_le_i32_e32 vcc, s17, v3
	s_or_b64 s[30:31], vcc, s[30:31]
	s_andn2_b64 exec, exec, s[30:31]
	s_cbranch_execz .LBB43_60
.LBB43_11:                              ; =>This Loop Header: Depth=1
                                        ;     Child Loop BB43_14 Depth 2
	v_add_u32_e32 v28, v22, v0
	v_cmp_lt_i32_e32 vcc, v28, v31
	v_mov_b32_e32 v46, s17
	v_mov_b32_e32 v47, v31
	ds_write_b8 v30, v33 offset:8192
	ds_write_b32 v36, v1
	ds_write_b32 v37, v1
	;; [unrolled: 1-line block ×8, first 2 shown]
	s_waitcnt lgkmcnt(0)
	s_and_saveexec_b64 s[34:35], vcc
	s_cbranch_execz .LBB43_19
; %bb.12:                               ;   in Loop: Header=BB43_11 Depth=1
	v_ashrrev_i32_e32 v23, 31, v22
	v_lshl_add_u64 v[22:23], v[0:1], 0, v[22:23]
	v_lshlrev_b64 v[26:27], 2, v[22:23]
	v_mul_lo_u32 v29, v3, s19
	v_lshl_add_u64 v[22:23], s[24:25], 0, v[26:27]
	v_lshl_add_u64 v[26:27], s[20:21], 0, v[26:27]
	s_mov_b64 s[36:37], 0
	v_mov_b32_e32 v46, s17
	v_mov_b32_e32 v47, v31
	s_branch .LBB43_14
.LBB43_13:                              ;   in Loop: Header=BB43_14 Depth=2
	s_or_b64 exec, exec, s[0:1]
	v_add_u32_e32 v28, 4, v28
	v_cmp_ge_i32_e64 s[0:1], v28, v31
	s_xor_b64 s[38:39], vcc, -1
	s_or_b64 s[0:1], s[38:39], s[0:1]
	s_and_b64 s[0:1], exec, s[0:1]
	v_lshl_add_u64 v[22:23], v[22:23], 0, 16
	s_or_b64 s[36:37], s[0:1], s[36:37]
	v_lshl_add_u64 v[26:27], v[26:27], 0, 16
	s_andn2_b64 exec, exec, s[36:37]
	s_cbranch_execz .LBB43_18
.LBB43_14:                              ;   Parent Loop BB43_11 Depth=1
                                        ; =>  This Inner Loop Header: Depth=2
	global_load_dword v48, v[22:23], off
	s_waitcnt vmcnt(0)
	v_subrev_u32_e32 v48, s33, v48
	v_sub_u32_e32 v50, 0, v48
	v_max_i32_e32 v50, v48, v50
	v_mul_hi_u32 v51, v50, v44
	v_mul_lo_u32 v52, v51, s18
	v_sub_u32_e32 v50, v50, v52
	v_add_u32_e32 v53, 1, v51
	v_cmp_le_u32_e32 vcc, s18, v50
	v_subrev_u32_e32 v52, s18, v50
	v_ashrrev_i32_e32 v49, 31, v48
	v_cndmask_b32_e32 v51, v51, v53, vcc
	v_cndmask_b32_e32 v50, v50, v52, vcc
	v_add_u32_e32 v52, 1, v51
	v_cmp_le_u32_e32 vcc, s18, v50
	v_xor_b32_e32 v49, s16, v49
	s_nop 0
	v_cndmask_b32_e32 v50, v51, v52, vcc
	v_xor_b32_e32 v50, v50, v49
	v_sub_u32_e32 v50, v50, v49
	v_cmp_eq_u32_e32 vcc, v50, v3
	v_cmp_ne_u32_e64 s[0:1], v50, v3
	v_mov_b32_e32 v49, v47
	s_and_saveexec_b64 s[38:39], s[0:1]
	s_xor_b64 s[0:1], exec, s[38:39]
; %bb.15:                               ;   in Loop: Header=BB43_14 Depth=2
	v_min_i32_e32 v46, v50, v46
                                        ; implicit-def: $vgpr48
                                        ; implicit-def: $vgpr49
; %bb.16:                               ;   in Loop: Header=BB43_14 Depth=2
	s_or_saveexec_b64 s[0:1], s[0:1]
	v_mov_b32_e32 v47, v28
	s_xor_b64 exec, exec, s[0:1]
	s_cbranch_execz .LBB43_13
; %bb.17:                               ;   in Loop: Header=BB43_14 Depth=2
	global_load_dword v47, v[26:27], off
	v_sub_u32_e32 v48, v48, v29
	v_add_lshl_u32 v48, v32, v48, 2
	ds_write_b8 v30, v45 offset:8192
	s_waitcnt vmcnt(0)
	ds_write_b32 v48, v47
	v_mov_b32_e32 v47, v49
	s_branch .LBB43_13
.LBB43_18:                              ;   in Loop: Header=BB43_11 Depth=1
	s_or_b64 exec, exec, s[36:37]
.LBB43_19:                              ;   in Loop: Header=BB43_11 Depth=1
	s_or_b64 exec, exec, s[34:35]
	v_mov_b32_dpp v22, v47 row_shr:1 row_mask:0xf bank_mask:0xf
	v_min_i32_e32 v22, v22, v47
	s_waitcnt lgkmcnt(0)
	ds_read_u8 v23, v30 offset:8192
	v_mov_b32_dpp v26, v22 row_shr:2 row_mask:0xf bank_mask:0xf
	v_min_i32_e32 v22, v26, v22
	ds_bpermute_b32 v22, v34, v22
	s_waitcnt lgkmcnt(1)
	v_and_b32_e32 v23, 1, v23
	v_cmp_eq_u32_e32 vcc, 1, v23
	v_mov_b32_e32 v23, 0
	s_and_saveexec_b64 s[34:35], vcc
	s_cbranch_execz .LBB43_10
; %bb.20:                               ;   in Loop: Header=BB43_11 Depth=1
	v_add_u32_e32 v23, s40, v3
	v_ashrrev_i32_e32 v3, 31, v2
	v_lshl_add_u64 v[26:27], v[2:3], 2, s[22:23]
	global_store_dword v[26:27], v23, off
	v_mul_lo_u32 v23, s41, v2
	v_mul_lo_u32 v3, s42, v3
	v_mad_u64_u32 v[26:27], s[0:1], s42, v2, 0
	v_add3_u32 v27, v27, v3, v23
	v_lshlrev_b64 v[26:27], 2, v[26:27]
	v_lshl_add_u64 v[28:29], v[4:5], 0, v[26:27]
	v_lshl_add_u64 v[26:27], v[6:7], 0, v[26:27]
	s_and_saveexec_b64 s[0:1], s[28:29]
	s_cbranch_execz .LBB43_24
; %bb.21:                               ;   in Loop: Header=BB43_11 Depth=1
	s_and_b64 vcc, exec, s[26:27]
	s_cbranch_vccz .LBB43_51
; %bb.22:                               ;   in Loop: Header=BB43_11 Depth=1
	ds_read_b32 v3, v36
	v_lshl_add_u64 v[48:49], v[8:9], 2, v[28:29]
	s_waitcnt lgkmcnt(0)
	global_store_dword v[48:49], v3, off
	s_cbranch_execnz .LBB43_24
.LBB43_23:                              ;   in Loop: Header=BB43_11 Depth=1
	ds_read_b32 v3, v36
	s_waitcnt lgkmcnt(0)
	global_store_dword v[26:27], v3, off
.LBB43_24:                              ;   in Loop: Header=BB43_11 Depth=1
	s_or_b64 exec, exec, s[0:1]
	v_cndmask_b32_e64 v3, 0, 1, s[26:27]
	v_cmp_ne_u32_e64 s[0:1], 1, v3
	s_and_saveexec_b64 s[36:37], s[2:3]
	s_cbranch_execz .LBB43_28
; %bb.25:                               ;   in Loop: Header=BB43_11 Depth=1
	s_and_b64 vcc, exec, s[0:1]
	s_cbranch_vccnz .LBB43_52
; %bb.26:                               ;   in Loop: Header=BB43_11 Depth=1
	ds_read_b32 v3, v36 offset:16
	v_lshl_add_u64 v[48:49], v[10:11], 2, v[28:29]
	s_waitcnt lgkmcnt(0)
	global_store_dword v[48:49], v3, off
	s_cbranch_execnz .LBB43_28
.LBB43_27:                              ;   in Loop: Header=BB43_11 Depth=1
	ds_read_b32 v3, v36 offset:16
	s_waitcnt lgkmcnt(0)
	global_store_dword v[26:27], v3, off offset:16
.LBB43_28:                              ;   in Loop: Header=BB43_11 Depth=1
	s_or_b64 exec, exec, s[36:37]
	s_and_saveexec_b64 s[36:37], s[4:5]
	s_cbranch_execz .LBB43_32
; %bb.29:                               ;   in Loop: Header=BB43_11 Depth=1
	s_and_b64 vcc, exec, s[0:1]
	s_cbranch_vccnz .LBB43_53
; %bb.30:                               ;   in Loop: Header=BB43_11 Depth=1
	ds_read_b32 v3, v36 offset:32
	v_lshl_add_u64 v[48:49], v[12:13], 2, v[28:29]
	s_waitcnt lgkmcnt(0)
	global_store_dword v[48:49], v3, off
	s_cbranch_execnz .LBB43_32
.LBB43_31:                              ;   in Loop: Header=BB43_11 Depth=1
	ds_read_b32 v3, v36 offset:32
	s_waitcnt lgkmcnt(0)
	global_store_dword v[26:27], v3, off offset:32
.LBB43_32:                              ;   in Loop: Header=BB43_11 Depth=1
	s_or_b64 exec, exec, s[36:37]
	s_and_saveexec_b64 s[36:37], s[6:7]
	s_cbranch_execz .LBB43_36
; %bb.33:                               ;   in Loop: Header=BB43_11 Depth=1
	s_and_b64 vcc, exec, s[0:1]
	s_cbranch_vccnz .LBB43_54
; %bb.34:                               ;   in Loop: Header=BB43_11 Depth=1
	ds_read_b32 v3, v36 offset:48
	v_lshl_add_u64 v[48:49], v[14:15], 2, v[28:29]
	s_waitcnt lgkmcnt(0)
	global_store_dword v[48:49], v3, off
	s_cbranch_execnz .LBB43_36
.LBB43_35:                              ;   in Loop: Header=BB43_11 Depth=1
	ds_read_b32 v3, v36 offset:48
	s_waitcnt lgkmcnt(0)
	global_store_dword v[26:27], v3, off offset:48
.LBB43_36:                              ;   in Loop: Header=BB43_11 Depth=1
	s_or_b64 exec, exec, s[36:37]
	s_and_saveexec_b64 s[36:37], s[8:9]
	s_cbranch_execz .LBB43_40
; %bb.37:                               ;   in Loop: Header=BB43_11 Depth=1
	s_and_b64 vcc, exec, s[0:1]
	s_cbranch_vccnz .LBB43_55
; %bb.38:                               ;   in Loop: Header=BB43_11 Depth=1
	ds_read_b32 v3, v36 offset:64
	v_lshl_add_u64 v[48:49], v[16:17], 2, v[28:29]
	s_waitcnt lgkmcnt(0)
	global_store_dword v[48:49], v3, off
	s_cbranch_execnz .LBB43_40
.LBB43_39:                              ;   in Loop: Header=BB43_11 Depth=1
	ds_read_b32 v3, v36 offset:64
	s_waitcnt lgkmcnt(0)
	global_store_dword v[26:27], v3, off offset:64
.LBB43_40:                              ;   in Loop: Header=BB43_11 Depth=1
	s_or_b64 exec, exec, s[36:37]
	s_and_saveexec_b64 s[36:37], s[10:11]
	s_cbranch_execz .LBB43_44
; %bb.41:                               ;   in Loop: Header=BB43_11 Depth=1
	s_and_b64 vcc, exec, s[0:1]
	s_cbranch_vccnz .LBB43_56
; %bb.42:                               ;   in Loop: Header=BB43_11 Depth=1
	ds_read_b32 v3, v36 offset:80
	v_lshl_add_u64 v[48:49], v[18:19], 2, v[28:29]
	s_waitcnt lgkmcnt(0)
	global_store_dword v[48:49], v3, off
	s_cbranch_execnz .LBB43_44
.LBB43_43:                              ;   in Loop: Header=BB43_11 Depth=1
	ds_read_b32 v3, v36 offset:80
	s_waitcnt lgkmcnt(0)
	global_store_dword v[26:27], v3, off offset:80
.LBB43_44:                              ;   in Loop: Header=BB43_11 Depth=1
	s_or_b64 exec, exec, s[36:37]
	s_and_saveexec_b64 s[36:37], s[12:13]
	s_cbranch_execz .LBB43_48
; %bb.45:                               ;   in Loop: Header=BB43_11 Depth=1
	s_and_b64 vcc, exec, s[0:1]
	s_cbranch_vccnz .LBB43_57
; %bb.46:                               ;   in Loop: Header=BB43_11 Depth=1
	ds_read_b32 v3, v36 offset:96
	v_lshl_add_u64 v[48:49], v[20:21], 2, v[28:29]
	s_waitcnt lgkmcnt(0)
	global_store_dword v[48:49], v3, off
	s_cbranch_execnz .LBB43_48
.LBB43_47:                              ;   in Loop: Header=BB43_11 Depth=1
	ds_read_b32 v3, v36 offset:96
	s_waitcnt lgkmcnt(0)
	global_store_dword v[26:27], v3, off offset:96
.LBB43_48:                              ;   in Loop: Header=BB43_11 Depth=1
	s_or_b64 exec, exec, s[36:37]
	v_mov_b32_e32 v23, 1
	s_and_saveexec_b64 s[36:37], s[14:15]
	s_cbranch_execz .LBB43_9
; %bb.49:                               ;   in Loop: Header=BB43_11 Depth=1
	s_and_b64 vcc, exec, s[0:1]
	s_cbranch_vccnz .LBB43_58
; %bb.50:                               ;   in Loop: Header=BB43_11 Depth=1
	ds_read_b32 v3, v36 offset:112
	v_lshl_add_u64 v[28:29], v[24:25], 2, v[28:29]
	s_mov_b32 s38, 1
	s_waitcnt lgkmcnt(0)
	global_store_dword v[28:29], v3, off
	s_cbranch_execnz .LBB43_8
	s_branch .LBB43_59
.LBB43_51:                              ;   in Loop: Header=BB43_11 Depth=1
	s_branch .LBB43_23
.LBB43_52:                              ;   in Loop: Header=BB43_11 Depth=1
	s_branch .LBB43_27
.LBB43_53:                              ;   in Loop: Header=BB43_11 Depth=1
	s_branch .LBB43_31
.LBB43_54:                              ;   in Loop: Header=BB43_11 Depth=1
	s_branch .LBB43_35
.LBB43_55:                              ;   in Loop: Header=BB43_11 Depth=1
	s_branch .LBB43_39
.LBB43_56:                              ;   in Loop: Header=BB43_11 Depth=1
	s_branch .LBB43_43
.LBB43_57:                              ;   in Loop: Header=BB43_11 Depth=1
	s_branch .LBB43_47
.LBB43_58:                              ;   in Loop: Header=BB43_11 Depth=1
                                        ; implicit-def: $sgpr38
.LBB43_59:                              ;   in Loop: Header=BB43_11 Depth=1
	ds_read_b32 v3, v36 offset:112
	s_mov_b32 s38, 1
	s_waitcnt lgkmcnt(0)
	global_store_dword v[26:27], v3, off offset:112
	s_branch .LBB43_8
.LBB43_60:
	s_endpgm
	.section	.rodata,"a",@progbits
	.p2align	6, 0x0
	.amdhsa_kernel _ZN9rocsparseL44csr2gebsr_wavefront_per_row_multipass_kernelILi256ELi8ELi32ELi32EfEEv20rocsparse_direction_iiiiii21rocsparse_index_base_PKT3_PKiS7_S2_PS3_PiS9_
		.amdhsa_group_segment_fixed_size 8200
		.amdhsa_private_segment_fixed_size 0
		.amdhsa_kernarg_size 88
		.amdhsa_user_sgpr_count 2
		.amdhsa_user_sgpr_dispatch_ptr 0
		.amdhsa_user_sgpr_queue_ptr 0
		.amdhsa_user_sgpr_kernarg_segment_ptr 1
		.amdhsa_user_sgpr_dispatch_id 0
		.amdhsa_user_sgpr_kernarg_preload_length 0
		.amdhsa_user_sgpr_kernarg_preload_offset 0
		.amdhsa_user_sgpr_private_segment_size 0
		.amdhsa_uses_dynamic_stack 0
		.amdhsa_enable_private_segment 0
		.amdhsa_system_sgpr_workgroup_id_x 1
		.amdhsa_system_sgpr_workgroup_id_y 0
		.amdhsa_system_sgpr_workgroup_id_z 0
		.amdhsa_system_sgpr_workgroup_info 0
		.amdhsa_system_vgpr_workitem_id 0
		.amdhsa_next_free_vgpr 54
		.amdhsa_next_free_sgpr 43
		.amdhsa_accum_offset 56
		.amdhsa_reserve_vcc 1
		.amdhsa_float_round_mode_32 0
		.amdhsa_float_round_mode_16_64 0
		.amdhsa_float_denorm_mode_32 3
		.amdhsa_float_denorm_mode_16_64 3
		.amdhsa_dx10_clamp 1
		.amdhsa_ieee_mode 1
		.amdhsa_fp16_overflow 0
		.amdhsa_tg_split 0
		.amdhsa_exception_fp_ieee_invalid_op 0
		.amdhsa_exception_fp_denorm_src 0
		.amdhsa_exception_fp_ieee_div_zero 0
		.amdhsa_exception_fp_ieee_overflow 0
		.amdhsa_exception_fp_ieee_underflow 0
		.amdhsa_exception_fp_ieee_inexact 0
		.amdhsa_exception_int_div_zero 0
	.end_amdhsa_kernel
	.section	.text._ZN9rocsparseL44csr2gebsr_wavefront_per_row_multipass_kernelILi256ELi8ELi32ELi32EfEEv20rocsparse_direction_iiiiii21rocsparse_index_base_PKT3_PKiS7_S2_PS3_PiS9_,"axG",@progbits,_ZN9rocsparseL44csr2gebsr_wavefront_per_row_multipass_kernelILi256ELi8ELi32ELi32EfEEv20rocsparse_direction_iiiiii21rocsparse_index_base_PKT3_PKiS7_S2_PS3_PiS9_,comdat
.Lfunc_end43:
	.size	_ZN9rocsparseL44csr2gebsr_wavefront_per_row_multipass_kernelILi256ELi8ELi32ELi32EfEEv20rocsparse_direction_iiiiii21rocsparse_index_base_PKT3_PKiS7_S2_PS3_PiS9_, .Lfunc_end43-_ZN9rocsparseL44csr2gebsr_wavefront_per_row_multipass_kernelILi256ELi8ELi32ELi32EfEEv20rocsparse_direction_iiiiii21rocsparse_index_base_PKT3_PKiS7_S2_PS3_PiS9_
                                        ; -- End function
	.section	.AMDGPU.csdata,"",@progbits
; Kernel info:
; codeLenInByte = 2044
; NumSgprs: 49
; NumVgprs: 54
; NumAgprs: 0
; TotalNumVgprs: 54
; ScratchSize: 0
; MemoryBound: 0
; FloatMode: 240
; IeeeMode: 1
; LDSByteSize: 8200 bytes/workgroup (compile time only)
; SGPRBlocks: 6
; VGPRBlocks: 6
; NumSGPRsForWavesPerEU: 49
; NumVGPRsForWavesPerEU: 54
; AccumOffset: 56
; Occupancy: 7
; WaveLimiterHint : 0
; COMPUTE_PGM_RSRC2:SCRATCH_EN: 0
; COMPUTE_PGM_RSRC2:USER_SGPR: 2
; COMPUTE_PGM_RSRC2:TRAP_HANDLER: 0
; COMPUTE_PGM_RSRC2:TGID_X_EN: 1
; COMPUTE_PGM_RSRC2:TGID_Y_EN: 0
; COMPUTE_PGM_RSRC2:TGID_Z_EN: 0
; COMPUTE_PGM_RSRC2:TIDIG_COMP_CNT: 0
; COMPUTE_PGM_RSRC3_GFX90A:ACCUM_OFFSET: 13
; COMPUTE_PGM_RSRC3_GFX90A:TG_SPLIT: 0
	.section	.text._ZN9rocsparseL44csr2gebsr_wavefront_per_row_multipass_kernelILi256ELi8ELi64ELi64EfEEv20rocsparse_direction_iiiiii21rocsparse_index_base_PKT3_PKiS7_S2_PS3_PiS9_,"axG",@progbits,_ZN9rocsparseL44csr2gebsr_wavefront_per_row_multipass_kernelILi256ELi8ELi64ELi64EfEEv20rocsparse_direction_iiiiii21rocsparse_index_base_PKT3_PKiS7_S2_PS3_PiS9_,comdat
	.globl	_ZN9rocsparseL44csr2gebsr_wavefront_per_row_multipass_kernelILi256ELi8ELi64ELi64EfEEv20rocsparse_direction_iiiiii21rocsparse_index_base_PKT3_PKiS7_S2_PS3_PiS9_ ; -- Begin function _ZN9rocsparseL44csr2gebsr_wavefront_per_row_multipass_kernelILi256ELi8ELi64ELi64EfEEv20rocsparse_direction_iiiiii21rocsparse_index_base_PKT3_PKiS7_S2_PS3_PiS9_
	.p2align	8
	.type	_ZN9rocsparseL44csr2gebsr_wavefront_per_row_multipass_kernelILi256ELi8ELi64ELi64EfEEv20rocsparse_direction_iiiiii21rocsparse_index_base_PKT3_PKiS7_S2_PS3_PiS9_,@function
_ZN9rocsparseL44csr2gebsr_wavefront_per_row_multipass_kernelILi256ELi8ELi64ELi64EfEEv20rocsparse_direction_iiiiii21rocsparse_index_base_PKT3_PKiS7_S2_PS3_PiS9_: ; @_ZN9rocsparseL44csr2gebsr_wavefront_per_row_multipass_kernelILi256ELi8ELi64ELi64EfEEv20rocsparse_direction_iiiiii21rocsparse_index_base_PKT3_PKiS7_S2_PS3_PiS9_
; %bb.0:
	s_load_dwordx2 s[4:5], s[0:1], 0x0
	s_load_dwordx4 s[16:19], s[0:1], 0xc
	s_load_dword s33, s[0:1], 0x1c
	s_load_dwordx2 s[6:7], s[0:1], 0x28
	v_lshrrev_b32_e32 v30, 6, v0
	v_bfe_u32 v6, v0, 3, 3
	v_lshl_or_b32 v4, s2, 2, v30
	s_waitcnt lgkmcnt(0)
	v_mad_u64_u32 v[2:3], s[2:3], v4, s18, v[6:7]
	v_cmp_gt_i32_e64 s[2:3], s5, v2
	v_cmp_gt_i32_e32 vcc, s18, v6
	s_and_b64 s[2:3], vcc, s[2:3]
	v_mov_b32_e32 v31, 0
	v_mov_b32_e32 v24, 0
	s_and_saveexec_b64 s[8:9], s[2:3]
	s_cbranch_execz .LBB44_2
; %bb.1:
	v_ashrrev_i32_e32 v3, 31, v2
	v_lshl_add_u64 v[8:9], v[2:3], 2, s[6:7]
	global_load_dword v1, v[8:9], off
	s_waitcnt vmcnt(0)
	v_subrev_u32_e32 v24, s33, v1
.LBB44_2:
	s_or_b64 exec, exec, s[8:9]
	s_and_saveexec_b64 s[8:9], s[2:3]
	s_cbranch_execz .LBB44_4
; %bb.3:
	v_ashrrev_i32_e32 v3, 31, v2
	v_lshl_add_u64 v[2:3], v[2:3], 2, s[6:7]
	global_load_dword v1, v[2:3], off offset:4
	s_waitcnt vmcnt(0)
	v_subrev_u32_e32 v31, s33, v1
.LBB44_4:
	s_or_b64 exec, exec, s[8:9]
	s_load_dword s40, s[0:1], 0x38
	v_cmp_gt_i32_e64 s[2:3], s16, v4
	v_mov_b32_e32 v2, 0
	s_and_saveexec_b64 s[6:7], s[2:3]
	s_cbranch_execz .LBB44_6
; %bb.5:
	s_load_dwordx2 s[2:3], s[0:1], 0x48
	v_ashrrev_i32_e32 v5, 31, v4
	s_waitcnt lgkmcnt(0)
	v_lshl_add_u64 v[2:3], v[4:5], 2, s[2:3]
	global_load_dword v1, v[2:3], off
	s_waitcnt vmcnt(0)
	v_subrev_u32_e32 v2, s40, v1
.LBB44_6:
	s_or_b64 exec, exec, s[6:7]
	s_cmp_lt_i32 s17, 1
	s_cbranch_scc1 .LBB44_60
; %bb.7:
	s_load_dwordx2 s[20:21], s[0:1], 0x20
	s_load_dwordx2 s[22:23], s[0:1], 0x50
	;; [unrolled: 1-line block ×4, first 2 shown]
	v_lshlrev_b32_e32 v1, 9, v30
	v_lshl_or_b32 v32, v6, 6, v1
	v_mbcnt_lo_u32_b32 v1, -1, 0
	v_mbcnt_hi_u32_b32 v1, -1, v1
	v_lshlrev_b32_e32 v4, 2, v6
	v_mul_lo_u32 v6, v6, s19
	v_and_b32_e32 v0, 7, v0
	v_lshlrev_b32_e32 v3, 2, v1
	s_cmp_lg_u32 s4, 0
	v_mov_b32_e32 v1, 0
	v_ashrrev_i32_e32 v7, 31, v6
	s_cselect_b64 s[26:27], -1, 0
	s_ashr_i32 s16, s19, 31
	s_waitcnt lgkmcnt(0)
	v_lshl_add_u64 v[6:7], v[6:7], 2, s[2:3]
	v_lshlrev_b32_e32 v8, 2, v0
	v_mov_b32_e32 v9, v1
	v_or_b32_e32 v10, v32, v0
	s_mul_hi_u32 s0, s19, s18
	s_mul_i32 s1, s16, s18
	s_mul_i32 s42, s19, s18
	v_lshl_add_u64 v[6:7], v[6:7], 0, v[8:9]
	v_mul_lo_u32 v8, v0, s18
	s_lshl_b32 s18, s18, 3
	v_or_b32_e32 v34, 28, v3
	v_mov_b32_e32 v5, v1
	v_or_b32_e32 v35, 0xfc, v3
	v_lshlrev_b32_e32 v36, 2, v10
	v_or_b32_e32 v3, 8, v0
	v_add_u32_e32 v10, s18, v8
	v_lshl_add_u64 v[4:5], s[2:3], 0, v[4:5]
	v_cmp_gt_u32_e64 s[2:3], s19, v3
	v_or_b32_e32 v3, 16, v0
	v_add_u32_e32 v12, s18, v10
	v_cmp_gt_u32_e64 s[4:5], s19, v3
	v_or_b32_e32 v3, 24, v0
	v_add_u32_e32 v14, s18, v12
	;; [unrolled: 3-line block ×6, first 2 shown]
	s_abs_i32 s18, s19
	v_cmp_gt_u32_e64 s[14:15], s19, v3
	v_cvt_f32_u32_e32 v3, s18
	s_add_i32 s41, s0, s1
	v_cmp_gt_u32_e64 s[0:1], s19, v0
	s_and_b64 s[28:29], s[0:1], vcc
	v_rcp_iflag_f32_e32 v3, v3
	s_sub_i32 s0, 0, s18
	v_mov_b32_e32 v33, 0
	v_mov_b32_e32 v11, v1
	v_mul_f32_e32 v3, 0x4f7ffffe, v3
	v_cvt_u32_f32_e32 v3, v3
	v_mov_b32_e32 v13, v1
	v_mov_b32_e32 v15, v1
	;; [unrolled: 1-line block ×3, first 2 shown]
	v_mul_lo_u32 v25, s0, v3
	v_mul_hi_u32 v25, v3, v25
	v_mov_b32_e32 v19, v1
	v_mov_b32_e32 v21, v1
	;; [unrolled: 1-line block ×3, first 2 shown]
	v_or_b32_e32 v37, 32, v36
	v_or_b32_e32 v38, 64, v36
	;; [unrolled: 1-line block ×7, first 2 shown]
	s_and_b64 s[2:3], vcc, s[2:3]
	s_and_b64 s[4:5], vcc, s[4:5]
	s_and_b64 s[6:7], vcc, s[6:7]
	s_and_b64 s[8:9], vcc, s[8:9]
	s_and_b64 s[10:11], vcc, s[10:11]
	s_and_b64 s[12:13], vcc, s[12:13]
	s_and_b64 s[14:15], vcc, s[14:15]
	v_add_u32_e32 v44, v3, v25
	s_mov_b64 s[30:31], 0
	v_mov_b32_e32 v45, 1
	v_mov_b32_e32 v3, 0
	s_branch .LBB44_11
.LBB44_8:                               ;   in Loop: Header=BB44_11 Depth=1
	v_mov_b32_e32 v25, s38
.LBB44_9:                               ;   in Loop: Header=BB44_11 Depth=1
	s_or_b64 exec, exec, s[36:37]
.LBB44_10:                              ;   in Loop: Header=BB44_11 Depth=1
	s_or_b64 exec, exec, s[34:35]
	v_mov_b32_dpp v3, v46 row_shr:1 row_mask:0xf bank_mask:0xf
	v_min_i32_e32 v3, v3, v46
	v_add_u32_e32 v2, v25, v2
	s_waitcnt lgkmcnt(0)
	v_mov_b32_dpp v26, v3 row_shr:2 row_mask:0xf bank_mask:0xf
	v_min_i32_e32 v3, v26, v3
	s_nop 1
	v_mov_b32_dpp v26, v3 row_shr:4 row_mask:0xf bank_mask:0xe
	v_min_i32_e32 v3, v26, v3
	s_nop 1
	;; [unrolled: 3-line block ×3, first 2 shown]
	v_mov_b32_dpp v26, v3 row_bcast:15 row_mask:0xa bank_mask:0xf
	v_min_i32_e32 v3, v26, v3
	s_nop 1
	v_mov_b32_dpp v26, v3 row_bcast:31 row_mask:0xc bank_mask:0xf
	v_min_i32_e32 v3, v26, v3
	ds_bpermute_b32 v3, v35, v3
	s_waitcnt lgkmcnt(0)
	v_cmp_le_i32_e32 vcc, s17, v3
	s_or_b64 s[30:31], vcc, s[30:31]
	s_andn2_b64 exec, exec, s[30:31]
	s_cbranch_execz .LBB44_60
.LBB44_11:                              ; =>This Loop Header: Depth=1
                                        ;     Child Loop BB44_14 Depth 2
	v_add_u32_e32 v28, v24, v0
	v_cmp_lt_i32_e32 vcc, v28, v31
	v_mov_b32_e32 v46, s17
	v_mov_b32_e32 v47, v31
	ds_write_b8 v30, v33 offset:8192
	ds_write_b32 v36, v1
	ds_write_b32 v37, v1
	;; [unrolled: 1-line block ×8, first 2 shown]
	s_waitcnt lgkmcnt(0)
	s_and_saveexec_b64 s[34:35], vcc
	s_cbranch_execz .LBB44_19
; %bb.12:                               ;   in Loop: Header=BB44_11 Depth=1
	v_ashrrev_i32_e32 v25, 31, v24
	v_lshl_add_u64 v[24:25], v[0:1], 0, v[24:25]
	v_lshlrev_b64 v[26:27], 2, v[24:25]
	v_mul_lo_u32 v29, v3, s19
	v_lshl_add_u64 v[24:25], s[24:25], 0, v[26:27]
	v_lshl_add_u64 v[26:27], s[20:21], 0, v[26:27]
	s_mov_b64 s[36:37], 0
	v_mov_b32_e32 v46, s17
	v_mov_b32_e32 v47, v31
	s_branch .LBB44_14
.LBB44_13:                              ;   in Loop: Header=BB44_14 Depth=2
	s_or_b64 exec, exec, s[0:1]
	v_add_u32_e32 v28, 8, v28
	v_cmp_ge_i32_e64 s[0:1], v28, v31
	s_xor_b64 s[38:39], vcc, -1
	s_or_b64 s[0:1], s[38:39], s[0:1]
	s_and_b64 s[0:1], exec, s[0:1]
	v_lshl_add_u64 v[24:25], v[24:25], 0, 32
	s_or_b64 s[36:37], s[0:1], s[36:37]
	v_lshl_add_u64 v[26:27], v[26:27], 0, 32
	s_andn2_b64 exec, exec, s[36:37]
	s_cbranch_execz .LBB44_18
.LBB44_14:                              ;   Parent Loop BB44_11 Depth=1
                                        ; =>  This Inner Loop Header: Depth=2
	global_load_dword v48, v[24:25], off
	s_waitcnt vmcnt(0)
	v_subrev_u32_e32 v48, s33, v48
	v_sub_u32_e32 v50, 0, v48
	v_max_i32_e32 v50, v48, v50
	v_mul_hi_u32 v51, v50, v44
	v_mul_lo_u32 v52, v51, s18
	v_sub_u32_e32 v50, v50, v52
	v_add_u32_e32 v53, 1, v51
	v_cmp_le_u32_e32 vcc, s18, v50
	v_subrev_u32_e32 v52, s18, v50
	v_ashrrev_i32_e32 v49, 31, v48
	v_cndmask_b32_e32 v51, v51, v53, vcc
	v_cndmask_b32_e32 v50, v50, v52, vcc
	v_add_u32_e32 v52, 1, v51
	v_cmp_le_u32_e32 vcc, s18, v50
	v_xor_b32_e32 v49, s16, v49
	s_nop 0
	v_cndmask_b32_e32 v50, v51, v52, vcc
	v_xor_b32_e32 v50, v50, v49
	v_sub_u32_e32 v50, v50, v49
	v_cmp_eq_u32_e32 vcc, v50, v3
	v_cmp_ne_u32_e64 s[0:1], v50, v3
	v_mov_b32_e32 v49, v47
	s_and_saveexec_b64 s[38:39], s[0:1]
	s_xor_b64 s[0:1], exec, s[38:39]
; %bb.15:                               ;   in Loop: Header=BB44_14 Depth=2
	v_min_i32_e32 v46, v50, v46
                                        ; implicit-def: $vgpr48
                                        ; implicit-def: $vgpr49
; %bb.16:                               ;   in Loop: Header=BB44_14 Depth=2
	s_or_saveexec_b64 s[0:1], s[0:1]
	v_mov_b32_e32 v47, v28
	s_xor_b64 exec, exec, s[0:1]
	s_cbranch_execz .LBB44_13
; %bb.17:                               ;   in Loop: Header=BB44_14 Depth=2
	global_load_dword v47, v[26:27], off
	v_sub_u32_e32 v48, v48, v29
	v_add_lshl_u32 v48, v32, v48, 2
	ds_write_b8 v30, v45 offset:8192
	s_waitcnt vmcnt(0)
	ds_write_b32 v48, v47
	v_mov_b32_e32 v47, v49
	s_branch .LBB44_13
.LBB44_18:                              ;   in Loop: Header=BB44_11 Depth=1
	s_or_b64 exec, exec, s[36:37]
.LBB44_19:                              ;   in Loop: Header=BB44_11 Depth=1
	s_or_b64 exec, exec, s[34:35]
	v_mov_b32_dpp v24, v47 row_shr:1 row_mask:0xf bank_mask:0xf
	v_min_i32_e32 v24, v24, v47
	s_waitcnt lgkmcnt(0)
	s_nop 0
	v_mov_b32_dpp v25, v24 row_shr:2 row_mask:0xf bank_mask:0xf
	v_min_i32_e32 v24, v25, v24
	ds_read_u8 v25, v30 offset:8192
	s_waitcnt lgkmcnt(0)
	v_and_b32_e32 v25, 1, v25
	v_mov_b32_dpp v26, v24 row_shr:4 row_mask:0xf bank_mask:0xe
	v_min_i32_e32 v24, v26, v24
	ds_bpermute_b32 v24, v34, v24
	v_cmp_eq_u32_e32 vcc, 1, v25
	v_mov_b32_e32 v25, 0
	s_and_saveexec_b64 s[34:35], vcc
	s_cbranch_execz .LBB44_10
; %bb.20:                               ;   in Loop: Header=BB44_11 Depth=1
	v_add_u32_e32 v25, s40, v3
	v_ashrrev_i32_e32 v3, 31, v2
	v_lshl_add_u64 v[26:27], v[2:3], 2, s[22:23]
	global_store_dword v[26:27], v25, off
	v_mul_lo_u32 v25, s41, v2
	v_mul_lo_u32 v3, s42, v3
	v_mad_u64_u32 v[26:27], s[0:1], s42, v2, 0
	v_add3_u32 v27, v27, v3, v25
	v_lshlrev_b64 v[26:27], 2, v[26:27]
	v_lshl_add_u64 v[28:29], v[4:5], 0, v[26:27]
	v_lshl_add_u64 v[26:27], v[6:7], 0, v[26:27]
	s_and_saveexec_b64 s[0:1], s[28:29]
	s_cbranch_execz .LBB44_24
; %bb.21:                               ;   in Loop: Header=BB44_11 Depth=1
	s_and_b64 vcc, exec, s[26:27]
	s_cbranch_vccz .LBB44_51
; %bb.22:                               ;   in Loop: Header=BB44_11 Depth=1
	ds_read_b32 v3, v36
	v_lshl_add_u64 v[48:49], v[8:9], 2, v[28:29]
	s_waitcnt lgkmcnt(0)
	global_store_dword v[48:49], v3, off
	s_cbranch_execnz .LBB44_24
.LBB44_23:                              ;   in Loop: Header=BB44_11 Depth=1
	ds_read_b32 v3, v36
	s_waitcnt lgkmcnt(0)
	global_store_dword v[26:27], v3, off
.LBB44_24:                              ;   in Loop: Header=BB44_11 Depth=1
	s_or_b64 exec, exec, s[0:1]
	v_cndmask_b32_e64 v3, 0, 1, s[26:27]
	v_cmp_ne_u32_e64 s[0:1], 1, v3
	s_and_saveexec_b64 s[36:37], s[2:3]
	s_cbranch_execz .LBB44_28
; %bb.25:                               ;   in Loop: Header=BB44_11 Depth=1
	s_and_b64 vcc, exec, s[0:1]
	s_cbranch_vccnz .LBB44_52
; %bb.26:                               ;   in Loop: Header=BB44_11 Depth=1
	ds_read_b32 v3, v36 offset:32
	v_lshl_add_u64 v[48:49], v[10:11], 2, v[28:29]
	s_waitcnt lgkmcnt(0)
	global_store_dword v[48:49], v3, off
	s_cbranch_execnz .LBB44_28
.LBB44_27:                              ;   in Loop: Header=BB44_11 Depth=1
	ds_read_b32 v3, v36 offset:32
	s_waitcnt lgkmcnt(0)
	global_store_dword v[26:27], v3, off offset:32
.LBB44_28:                              ;   in Loop: Header=BB44_11 Depth=1
	s_or_b64 exec, exec, s[36:37]
	s_and_saveexec_b64 s[36:37], s[4:5]
	s_cbranch_execz .LBB44_32
; %bb.29:                               ;   in Loop: Header=BB44_11 Depth=1
	s_and_b64 vcc, exec, s[0:1]
	s_cbranch_vccnz .LBB44_53
; %bb.30:                               ;   in Loop: Header=BB44_11 Depth=1
	ds_read_b32 v3, v36 offset:64
	v_lshl_add_u64 v[48:49], v[12:13], 2, v[28:29]
	s_waitcnt lgkmcnt(0)
	global_store_dword v[48:49], v3, off
	s_cbranch_execnz .LBB44_32
.LBB44_31:                              ;   in Loop: Header=BB44_11 Depth=1
	ds_read_b32 v3, v36 offset:64
	s_waitcnt lgkmcnt(0)
	global_store_dword v[26:27], v3, off offset:64
.LBB44_32:                              ;   in Loop: Header=BB44_11 Depth=1
	s_or_b64 exec, exec, s[36:37]
	s_and_saveexec_b64 s[36:37], s[6:7]
	s_cbranch_execz .LBB44_36
; %bb.33:                               ;   in Loop: Header=BB44_11 Depth=1
	s_and_b64 vcc, exec, s[0:1]
	s_cbranch_vccnz .LBB44_54
; %bb.34:                               ;   in Loop: Header=BB44_11 Depth=1
	ds_read_b32 v3, v36 offset:96
	v_lshl_add_u64 v[48:49], v[14:15], 2, v[28:29]
	s_waitcnt lgkmcnt(0)
	global_store_dword v[48:49], v3, off
	s_cbranch_execnz .LBB44_36
.LBB44_35:                              ;   in Loop: Header=BB44_11 Depth=1
	ds_read_b32 v3, v36 offset:96
	s_waitcnt lgkmcnt(0)
	global_store_dword v[26:27], v3, off offset:96
.LBB44_36:                              ;   in Loop: Header=BB44_11 Depth=1
	s_or_b64 exec, exec, s[36:37]
	s_and_saveexec_b64 s[36:37], s[8:9]
	s_cbranch_execz .LBB44_40
; %bb.37:                               ;   in Loop: Header=BB44_11 Depth=1
	s_and_b64 vcc, exec, s[0:1]
	s_cbranch_vccnz .LBB44_55
; %bb.38:                               ;   in Loop: Header=BB44_11 Depth=1
	ds_read_b32 v3, v36 offset:128
	v_lshl_add_u64 v[48:49], v[16:17], 2, v[28:29]
	s_waitcnt lgkmcnt(0)
	global_store_dword v[48:49], v3, off
	s_cbranch_execnz .LBB44_40
.LBB44_39:                              ;   in Loop: Header=BB44_11 Depth=1
	ds_read_b32 v3, v36 offset:128
	s_waitcnt lgkmcnt(0)
	global_store_dword v[26:27], v3, off offset:128
.LBB44_40:                              ;   in Loop: Header=BB44_11 Depth=1
	s_or_b64 exec, exec, s[36:37]
	s_and_saveexec_b64 s[36:37], s[10:11]
	s_cbranch_execz .LBB44_44
; %bb.41:                               ;   in Loop: Header=BB44_11 Depth=1
	s_and_b64 vcc, exec, s[0:1]
	s_cbranch_vccnz .LBB44_56
; %bb.42:                               ;   in Loop: Header=BB44_11 Depth=1
	ds_read_b32 v3, v36 offset:160
	v_lshl_add_u64 v[48:49], v[18:19], 2, v[28:29]
	s_waitcnt lgkmcnt(0)
	global_store_dword v[48:49], v3, off
	s_cbranch_execnz .LBB44_44
.LBB44_43:                              ;   in Loop: Header=BB44_11 Depth=1
	ds_read_b32 v3, v36 offset:160
	s_waitcnt lgkmcnt(0)
	global_store_dword v[26:27], v3, off offset:160
.LBB44_44:                              ;   in Loop: Header=BB44_11 Depth=1
	s_or_b64 exec, exec, s[36:37]
	s_and_saveexec_b64 s[36:37], s[12:13]
	s_cbranch_execz .LBB44_48
; %bb.45:                               ;   in Loop: Header=BB44_11 Depth=1
	s_and_b64 vcc, exec, s[0:1]
	s_cbranch_vccnz .LBB44_57
; %bb.46:                               ;   in Loop: Header=BB44_11 Depth=1
	ds_read_b32 v3, v36 offset:192
	v_lshl_add_u64 v[48:49], v[20:21], 2, v[28:29]
	s_waitcnt lgkmcnt(0)
	global_store_dword v[48:49], v3, off
	s_cbranch_execnz .LBB44_48
.LBB44_47:                              ;   in Loop: Header=BB44_11 Depth=1
	ds_read_b32 v3, v36 offset:192
	s_waitcnt lgkmcnt(0)
	global_store_dword v[26:27], v3, off offset:192
.LBB44_48:                              ;   in Loop: Header=BB44_11 Depth=1
	s_or_b64 exec, exec, s[36:37]
	v_mov_b32_e32 v25, 1
	s_and_saveexec_b64 s[36:37], s[14:15]
	s_cbranch_execz .LBB44_9
; %bb.49:                               ;   in Loop: Header=BB44_11 Depth=1
	s_and_b64 vcc, exec, s[0:1]
	s_cbranch_vccnz .LBB44_58
; %bb.50:                               ;   in Loop: Header=BB44_11 Depth=1
	ds_read_b32 v3, v36 offset:224
	v_lshl_add_u64 v[28:29], v[22:23], 2, v[28:29]
	s_mov_b32 s38, 1
	s_waitcnt lgkmcnt(0)
	global_store_dword v[28:29], v3, off
	s_cbranch_execnz .LBB44_8
	s_branch .LBB44_59
.LBB44_51:                              ;   in Loop: Header=BB44_11 Depth=1
	s_branch .LBB44_23
.LBB44_52:                              ;   in Loop: Header=BB44_11 Depth=1
	s_branch .LBB44_27
.LBB44_53:                              ;   in Loop: Header=BB44_11 Depth=1
	s_branch .LBB44_31
.LBB44_54:                              ;   in Loop: Header=BB44_11 Depth=1
	s_branch .LBB44_35
.LBB44_55:                              ;   in Loop: Header=BB44_11 Depth=1
	s_branch .LBB44_39
.LBB44_56:                              ;   in Loop: Header=BB44_11 Depth=1
	s_branch .LBB44_43
.LBB44_57:                              ;   in Loop: Header=BB44_11 Depth=1
	s_branch .LBB44_47
.LBB44_58:                              ;   in Loop: Header=BB44_11 Depth=1
                                        ; implicit-def: $sgpr38
.LBB44_59:                              ;   in Loop: Header=BB44_11 Depth=1
	ds_read_b32 v3, v36 offset:224
	s_mov_b32 s38, 1
	s_waitcnt lgkmcnt(0)
	global_store_dword v[26:27], v3, off offset:224
	s_branch .LBB44_8
.LBB44_60:
	s_endpgm
	.section	.rodata,"a",@progbits
	.p2align	6, 0x0
	.amdhsa_kernel _ZN9rocsparseL44csr2gebsr_wavefront_per_row_multipass_kernelILi256ELi8ELi64ELi64EfEEv20rocsparse_direction_iiiiii21rocsparse_index_base_PKT3_PKiS7_S2_PS3_PiS9_
		.amdhsa_group_segment_fixed_size 8196
		.amdhsa_private_segment_fixed_size 0
		.amdhsa_kernarg_size 88
		.amdhsa_user_sgpr_count 2
		.amdhsa_user_sgpr_dispatch_ptr 0
		.amdhsa_user_sgpr_queue_ptr 0
		.amdhsa_user_sgpr_kernarg_segment_ptr 1
		.amdhsa_user_sgpr_dispatch_id 0
		.amdhsa_user_sgpr_kernarg_preload_length 0
		.amdhsa_user_sgpr_kernarg_preload_offset 0
		.amdhsa_user_sgpr_private_segment_size 0
		.amdhsa_uses_dynamic_stack 0
		.amdhsa_enable_private_segment 0
		.amdhsa_system_sgpr_workgroup_id_x 1
		.amdhsa_system_sgpr_workgroup_id_y 0
		.amdhsa_system_sgpr_workgroup_id_z 0
		.amdhsa_system_sgpr_workgroup_info 0
		.amdhsa_system_vgpr_workitem_id 0
		.amdhsa_next_free_vgpr 54
		.amdhsa_next_free_sgpr 43
		.amdhsa_accum_offset 56
		.amdhsa_reserve_vcc 1
		.amdhsa_float_round_mode_32 0
		.amdhsa_float_round_mode_16_64 0
		.amdhsa_float_denorm_mode_32 3
		.amdhsa_float_denorm_mode_16_64 3
		.amdhsa_dx10_clamp 1
		.amdhsa_ieee_mode 1
		.amdhsa_fp16_overflow 0
		.amdhsa_tg_split 0
		.amdhsa_exception_fp_ieee_invalid_op 0
		.amdhsa_exception_fp_denorm_src 0
		.amdhsa_exception_fp_ieee_div_zero 0
		.amdhsa_exception_fp_ieee_overflow 0
		.amdhsa_exception_fp_ieee_underflow 0
		.amdhsa_exception_fp_ieee_inexact 0
		.amdhsa_exception_int_div_zero 0
	.end_amdhsa_kernel
	.section	.text._ZN9rocsparseL44csr2gebsr_wavefront_per_row_multipass_kernelILi256ELi8ELi64ELi64EfEEv20rocsparse_direction_iiiiii21rocsparse_index_base_PKT3_PKiS7_S2_PS3_PiS9_,"axG",@progbits,_ZN9rocsparseL44csr2gebsr_wavefront_per_row_multipass_kernelILi256ELi8ELi64ELi64EfEEv20rocsparse_direction_iiiiii21rocsparse_index_base_PKT3_PKiS7_S2_PS3_PiS9_,comdat
.Lfunc_end44:
	.size	_ZN9rocsparseL44csr2gebsr_wavefront_per_row_multipass_kernelILi256ELi8ELi64ELi64EfEEv20rocsparse_direction_iiiiii21rocsparse_index_base_PKT3_PKiS7_S2_PS3_PiS9_, .Lfunc_end44-_ZN9rocsparseL44csr2gebsr_wavefront_per_row_multipass_kernelILi256ELi8ELi64ELi64EfEEv20rocsparse_direction_iiiiii21rocsparse_index_base_PKT3_PKiS7_S2_PS3_PiS9_
                                        ; -- End function
	.section	.AMDGPU.csdata,"",@progbits
; Kernel info:
; codeLenInByte = 2084
; NumSgprs: 49
; NumVgprs: 54
; NumAgprs: 0
; TotalNumVgprs: 54
; ScratchSize: 0
; MemoryBound: 0
; FloatMode: 240
; IeeeMode: 1
; LDSByteSize: 8196 bytes/workgroup (compile time only)
; SGPRBlocks: 6
; VGPRBlocks: 6
; NumSGPRsForWavesPerEU: 49
; NumVGPRsForWavesPerEU: 54
; AccumOffset: 56
; Occupancy: 7
; WaveLimiterHint : 0
; COMPUTE_PGM_RSRC2:SCRATCH_EN: 0
; COMPUTE_PGM_RSRC2:USER_SGPR: 2
; COMPUTE_PGM_RSRC2:TRAP_HANDLER: 0
; COMPUTE_PGM_RSRC2:TGID_X_EN: 1
; COMPUTE_PGM_RSRC2:TGID_Y_EN: 0
; COMPUTE_PGM_RSRC2:TGID_Z_EN: 0
; COMPUTE_PGM_RSRC2:TIDIG_COMP_CNT: 0
; COMPUTE_PGM_RSRC3_GFX90A:ACCUM_OFFSET: 13
; COMPUTE_PGM_RSRC3_GFX90A:TG_SPLIT: 0
	.section	.text._ZN9rocsparseL44csr2gebsr_wavefront_per_row_multipass_kernelILi128ELi8ELi64ELi32EfEEv20rocsparse_direction_iiiiii21rocsparse_index_base_PKT3_PKiS7_S2_PS3_PiS9_,"axG",@progbits,_ZN9rocsparseL44csr2gebsr_wavefront_per_row_multipass_kernelILi128ELi8ELi64ELi32EfEEv20rocsparse_direction_iiiiii21rocsparse_index_base_PKT3_PKiS7_S2_PS3_PiS9_,comdat
	.globl	_ZN9rocsparseL44csr2gebsr_wavefront_per_row_multipass_kernelILi128ELi8ELi64ELi32EfEEv20rocsparse_direction_iiiiii21rocsparse_index_base_PKT3_PKiS7_S2_PS3_PiS9_ ; -- Begin function _ZN9rocsparseL44csr2gebsr_wavefront_per_row_multipass_kernelILi128ELi8ELi64ELi32EfEEv20rocsparse_direction_iiiiii21rocsparse_index_base_PKT3_PKiS7_S2_PS3_PiS9_
	.p2align	8
	.type	_ZN9rocsparseL44csr2gebsr_wavefront_per_row_multipass_kernelILi128ELi8ELi64ELi32EfEEv20rocsparse_direction_iiiiii21rocsparse_index_base_PKT3_PKiS7_S2_PS3_PiS9_,@function
_ZN9rocsparseL44csr2gebsr_wavefront_per_row_multipass_kernelILi128ELi8ELi64ELi32EfEEv20rocsparse_direction_iiiiii21rocsparse_index_base_PKT3_PKiS7_S2_PS3_PiS9_: ; @_ZN9rocsparseL44csr2gebsr_wavefront_per_row_multipass_kernelILi128ELi8ELi64ELi32EfEEv20rocsparse_direction_iiiiii21rocsparse_index_base_PKT3_PKiS7_S2_PS3_PiS9_
; %bb.0:
	s_load_dwordx2 s[4:5], s[0:1], 0x0
	s_load_dwordx4 s[36:39], s[0:1], 0xc
	s_load_dword s33, s[0:1], 0x1c
	s_load_dwordx2 s[6:7], s[0:1], 0x28
	v_lshrrev_b32_e32 v46, 5, v0
	v_bfe_u32 v6, v0, 2, 3
	v_lshl_or_b32 v4, s2, 2, v46
	s_waitcnt lgkmcnt(0)
	v_mad_u64_u32 v[2:3], s[2:3], v4, s38, v[6:7]
	v_cmp_gt_i32_e64 s[2:3], s5, v2
	v_cmp_gt_i32_e32 vcc, s38, v6
	s_and_b64 s[2:3], vcc, s[2:3]
	v_mov_b32_e32 v47, 0
	v_mov_b32_e32 v22, 0
	s_and_saveexec_b64 s[8:9], s[2:3]
	s_cbranch_execz .LBB45_2
; %bb.1:
	v_ashrrev_i32_e32 v3, 31, v2
	v_lshl_add_u64 v[8:9], v[2:3], 2, s[6:7]
	global_load_dword v1, v[8:9], off
	s_waitcnt vmcnt(0)
	v_subrev_u32_e32 v22, s33, v1
.LBB45_2:
	s_or_b64 exec, exec, s[8:9]
	s_and_saveexec_b64 s[8:9], s[2:3]
	s_cbranch_execz .LBB45_4
; %bb.3:
	v_ashrrev_i32_e32 v3, 31, v2
	v_lshl_add_u64 v[2:3], v[2:3], 2, s[6:7]
	global_load_dword v1, v[2:3], off offset:4
	s_waitcnt vmcnt(0)
	v_subrev_u32_e32 v47, s33, v1
.LBB45_4:
	s_or_b64 exec, exec, s[8:9]
	s_load_dword s56, s[0:1], 0x38
	v_cmp_gt_i32_e64 s[2:3], s36, v4
	v_mov_b32_e32 v2, 0
	s_and_saveexec_b64 s[6:7], s[2:3]
	s_cbranch_execz .LBB45_6
; %bb.5:
	s_load_dwordx2 s[2:3], s[0:1], 0x48
	v_ashrrev_i32_e32 v5, 31, v4
	s_waitcnt lgkmcnt(0)
	v_lshl_add_u64 v[2:3], v[4:5], 2, s[2:3]
	global_load_dword v1, v[2:3], off
	s_waitcnt vmcnt(0)
	v_subrev_u32_e32 v2, s56, v1
.LBB45_6:
	s_or_b64 exec, exec, s[6:7]
	s_cmp_lt_i32 s37, 1
	s_cbranch_scc1 .LBB45_100
; %bb.7:
	s_load_dwordx2 s[34:35], s[0:1], 0x20
	s_load_dwordx2 s[40:41], s[0:1], 0x50
	;; [unrolled: 1-line block ×4, first 2 shown]
	v_lshlrev_b32_e32 v1, 9, v46
	v_lshl_or_b32 v48, v6, 6, v1
	v_mbcnt_lo_u32_b32 v1, -1, 0
	v_mbcnt_hi_u32_b32 v1, -1, v1
	v_lshlrev_b32_e32 v4, 2, v6
	v_mul_lo_u32 v6, v6, s39
	v_and_b32_e32 v0, 3, v0
	v_lshlrev_b32_e32 v3, 2, v1
	s_cmp_lg_u32 s4, 0
	v_mov_b32_e32 v1, 0
	v_ashrrev_i32_e32 v7, 31, v6
	s_cselect_b64 s[44:45], -1, 0
	s_ashr_i32 s36, s39, 31
	s_waitcnt lgkmcnt(0)
	v_lshl_add_u64 v[6:7], v[6:7], 2, s[2:3]
	v_lshlrev_b32_e32 v8, 2, v0
	v_mov_b32_e32 v9, v1
	v_or_b32_e32 v10, v48, v0
	s_mul_hi_u32 s0, s39, s38
	s_mul_i32 s1, s36, s38
	s_mul_i32 s58, s39, s38
	v_lshl_add_u64 v[6:7], v[6:7], 0, v[8:9]
	v_mul_lo_u32 v8, v0, s38
	s_lshl_b32 s38, s38, 2
	v_or_b32_e32 v50, 12, v3
	v_mov_b32_e32 v5, v1
	v_or_b32_e32 v51, 0x7c, v3
	v_lshlrev_b32_e32 v52, 2, v10
	v_or_b32_e32 v3, 4, v0
	v_add_u32_e32 v10, s38, v8
	v_lshl_add_u64 v[4:5], s[2:3], 0, v[4:5]
	v_cmp_gt_u32_e64 s[2:3], s39, v3
	v_or_b32_e32 v3, 8, v0
	v_add_u32_e32 v12, s38, v10
	v_cmp_gt_u32_e64 s[4:5], s39, v3
	v_or_b32_e32 v3, 12, v0
	v_add_u32_e32 v14, s38, v12
	;; [unrolled: 3-line block ×14, first 2 shown]
	s_abs_i32 s38, s39
	v_cmp_gt_u32_e64 s[30:31], s39, v3
	v_cvt_f32_u32_e32 v3, s38
	s_add_i32 s57, s0, s1
	v_cmp_gt_u32_e64 s[0:1], s39, v0
	s_and_b64 s[46:47], s[0:1], vcc
	v_rcp_iflag_f32_e32 v3, v3
	s_sub_i32 s0, 0, s38
	v_mov_b32_e32 v49, 0
	v_mov_b32_e32 v11, v1
	v_mul_f32_e32 v3, 0x4f7ffffe, v3
	v_cvt_u32_f32_e32 v3, v3
	v_mov_b32_e32 v13, v1
	v_mov_b32_e32 v15, v1
	;; [unrolled: 1-line block ×3, first 2 shown]
	v_mul_lo_u32 v23, s0, v3
	v_mul_hi_u32 v23, v3, v23
	v_add_u32_e32 v68, v3, v23
	v_cndmask_b32_e64 v3, 0, 1, s[44:45]
	v_mov_b32_e32 v19, v1
	v_mov_b32_e32 v21, v1
	;; [unrolled: 1-line block ×11, first 2 shown]
	v_or_b32_e32 v53, 16, v52
	v_or_b32_e32 v54, 32, v52
	;; [unrolled: 1-line block ×15, first 2 shown]
	s_and_b64 s[48:49], vcc, s[2:3]
	s_and_b64 s[4:5], vcc, s[4:5]
	;; [unrolled: 1-line block ×15, first 2 shown]
	s_mov_b64 s[50:51], 0
	v_mov_b32_e32 v69, 1
	v_cmp_ne_u32_e64 s[0:1], 1, v3
	v_mov_b32_e32 v3, 0
	s_branch .LBB45_11
.LBB45_8:                               ;   in Loop: Header=BB45_11 Depth=1
	v_mov_b32_e32 v23, s59
.LBB45_9:                               ;   in Loop: Header=BB45_11 Depth=1
	s_or_b64 exec, exec, s[52:53]
.LBB45_10:                              ;   in Loop: Header=BB45_11 Depth=1
	s_or_b64 exec, exec, s[2:3]
	v_mov_b32_dpp v3, v70 row_shr:1 row_mask:0xf bank_mask:0xf
	v_min_i32_e32 v3, v3, v70
	v_add_u32_e32 v2, v23, v2
	s_waitcnt lgkmcnt(0)
	v_mov_b32_dpp v42, v3 row_shr:2 row_mask:0xf bank_mask:0xf
	v_min_i32_e32 v3, v42, v3
	s_nop 1
	v_mov_b32_dpp v42, v3 row_shr:4 row_mask:0xf bank_mask:0xe
	v_min_i32_e32 v3, v42, v3
	s_nop 1
	v_mov_b32_dpp v42, v3 row_shr:8 row_mask:0xf bank_mask:0xc
	v_min_i32_e32 v3, v42, v3
	s_nop 1
	v_mov_b32_dpp v42, v3 row_bcast:15 row_mask:0xa bank_mask:0xf
	v_min_i32_e32 v3, v42, v3
	ds_bpermute_b32 v3, v51, v3
	s_waitcnt lgkmcnt(0)
	v_cmp_le_i32_e32 vcc, s37, v3
	s_or_b64 s[50:51], vcc, s[50:51]
	s_andn2_b64 exec, exec, s[50:51]
	s_cbranch_execz .LBB45_100
.LBB45_11:                              ; =>This Loop Header: Depth=1
                                        ;     Child Loop BB45_14 Depth 2
	v_add_u32_e32 v44, v22, v0
	v_cmp_lt_i32_e32 vcc, v44, v47
	v_mov_b32_e32 v70, s37
	v_mov_b32_e32 v71, v47
	ds_write_b8 v46, v49 offset:8192
	ds_write_b32 v52, v1
	ds_write_b32 v53, v1
	;; [unrolled: 1-line block ×16, first 2 shown]
	s_waitcnt lgkmcnt(0)
	s_and_saveexec_b64 s[52:53], vcc
	s_cbranch_execz .LBB45_19
; %bb.12:                               ;   in Loop: Header=BB45_11 Depth=1
	v_ashrrev_i32_e32 v23, 31, v22
	v_lshl_add_u64 v[22:23], v[0:1], 0, v[22:23]
	v_lshlrev_b64 v[42:43], 2, v[22:23]
	v_mul_lo_u32 v45, v3, s39
	v_lshl_add_u64 v[22:23], s[42:43], 0, v[42:43]
	v_lshl_add_u64 v[42:43], s[34:35], 0, v[42:43]
	s_mov_b64 s[54:55], 0
	v_mov_b32_e32 v70, s37
	v_mov_b32_e32 v71, v47
	s_branch .LBB45_14
.LBB45_13:                              ;   in Loop: Header=BB45_14 Depth=2
	s_or_b64 exec, exec, s[2:3]
	v_add_u32_e32 v44, 4, v44
	v_cmp_ge_i32_e64 s[2:3], v44, v47
	s_xor_b64 s[60:61], vcc, -1
	s_or_b64 s[2:3], s[60:61], s[2:3]
	s_and_b64 s[2:3], exec, s[2:3]
	v_lshl_add_u64 v[22:23], v[22:23], 0, 16
	s_or_b64 s[54:55], s[2:3], s[54:55]
	v_lshl_add_u64 v[42:43], v[42:43], 0, 16
	s_andn2_b64 exec, exec, s[54:55]
	s_cbranch_execz .LBB45_18
.LBB45_14:                              ;   Parent Loop BB45_11 Depth=1
                                        ; =>  This Inner Loop Header: Depth=2
	global_load_dword v72, v[22:23], off
	s_waitcnt vmcnt(0)
	v_subrev_u32_e32 v72, s33, v72
	v_sub_u32_e32 v74, 0, v72
	v_max_i32_e32 v74, v72, v74
	v_mul_hi_u32 v75, v74, v68
	v_mul_lo_u32 v76, v75, s38
	v_sub_u32_e32 v74, v74, v76
	v_add_u32_e32 v77, 1, v75
	v_cmp_le_u32_e32 vcc, s38, v74
	v_subrev_u32_e32 v76, s38, v74
	v_ashrrev_i32_e32 v73, 31, v72
	v_cndmask_b32_e32 v75, v75, v77, vcc
	v_cndmask_b32_e32 v74, v74, v76, vcc
	v_add_u32_e32 v76, 1, v75
	v_cmp_le_u32_e32 vcc, s38, v74
	v_xor_b32_e32 v73, s36, v73
	s_nop 0
	v_cndmask_b32_e32 v74, v75, v76, vcc
	v_xor_b32_e32 v74, v74, v73
	v_sub_u32_e32 v74, v74, v73
	v_cmp_eq_u32_e32 vcc, v74, v3
	v_cmp_ne_u32_e64 s[2:3], v74, v3
	v_mov_b32_e32 v73, v71
	s_and_saveexec_b64 s[60:61], s[2:3]
	s_xor_b64 s[2:3], exec, s[60:61]
; %bb.15:                               ;   in Loop: Header=BB45_14 Depth=2
	v_min_i32_e32 v70, v74, v70
                                        ; implicit-def: $vgpr72
                                        ; implicit-def: $vgpr73
; %bb.16:                               ;   in Loop: Header=BB45_14 Depth=2
	s_or_saveexec_b64 s[2:3], s[2:3]
	v_mov_b32_e32 v71, v44
	s_xor_b64 exec, exec, s[2:3]
	s_cbranch_execz .LBB45_13
; %bb.17:                               ;   in Loop: Header=BB45_14 Depth=2
	global_load_dword v71, v[42:43], off
	v_sub_u32_e32 v72, v72, v45
	v_add_lshl_u32 v72, v48, v72, 2
	ds_write_b8 v46, v69 offset:8192
	s_waitcnt vmcnt(0)
	ds_write_b32 v72, v71
	v_mov_b32_e32 v71, v73
	s_branch .LBB45_13
.LBB45_18:                              ;   in Loop: Header=BB45_11 Depth=1
	s_or_b64 exec, exec, s[54:55]
.LBB45_19:                              ;   in Loop: Header=BB45_11 Depth=1
	s_or_b64 exec, exec, s[52:53]
	v_mov_b32_dpp v22, v71 row_shr:1 row_mask:0xf bank_mask:0xf
	v_min_i32_e32 v22, v22, v71
	s_waitcnt lgkmcnt(0)
	ds_read_u8 v23, v46 offset:8192
	v_mov_b32_dpp v42, v22 row_shr:2 row_mask:0xf bank_mask:0xf
	v_min_i32_e32 v22, v42, v22
	ds_bpermute_b32 v22, v50, v22
	s_waitcnt lgkmcnt(1)
	v_and_b32_e32 v23, 1, v23
	v_cmp_eq_u32_e32 vcc, 1, v23
	v_mov_b32_e32 v23, 0
	s_and_saveexec_b64 s[2:3], vcc
	s_cbranch_execz .LBB45_10
; %bb.20:                               ;   in Loop: Header=BB45_11 Depth=1
	v_add_u32_e32 v23, s56, v3
	v_ashrrev_i32_e32 v3, 31, v2
	v_lshl_add_u64 v[42:43], v[2:3], 2, s[40:41]
	global_store_dword v[42:43], v23, off
	v_mul_lo_u32 v23, s57, v2
	v_mul_lo_u32 v3, s58, v3
	v_mad_u64_u32 v[42:43], s[52:53], s58, v2, 0
	v_add3_u32 v43, v43, v3, v23
	v_lshlrev_b64 v[42:43], 2, v[42:43]
	v_lshl_add_u64 v[44:45], v[4:5], 0, v[42:43]
	v_lshl_add_u64 v[42:43], v[6:7], 0, v[42:43]
	s_and_saveexec_b64 s[52:53], s[46:47]
	s_cbranch_execz .LBB45_24
; %bb.21:                               ;   in Loop: Header=BB45_11 Depth=1
	s_and_b64 vcc, exec, s[44:45]
	s_cbranch_vccz .LBB45_83
; %bb.22:                               ;   in Loop: Header=BB45_11 Depth=1
	ds_read_b32 v3, v52
	v_lshl_add_u64 v[72:73], v[8:9], 2, v[44:45]
	s_waitcnt lgkmcnt(0)
	global_store_dword v[72:73], v3, off
	s_cbranch_execnz .LBB45_24
.LBB45_23:                              ;   in Loop: Header=BB45_11 Depth=1
	ds_read_b32 v3, v52
	s_waitcnt lgkmcnt(0)
	global_store_dword v[42:43], v3, off
.LBB45_24:                              ;   in Loop: Header=BB45_11 Depth=1
	s_or_b64 exec, exec, s[52:53]
	s_and_saveexec_b64 s[52:53], s[48:49]
	s_cbranch_execz .LBB45_28
; %bb.25:                               ;   in Loop: Header=BB45_11 Depth=1
	s_and_b64 vcc, exec, s[0:1]
	s_cbranch_vccnz .LBB45_84
; %bb.26:                               ;   in Loop: Header=BB45_11 Depth=1
	ds_read_b32 v3, v52 offset:16
	v_lshl_add_u64 v[72:73], v[10:11], 2, v[44:45]
	s_waitcnt lgkmcnt(0)
	global_store_dword v[72:73], v3, off
	s_cbranch_execnz .LBB45_28
.LBB45_27:                              ;   in Loop: Header=BB45_11 Depth=1
	ds_read_b32 v3, v52 offset:16
	s_waitcnt lgkmcnt(0)
	global_store_dword v[42:43], v3, off offset:16
.LBB45_28:                              ;   in Loop: Header=BB45_11 Depth=1
	s_or_b64 exec, exec, s[52:53]
	s_and_saveexec_b64 s[52:53], s[4:5]
	s_cbranch_execz .LBB45_32
; %bb.29:                               ;   in Loop: Header=BB45_11 Depth=1
	s_and_b64 vcc, exec, s[0:1]
	s_cbranch_vccnz .LBB45_85
; %bb.30:                               ;   in Loop: Header=BB45_11 Depth=1
	ds_read_b32 v3, v52 offset:32
	v_lshl_add_u64 v[72:73], v[12:13], 2, v[44:45]
	s_waitcnt lgkmcnt(0)
	global_store_dword v[72:73], v3, off
	s_cbranch_execnz .LBB45_32
.LBB45_31:                              ;   in Loop: Header=BB45_11 Depth=1
	ds_read_b32 v3, v52 offset:32
	s_waitcnt lgkmcnt(0)
	global_store_dword v[42:43], v3, off offset:32
.LBB45_32:                              ;   in Loop: Header=BB45_11 Depth=1
	s_or_b64 exec, exec, s[52:53]
	s_and_saveexec_b64 s[52:53], s[6:7]
	s_cbranch_execz .LBB45_36
; %bb.33:                               ;   in Loop: Header=BB45_11 Depth=1
	s_and_b64 vcc, exec, s[0:1]
	s_cbranch_vccnz .LBB45_86
; %bb.34:                               ;   in Loop: Header=BB45_11 Depth=1
	ds_read_b32 v3, v52 offset:48
	v_lshl_add_u64 v[72:73], v[14:15], 2, v[44:45]
	s_waitcnt lgkmcnt(0)
	global_store_dword v[72:73], v3, off
	s_cbranch_execnz .LBB45_36
.LBB45_35:                              ;   in Loop: Header=BB45_11 Depth=1
	ds_read_b32 v3, v52 offset:48
	s_waitcnt lgkmcnt(0)
	global_store_dword v[42:43], v3, off offset:48
.LBB45_36:                              ;   in Loop: Header=BB45_11 Depth=1
	s_or_b64 exec, exec, s[52:53]
	s_and_saveexec_b64 s[52:53], s[8:9]
	s_cbranch_execz .LBB45_40
; %bb.37:                               ;   in Loop: Header=BB45_11 Depth=1
	s_and_b64 vcc, exec, s[0:1]
	s_cbranch_vccnz .LBB45_87
; %bb.38:                               ;   in Loop: Header=BB45_11 Depth=1
	ds_read_b32 v3, v52 offset:64
	v_lshl_add_u64 v[72:73], v[16:17], 2, v[44:45]
	s_waitcnt lgkmcnt(0)
	global_store_dword v[72:73], v3, off
	s_cbranch_execnz .LBB45_40
.LBB45_39:                              ;   in Loop: Header=BB45_11 Depth=1
	ds_read_b32 v3, v52 offset:64
	s_waitcnt lgkmcnt(0)
	global_store_dword v[42:43], v3, off offset:64
.LBB45_40:                              ;   in Loop: Header=BB45_11 Depth=1
	s_or_b64 exec, exec, s[52:53]
	s_and_saveexec_b64 s[52:53], s[10:11]
	s_cbranch_execz .LBB45_44
; %bb.41:                               ;   in Loop: Header=BB45_11 Depth=1
	s_and_b64 vcc, exec, s[0:1]
	s_cbranch_vccnz .LBB45_88
; %bb.42:                               ;   in Loop: Header=BB45_11 Depth=1
	ds_read_b32 v3, v52 offset:80
	v_lshl_add_u64 v[72:73], v[18:19], 2, v[44:45]
	s_waitcnt lgkmcnt(0)
	global_store_dword v[72:73], v3, off
	s_cbranch_execnz .LBB45_44
.LBB45_43:                              ;   in Loop: Header=BB45_11 Depth=1
	ds_read_b32 v3, v52 offset:80
	s_waitcnt lgkmcnt(0)
	global_store_dword v[42:43], v3, off offset:80
.LBB45_44:                              ;   in Loop: Header=BB45_11 Depth=1
	s_or_b64 exec, exec, s[52:53]
	s_and_saveexec_b64 s[52:53], s[12:13]
	s_cbranch_execz .LBB45_48
; %bb.45:                               ;   in Loop: Header=BB45_11 Depth=1
	s_and_b64 vcc, exec, s[0:1]
	s_cbranch_vccnz .LBB45_89
; %bb.46:                               ;   in Loop: Header=BB45_11 Depth=1
	ds_read_b32 v3, v52 offset:96
	v_lshl_add_u64 v[72:73], v[20:21], 2, v[44:45]
	s_waitcnt lgkmcnt(0)
	global_store_dword v[72:73], v3, off
	s_cbranch_execnz .LBB45_48
.LBB45_47:                              ;   in Loop: Header=BB45_11 Depth=1
	ds_read_b32 v3, v52 offset:96
	s_waitcnt lgkmcnt(0)
	global_store_dword v[42:43], v3, off offset:96
.LBB45_48:                              ;   in Loop: Header=BB45_11 Depth=1
	s_or_b64 exec, exec, s[52:53]
	s_and_saveexec_b64 s[52:53], s[14:15]
	s_cbranch_execz .LBB45_52
; %bb.49:                               ;   in Loop: Header=BB45_11 Depth=1
	s_and_b64 vcc, exec, s[0:1]
	s_cbranch_vccnz .LBB45_90
; %bb.50:                               ;   in Loop: Header=BB45_11 Depth=1
	ds_read_b32 v3, v52 offset:112
	v_lshl_add_u64 v[72:73], v[24:25], 2, v[44:45]
	s_waitcnt lgkmcnt(0)
	global_store_dword v[72:73], v3, off
	s_cbranch_execnz .LBB45_52
.LBB45_51:                              ;   in Loop: Header=BB45_11 Depth=1
	ds_read_b32 v3, v52 offset:112
	s_waitcnt lgkmcnt(0)
	global_store_dword v[42:43], v3, off offset:112
.LBB45_52:                              ;   in Loop: Header=BB45_11 Depth=1
	s_or_b64 exec, exec, s[52:53]
	s_and_saveexec_b64 s[52:53], s[16:17]
	s_cbranch_execz .LBB45_56
; %bb.53:                               ;   in Loop: Header=BB45_11 Depth=1
	s_and_b64 vcc, exec, s[0:1]
	s_cbranch_vccnz .LBB45_91
; %bb.54:                               ;   in Loop: Header=BB45_11 Depth=1
	ds_read_b32 v3, v52 offset:128
	v_lshl_add_u64 v[72:73], v[26:27], 2, v[44:45]
	s_waitcnt lgkmcnt(0)
	global_store_dword v[72:73], v3, off
	s_cbranch_execnz .LBB45_56
.LBB45_55:                              ;   in Loop: Header=BB45_11 Depth=1
	ds_read_b32 v3, v52 offset:128
	s_waitcnt lgkmcnt(0)
	global_store_dword v[42:43], v3, off offset:128
.LBB45_56:                              ;   in Loop: Header=BB45_11 Depth=1
	s_or_b64 exec, exec, s[52:53]
	s_and_saveexec_b64 s[52:53], s[18:19]
	s_cbranch_execz .LBB45_60
; %bb.57:                               ;   in Loop: Header=BB45_11 Depth=1
	s_and_b64 vcc, exec, s[0:1]
	s_cbranch_vccnz .LBB45_92
; %bb.58:                               ;   in Loop: Header=BB45_11 Depth=1
	ds_read_b32 v3, v52 offset:144
	v_lshl_add_u64 v[72:73], v[28:29], 2, v[44:45]
	s_waitcnt lgkmcnt(0)
	global_store_dword v[72:73], v3, off
	s_cbranch_execnz .LBB45_60
.LBB45_59:                              ;   in Loop: Header=BB45_11 Depth=1
	ds_read_b32 v3, v52 offset:144
	s_waitcnt lgkmcnt(0)
	global_store_dword v[42:43], v3, off offset:144
.LBB45_60:                              ;   in Loop: Header=BB45_11 Depth=1
	s_or_b64 exec, exec, s[52:53]
	s_and_saveexec_b64 s[52:53], s[20:21]
	s_cbranch_execz .LBB45_64
; %bb.61:                               ;   in Loop: Header=BB45_11 Depth=1
	s_and_b64 vcc, exec, s[0:1]
	s_cbranch_vccnz .LBB45_93
; %bb.62:                               ;   in Loop: Header=BB45_11 Depth=1
	ds_read_b32 v3, v52 offset:160
	v_lshl_add_u64 v[72:73], v[30:31], 2, v[44:45]
	s_waitcnt lgkmcnt(0)
	global_store_dword v[72:73], v3, off
	s_cbranch_execnz .LBB45_64
.LBB45_63:                              ;   in Loop: Header=BB45_11 Depth=1
	ds_read_b32 v3, v52 offset:160
	s_waitcnt lgkmcnt(0)
	global_store_dword v[42:43], v3, off offset:160
.LBB45_64:                              ;   in Loop: Header=BB45_11 Depth=1
	s_or_b64 exec, exec, s[52:53]
	s_and_saveexec_b64 s[52:53], s[22:23]
	s_cbranch_execz .LBB45_68
; %bb.65:                               ;   in Loop: Header=BB45_11 Depth=1
	s_and_b64 vcc, exec, s[0:1]
	s_cbranch_vccnz .LBB45_94
; %bb.66:                               ;   in Loop: Header=BB45_11 Depth=1
	ds_read_b32 v3, v52 offset:176
	v_lshl_add_u64 v[72:73], v[32:33], 2, v[44:45]
	s_waitcnt lgkmcnt(0)
	global_store_dword v[72:73], v3, off
	s_cbranch_execnz .LBB45_68
.LBB45_67:                              ;   in Loop: Header=BB45_11 Depth=1
	ds_read_b32 v3, v52 offset:176
	s_waitcnt lgkmcnt(0)
	global_store_dword v[42:43], v3, off offset:176
.LBB45_68:                              ;   in Loop: Header=BB45_11 Depth=1
	s_or_b64 exec, exec, s[52:53]
	s_and_saveexec_b64 s[52:53], s[24:25]
	s_cbranch_execz .LBB45_72
; %bb.69:                               ;   in Loop: Header=BB45_11 Depth=1
	s_and_b64 vcc, exec, s[0:1]
	s_cbranch_vccnz .LBB45_95
; %bb.70:                               ;   in Loop: Header=BB45_11 Depth=1
	ds_read_b32 v3, v52 offset:192
	v_lshl_add_u64 v[72:73], v[34:35], 2, v[44:45]
	s_waitcnt lgkmcnt(0)
	global_store_dword v[72:73], v3, off
	s_cbranch_execnz .LBB45_72
.LBB45_71:                              ;   in Loop: Header=BB45_11 Depth=1
	ds_read_b32 v3, v52 offset:192
	s_waitcnt lgkmcnt(0)
	global_store_dword v[42:43], v3, off offset:192
.LBB45_72:                              ;   in Loop: Header=BB45_11 Depth=1
	s_or_b64 exec, exec, s[52:53]
	s_and_saveexec_b64 s[52:53], s[26:27]
	s_cbranch_execz .LBB45_76
; %bb.73:                               ;   in Loop: Header=BB45_11 Depth=1
	s_and_b64 vcc, exec, s[0:1]
	s_cbranch_vccnz .LBB45_96
; %bb.74:                               ;   in Loop: Header=BB45_11 Depth=1
	ds_read_b32 v3, v52 offset:208
	v_lshl_add_u64 v[72:73], v[36:37], 2, v[44:45]
	s_waitcnt lgkmcnt(0)
	global_store_dword v[72:73], v3, off
	s_cbranch_execnz .LBB45_76
.LBB45_75:                              ;   in Loop: Header=BB45_11 Depth=1
	ds_read_b32 v3, v52 offset:208
	s_waitcnt lgkmcnt(0)
	global_store_dword v[42:43], v3, off offset:208
.LBB45_76:                              ;   in Loop: Header=BB45_11 Depth=1
	s_or_b64 exec, exec, s[52:53]
	s_and_saveexec_b64 s[52:53], s[28:29]
	s_cbranch_execz .LBB45_80
; %bb.77:                               ;   in Loop: Header=BB45_11 Depth=1
	s_and_b64 vcc, exec, s[0:1]
	s_cbranch_vccnz .LBB45_97
; %bb.78:                               ;   in Loop: Header=BB45_11 Depth=1
	ds_read_b32 v3, v52 offset:224
	v_lshl_add_u64 v[72:73], v[38:39], 2, v[44:45]
	s_waitcnt lgkmcnt(0)
	global_store_dword v[72:73], v3, off
	s_cbranch_execnz .LBB45_80
.LBB45_79:                              ;   in Loop: Header=BB45_11 Depth=1
	ds_read_b32 v3, v52 offset:224
	s_waitcnt lgkmcnt(0)
	global_store_dword v[42:43], v3, off offset:224
.LBB45_80:                              ;   in Loop: Header=BB45_11 Depth=1
	s_or_b64 exec, exec, s[52:53]
	v_mov_b32_e32 v23, 1
	s_and_saveexec_b64 s[52:53], s[30:31]
	s_cbranch_execz .LBB45_9
; %bb.81:                               ;   in Loop: Header=BB45_11 Depth=1
	s_and_b64 vcc, exec, s[0:1]
	s_cbranch_vccnz .LBB45_98
; %bb.82:                               ;   in Loop: Header=BB45_11 Depth=1
	ds_read_b32 v3, v52 offset:240
	v_lshl_add_u64 v[44:45], v[40:41], 2, v[44:45]
	s_mov_b32 s59, 1
	s_waitcnt lgkmcnt(0)
	global_store_dword v[44:45], v3, off
	s_cbranch_execnz .LBB45_8
	s_branch .LBB45_99
.LBB45_83:                              ;   in Loop: Header=BB45_11 Depth=1
	s_branch .LBB45_23
.LBB45_84:                              ;   in Loop: Header=BB45_11 Depth=1
	s_branch .LBB45_27
.LBB45_85:                              ;   in Loop: Header=BB45_11 Depth=1
	s_branch .LBB45_31
.LBB45_86:                              ;   in Loop: Header=BB45_11 Depth=1
	s_branch .LBB45_35
.LBB45_87:                              ;   in Loop: Header=BB45_11 Depth=1
	s_branch .LBB45_39
.LBB45_88:                              ;   in Loop: Header=BB45_11 Depth=1
	s_branch .LBB45_43
.LBB45_89:                              ;   in Loop: Header=BB45_11 Depth=1
	s_branch .LBB45_47
.LBB45_90:                              ;   in Loop: Header=BB45_11 Depth=1
	s_branch .LBB45_51
.LBB45_91:                              ;   in Loop: Header=BB45_11 Depth=1
	s_branch .LBB45_55
.LBB45_92:                              ;   in Loop: Header=BB45_11 Depth=1
	s_branch .LBB45_59
.LBB45_93:                              ;   in Loop: Header=BB45_11 Depth=1
	s_branch .LBB45_63
.LBB45_94:                              ;   in Loop: Header=BB45_11 Depth=1
	s_branch .LBB45_67
.LBB45_95:                              ;   in Loop: Header=BB45_11 Depth=1
	s_branch .LBB45_71
.LBB45_96:                              ;   in Loop: Header=BB45_11 Depth=1
	s_branch .LBB45_75
.LBB45_97:                              ;   in Loop: Header=BB45_11 Depth=1
	s_branch .LBB45_79
.LBB45_98:                              ;   in Loop: Header=BB45_11 Depth=1
                                        ; implicit-def: $sgpr59
.LBB45_99:                              ;   in Loop: Header=BB45_11 Depth=1
	ds_read_b32 v3, v52 offset:240
	s_mov_b32 s59, 1
	s_waitcnt lgkmcnt(0)
	global_store_dword v[42:43], v3, off offset:240
	s_branch .LBB45_8
.LBB45_100:
	s_endpgm
	.section	.rodata,"a",@progbits
	.p2align	6, 0x0
	.amdhsa_kernel _ZN9rocsparseL44csr2gebsr_wavefront_per_row_multipass_kernelILi128ELi8ELi64ELi32EfEEv20rocsparse_direction_iiiiii21rocsparse_index_base_PKT3_PKiS7_S2_PS3_PiS9_
		.amdhsa_group_segment_fixed_size 8196
		.amdhsa_private_segment_fixed_size 0
		.amdhsa_kernarg_size 88
		.amdhsa_user_sgpr_count 2
		.amdhsa_user_sgpr_dispatch_ptr 0
		.amdhsa_user_sgpr_queue_ptr 0
		.amdhsa_user_sgpr_kernarg_segment_ptr 1
		.amdhsa_user_sgpr_dispatch_id 0
		.amdhsa_user_sgpr_kernarg_preload_length 0
		.amdhsa_user_sgpr_kernarg_preload_offset 0
		.amdhsa_user_sgpr_private_segment_size 0
		.amdhsa_uses_dynamic_stack 0
		.amdhsa_enable_private_segment 0
		.amdhsa_system_sgpr_workgroup_id_x 1
		.amdhsa_system_sgpr_workgroup_id_y 0
		.amdhsa_system_sgpr_workgroup_id_z 0
		.amdhsa_system_sgpr_workgroup_info 0
		.amdhsa_system_vgpr_workitem_id 0
		.amdhsa_next_free_vgpr 78
		.amdhsa_next_free_sgpr 62
		.amdhsa_accum_offset 80
		.amdhsa_reserve_vcc 1
		.amdhsa_float_round_mode_32 0
		.amdhsa_float_round_mode_16_64 0
		.amdhsa_float_denorm_mode_32 3
		.amdhsa_float_denorm_mode_16_64 3
		.amdhsa_dx10_clamp 1
		.amdhsa_ieee_mode 1
		.amdhsa_fp16_overflow 0
		.amdhsa_tg_split 0
		.amdhsa_exception_fp_ieee_invalid_op 0
		.amdhsa_exception_fp_denorm_src 0
		.amdhsa_exception_fp_ieee_div_zero 0
		.amdhsa_exception_fp_ieee_overflow 0
		.amdhsa_exception_fp_ieee_underflow 0
		.amdhsa_exception_fp_ieee_inexact 0
		.amdhsa_exception_int_div_zero 0
	.end_amdhsa_kernel
	.section	.text._ZN9rocsparseL44csr2gebsr_wavefront_per_row_multipass_kernelILi128ELi8ELi64ELi32EfEEv20rocsparse_direction_iiiiii21rocsparse_index_base_PKT3_PKiS7_S2_PS3_PiS9_,"axG",@progbits,_ZN9rocsparseL44csr2gebsr_wavefront_per_row_multipass_kernelILi128ELi8ELi64ELi32EfEEv20rocsparse_direction_iiiiii21rocsparse_index_base_PKT3_PKiS7_S2_PS3_PiS9_,comdat
.Lfunc_end45:
	.size	_ZN9rocsparseL44csr2gebsr_wavefront_per_row_multipass_kernelILi128ELi8ELi64ELi32EfEEv20rocsparse_direction_iiiiii21rocsparse_index_base_PKT3_PKiS7_S2_PS3_PiS9_, .Lfunc_end45-_ZN9rocsparseL44csr2gebsr_wavefront_per_row_multipass_kernelILi128ELi8ELi64ELi32EfEEv20rocsparse_direction_iiiiii21rocsparse_index_base_PKT3_PKiS7_S2_PS3_PiS9_
                                        ; -- End function
	.section	.AMDGPU.csdata,"",@progbits
; Kernel info:
; codeLenInByte = 2972
; NumSgprs: 68
; NumVgprs: 78
; NumAgprs: 0
; TotalNumVgprs: 78
; ScratchSize: 0
; MemoryBound: 0
; FloatMode: 240
; IeeeMode: 1
; LDSByteSize: 8196 bytes/workgroup (compile time only)
; SGPRBlocks: 8
; VGPRBlocks: 9
; NumSGPRsForWavesPerEU: 68
; NumVGPRsForWavesPerEU: 78
; AccumOffset: 80
; Occupancy: 4
; WaveLimiterHint : 0
; COMPUTE_PGM_RSRC2:SCRATCH_EN: 0
; COMPUTE_PGM_RSRC2:USER_SGPR: 2
; COMPUTE_PGM_RSRC2:TRAP_HANDLER: 0
; COMPUTE_PGM_RSRC2:TGID_X_EN: 1
; COMPUTE_PGM_RSRC2:TGID_Y_EN: 0
; COMPUTE_PGM_RSRC2:TGID_Z_EN: 0
; COMPUTE_PGM_RSRC2:TIDIG_COMP_CNT: 0
; COMPUTE_PGM_RSRC3_GFX90A:ACCUM_OFFSET: 19
; COMPUTE_PGM_RSRC3_GFX90A:TG_SPLIT: 0
	.section	.text._ZN9rocsparseL44csr2gebsr_wavefront_per_row_multipass_kernelILi256ELi16ELi2ELi32EfEEv20rocsparse_direction_iiiiii21rocsparse_index_base_PKT3_PKiS7_S2_PS3_PiS9_,"axG",@progbits,_ZN9rocsparseL44csr2gebsr_wavefront_per_row_multipass_kernelILi256ELi16ELi2ELi32EfEEv20rocsparse_direction_iiiiii21rocsparse_index_base_PKT3_PKiS7_S2_PS3_PiS9_,comdat
	.globl	_ZN9rocsparseL44csr2gebsr_wavefront_per_row_multipass_kernelILi256ELi16ELi2ELi32EfEEv20rocsparse_direction_iiiiii21rocsparse_index_base_PKT3_PKiS7_S2_PS3_PiS9_ ; -- Begin function _ZN9rocsparseL44csr2gebsr_wavefront_per_row_multipass_kernelILi256ELi16ELi2ELi32EfEEv20rocsparse_direction_iiiiii21rocsparse_index_base_PKT3_PKiS7_S2_PS3_PiS9_
	.p2align	8
	.type	_ZN9rocsparseL44csr2gebsr_wavefront_per_row_multipass_kernelILi256ELi16ELi2ELi32EfEEv20rocsparse_direction_iiiiii21rocsparse_index_base_PKT3_PKiS7_S2_PS3_PiS9_,@function
_ZN9rocsparseL44csr2gebsr_wavefront_per_row_multipass_kernelILi256ELi16ELi2ELi32EfEEv20rocsparse_direction_iiiiii21rocsparse_index_base_PKT3_PKiS7_S2_PS3_PiS9_: ; @_ZN9rocsparseL44csr2gebsr_wavefront_per_row_multipass_kernelILi256ELi16ELi2ELi32EfEEv20rocsparse_direction_iiiiii21rocsparse_index_base_PKT3_PKiS7_S2_PS3_PiS9_
; %bb.0:
	s_load_dwordx2 s[14:15], s[0:1], 0x0
	s_load_dwordx4 s[4:7], s[0:1], 0xc
	s_load_dword s20, s[0:1], 0x1c
	s_load_dwordx2 s[8:9], s[0:1], 0x28
	v_lshrrev_b32_e32 v10, 5, v0
	v_bfe_u32 v8, v0, 1, 4
	v_lshl_or_b32 v4, s2, 3, v10
	s_waitcnt lgkmcnt(0)
	v_mad_u64_u32 v[2:3], s[2:3], v4, s6, v[8:9]
	v_cmp_gt_i32_e64 s[2:3], s15, v2
	v_cmp_gt_i32_e32 vcc, s6, v8
	s_and_b64 s[2:3], vcc, s[2:3]
	v_mov_b32_e32 v11, 0
	v_mov_b32_e32 v6, 0
	s_and_saveexec_b64 s[10:11], s[2:3]
	s_cbranch_execz .LBB46_2
; %bb.1:
	v_ashrrev_i32_e32 v3, 31, v2
	v_lshl_add_u64 v[6:7], v[2:3], 2, s[8:9]
	global_load_dword v1, v[6:7], off
	s_waitcnt vmcnt(0)
	v_subrev_u32_e32 v6, s20, v1
.LBB46_2:
	s_or_b64 exec, exec, s[10:11]
	s_and_saveexec_b64 s[10:11], s[2:3]
	s_cbranch_execz .LBB46_4
; %bb.3:
	v_ashrrev_i32_e32 v3, 31, v2
	v_lshl_add_u64 v[2:3], v[2:3], 2, s[8:9]
	global_load_dword v1, v[2:3], off offset:4
	s_waitcnt vmcnt(0)
	v_subrev_u32_e32 v11, s20, v1
.LBB46_4:
	s_or_b64 exec, exec, s[10:11]
	s_load_dword s21, s[0:1], 0x38
	v_cmp_gt_i32_e64 s[2:3], s4, v4
	v_mov_b32_e32 v2, 0
	s_and_saveexec_b64 s[8:9], s[2:3]
	s_cbranch_execz .LBB46_6
; %bb.5:
	s_load_dwordx2 s[2:3], s[0:1], 0x48
	v_ashrrev_i32_e32 v5, 31, v4
	s_waitcnt lgkmcnt(0)
	v_lshl_add_u64 v[2:3], v[4:5], 2, s[2:3]
	global_load_dword v1, v[2:3], off
	s_waitcnt vmcnt(0)
	v_subrev_u32_e32 v2, s21, v1
.LBB46_6:
	s_or_b64 exec, exec, s[8:9]
	s_cmp_lt_i32 s5, 1
	s_cbranch_scc1 .LBB46_21
; %bb.7:
	v_and_b32_e32 v4, 1, v0
	s_load_dwordx2 s[2:3], s[0:1], 0x20
	s_load_dwordx2 s[8:9], s[0:1], 0x50
	s_load_dwordx2 s[16:17], s[0:1], 0x40
	s_load_dwordx2 s[10:11], s[0:1], 0x30
	v_cmp_gt_u32_e64 s[0:1], s7, v4
	s_and_b64 s[12:13], vcc, s[0:1]
	s_cmp_eq_u32 s14, 0
	s_cselect_b64 vcc, -1, 0
	s_abs_i32 s4, s7
	v_cvt_f32_u32_e32 v7, s4
	v_and_b32_e32 v0, 0xe0, v0
	v_lshl_or_b32 v12, v8, 1, v0
	v_mbcnt_lo_u32_b32 v0, -1, 0
	v_mbcnt_hi_u32_b32 v0, -1, v0
	v_lshlrev_b32_e32 v3, 2, v0
	v_or_b32_e32 v0, v12, v4
	v_mov_b32_e32 v5, 0
	v_rcp_iflag_f32_e32 v7, v7
	v_lshlrev_b32_e32 v15, 2, v0
	v_mul_lo_u32 v0, v4, s6
	v_mov_b32_e32 v1, v5
	v_lshlrev_b32_e32 v16, 2, v8
	v_mul_lo_u32 v8, v8, s7
	s_waitcnt lgkmcnt(0)
	v_lshl_add_u64 v[0:1], v[0:1], 2, s[16:17]
	v_mov_b32_e32 v17, v5
	v_ashrrev_i32_e32 v9, 31, v8
	v_lshl_add_u64 v[0:1], v[0:1], 0, v[16:17]
	v_lshl_add_u64 v[8:9], v[8:9], 2, s[16:17]
	v_lshlrev_b32_e32 v16, 2, v4
	v_or_b32_e32 v14, 4, v3
	v_lshl_add_u64 v[8:9], v[8:9], 0, v[16:17]
	v_or_b32_e32 v16, 0x7c, v3
	v_mul_f32_e32 v3, 0x4f7ffffe, v7
	v_cvt_u32_f32_e32 v3, v3
	s_ashr_i32 s22, s7, 31
	s_mul_hi_u32 s0, s7, s6
	s_mul_i32 s1, s22, s6
	s_add_i32 s23, s0, s1
	s_sub_i32 s0, 0, s4
	v_mul_lo_u32 v7, s0, v3
	v_mul_hi_u32 v7, v3, v7
	v_mov_b32_e32 v13, 0
	s_mul_i32 s6, s7, s6
	v_cndmask_b32_e32 v1, v1, v9, vcc
	v_cndmask_b32_e32 v0, v0, v8, vcc
	v_add_u32_e32 v17, v3, v7
	s_mov_b64 s[14:15], 0
	v_mov_b32_e32 v18, 1
	v_mov_b32_e32 v3, 0
	s_branch .LBB46_10
.LBB46_8:                               ;   in Loop: Header=BB46_10 Depth=1
	s_or_b64 exec, exec, s[16:17]
	v_mov_b32_e32 v7, 1
.LBB46_9:                               ;   in Loop: Header=BB46_10 Depth=1
	s_or_b64 exec, exec, s[0:1]
	v_mov_b32_dpp v3, v19 row_shr:1 row_mask:0xf bank_mask:0xf
	v_min_i32_e32 v3, v3, v19
	v_add_u32_e32 v2, v7, v2
	s_waitcnt lgkmcnt(0)
	v_mov_b32_dpp v8, v3 row_shr:2 row_mask:0xf bank_mask:0xf
	v_min_i32_e32 v3, v8, v3
	s_nop 1
	v_mov_b32_dpp v8, v3 row_shr:4 row_mask:0xf bank_mask:0xe
	v_min_i32_e32 v3, v8, v3
	s_nop 1
	;; [unrolled: 3-line block ×3, first 2 shown]
	v_mov_b32_dpp v8, v3 row_bcast:15 row_mask:0xa bank_mask:0xf
	v_min_i32_e32 v3, v8, v3
	ds_bpermute_b32 v3, v16, v3
	s_waitcnt lgkmcnt(0)
	v_cmp_le_i32_e32 vcc, s5, v3
	s_or_b64 s[14:15], vcc, s[14:15]
	s_andn2_b64 exec, exec, s[14:15]
	s_cbranch_execz .LBB46_21
.LBB46_10:                              ; =>This Loop Header: Depth=1
                                        ;     Child Loop BB46_13 Depth 2
	v_add_u32_e32 v20, v6, v4
	v_cmp_lt_i32_e32 vcc, v20, v11
	v_mov_b32_e32 v19, s5
	v_mov_b32_e32 v22, v11
	ds_write_b8 v10, v13 offset:1024
	ds_write_b32 v15, v5
	s_waitcnt lgkmcnt(0)
	s_and_saveexec_b64 s[16:17], vcc
	s_cbranch_execz .LBB46_18
; %bb.11:                               ;   in Loop: Header=BB46_10 Depth=1
	v_ashrrev_i32_e32 v7, 31, v6
	v_lshl_add_u64 v[6:7], v[4:5], 0, v[6:7]
	v_lshlrev_b64 v[8:9], 2, v[6:7]
	v_mul_lo_u32 v21, v3, s7
	v_lshl_add_u64 v[6:7], s[10:11], 0, v[8:9]
	v_lshl_add_u64 v[8:9], s[2:3], 0, v[8:9]
	s_mov_b64 s[18:19], 0
	v_mov_b32_e32 v19, s5
	v_mov_b32_e32 v22, v11
	s_branch .LBB46_13
.LBB46_12:                              ;   in Loop: Header=BB46_13 Depth=2
	s_or_b64 exec, exec, s[0:1]
	v_add_u32_e32 v20, 2, v20
	v_cmp_ge_i32_e64 s[0:1], v20, v11
	s_xor_b64 s[24:25], vcc, -1
	s_or_b64 s[0:1], s[24:25], s[0:1]
	s_and_b64 s[0:1], exec, s[0:1]
	v_lshl_add_u64 v[6:7], v[6:7], 0, 8
	s_or_b64 s[18:19], s[0:1], s[18:19]
	v_lshl_add_u64 v[8:9], v[8:9], 0, 8
	s_andn2_b64 exec, exec, s[18:19]
	s_cbranch_execz .LBB46_17
.LBB46_13:                              ;   Parent Loop BB46_10 Depth=1
                                        ; =>  This Inner Loop Header: Depth=2
	global_load_dword v23, v[6:7], off
	s_waitcnt vmcnt(0)
	v_subrev_u32_e32 v23, s20, v23
	v_sub_u32_e32 v25, 0, v23
	v_max_i32_e32 v25, v23, v25
	v_mul_hi_u32 v26, v25, v17
	v_mul_lo_u32 v27, v26, s4
	v_sub_u32_e32 v25, v25, v27
	v_add_u32_e32 v28, 1, v26
	v_cmp_le_u32_e32 vcc, s4, v25
	v_subrev_u32_e32 v27, s4, v25
	v_ashrrev_i32_e32 v24, 31, v23
	v_cndmask_b32_e32 v26, v26, v28, vcc
	v_cndmask_b32_e32 v25, v25, v27, vcc
	v_add_u32_e32 v27, 1, v26
	v_cmp_le_u32_e32 vcc, s4, v25
	v_xor_b32_e32 v24, s22, v24
	s_nop 0
	v_cndmask_b32_e32 v25, v26, v27, vcc
	v_xor_b32_e32 v25, v25, v24
	v_sub_u32_e32 v25, v25, v24
	v_cmp_eq_u32_e32 vcc, v25, v3
	v_cmp_ne_u32_e64 s[0:1], v25, v3
	v_mov_b32_e32 v24, v22
	s_and_saveexec_b64 s[24:25], s[0:1]
	s_xor_b64 s[0:1], exec, s[24:25]
; %bb.14:                               ;   in Loop: Header=BB46_13 Depth=2
	v_min_i32_e32 v19, v25, v19
                                        ; implicit-def: $vgpr23
                                        ; implicit-def: $vgpr24
; %bb.15:                               ;   in Loop: Header=BB46_13 Depth=2
	s_or_saveexec_b64 s[0:1], s[0:1]
	v_mov_b32_e32 v22, v20
	s_xor_b64 exec, exec, s[0:1]
	s_cbranch_execz .LBB46_12
; %bb.16:                               ;   in Loop: Header=BB46_13 Depth=2
	global_load_dword v22, v[8:9], off
	v_sub_u32_e32 v23, v23, v21
	v_add_lshl_u32 v23, v12, v23, 2
	ds_write_b8 v10, v18 offset:1024
	s_waitcnt vmcnt(0)
	ds_write_b32 v23, v22
	v_mov_b32_e32 v22, v24
	s_branch .LBB46_12
.LBB46_17:                              ;   in Loop: Header=BB46_10 Depth=1
	s_or_b64 exec, exec, s[18:19]
.LBB46_18:                              ;   in Loop: Header=BB46_10 Depth=1
	s_or_b64 exec, exec, s[16:17]
	s_waitcnt lgkmcnt(0)
	ds_read_u8 v7, v10 offset:1024
	v_mov_b32_dpp v6, v22 row_shr:1 row_mask:0xf bank_mask:0xf
	v_min_i32_e32 v6, v6, v22
	ds_bpermute_b32 v6, v14, v6
	s_waitcnt lgkmcnt(1)
	v_and_b32_e32 v7, 1, v7
	v_cmp_eq_u32_e32 vcc, 1, v7
	v_mov_b32_e32 v7, 0
	s_and_saveexec_b64 s[0:1], vcc
	s_cbranch_execz .LBB46_9
; %bb.19:                               ;   in Loop: Header=BB46_10 Depth=1
	v_add_u32_e32 v7, s21, v3
	v_ashrrev_i32_e32 v3, 31, v2
	v_lshl_add_u64 v[8:9], v[2:3], 2, s[8:9]
	global_store_dword v[8:9], v7, off
	s_and_saveexec_b64 s[16:17], s[12:13]
	s_cbranch_execz .LBB46_8
; %bb.20:                               ;   in Loop: Header=BB46_10 Depth=1
	ds_read_b32 v7, v15
	v_mul_lo_u32 v20, s23, v2
	v_mul_lo_u32 v3, s6, v3
	v_mad_u64_u32 v[8:9], s[18:19], s6, v2, 0
	v_add3_u32 v9, v9, v3, v20
	v_lshl_add_u64 v[8:9], v[8:9], 2, v[0:1]
	s_waitcnt lgkmcnt(0)
	global_store_dword v[8:9], v7, off
	s_branch .LBB46_8
.LBB46_21:
	s_endpgm
	.section	.rodata,"a",@progbits
	.p2align	6, 0x0
	.amdhsa_kernel _ZN9rocsparseL44csr2gebsr_wavefront_per_row_multipass_kernelILi256ELi16ELi2ELi32EfEEv20rocsparse_direction_iiiiii21rocsparse_index_base_PKT3_PKiS7_S2_PS3_PiS9_
		.amdhsa_group_segment_fixed_size 1032
		.amdhsa_private_segment_fixed_size 0
		.amdhsa_kernarg_size 88
		.amdhsa_user_sgpr_count 2
		.amdhsa_user_sgpr_dispatch_ptr 0
		.amdhsa_user_sgpr_queue_ptr 0
		.amdhsa_user_sgpr_kernarg_segment_ptr 1
		.amdhsa_user_sgpr_dispatch_id 0
		.amdhsa_user_sgpr_kernarg_preload_length 0
		.amdhsa_user_sgpr_kernarg_preload_offset 0
		.amdhsa_user_sgpr_private_segment_size 0
		.amdhsa_uses_dynamic_stack 0
		.amdhsa_enable_private_segment 0
		.amdhsa_system_sgpr_workgroup_id_x 1
		.amdhsa_system_sgpr_workgroup_id_y 0
		.amdhsa_system_sgpr_workgroup_id_z 0
		.amdhsa_system_sgpr_workgroup_info 0
		.amdhsa_system_vgpr_workitem_id 0
		.amdhsa_next_free_vgpr 29
		.amdhsa_next_free_sgpr 26
		.amdhsa_accum_offset 32
		.amdhsa_reserve_vcc 1
		.amdhsa_float_round_mode_32 0
		.amdhsa_float_round_mode_16_64 0
		.amdhsa_float_denorm_mode_32 3
		.amdhsa_float_denorm_mode_16_64 3
		.amdhsa_dx10_clamp 1
		.amdhsa_ieee_mode 1
		.amdhsa_fp16_overflow 0
		.amdhsa_tg_split 0
		.amdhsa_exception_fp_ieee_invalid_op 0
		.amdhsa_exception_fp_denorm_src 0
		.amdhsa_exception_fp_ieee_div_zero 0
		.amdhsa_exception_fp_ieee_overflow 0
		.amdhsa_exception_fp_ieee_underflow 0
		.amdhsa_exception_fp_ieee_inexact 0
		.amdhsa_exception_int_div_zero 0
	.end_amdhsa_kernel
	.section	.text._ZN9rocsparseL44csr2gebsr_wavefront_per_row_multipass_kernelILi256ELi16ELi2ELi32EfEEv20rocsparse_direction_iiiiii21rocsparse_index_base_PKT3_PKiS7_S2_PS3_PiS9_,"axG",@progbits,_ZN9rocsparseL44csr2gebsr_wavefront_per_row_multipass_kernelILi256ELi16ELi2ELi32EfEEv20rocsparse_direction_iiiiii21rocsparse_index_base_PKT3_PKiS7_S2_PS3_PiS9_,comdat
.Lfunc_end46:
	.size	_ZN9rocsparseL44csr2gebsr_wavefront_per_row_multipass_kernelILi256ELi16ELi2ELi32EfEEv20rocsparse_direction_iiiiii21rocsparse_index_base_PKT3_PKiS7_S2_PS3_PiS9_, .Lfunc_end46-_ZN9rocsparseL44csr2gebsr_wavefront_per_row_multipass_kernelILi256ELi16ELi2ELi32EfEEv20rocsparse_direction_iiiiii21rocsparse_index_base_PKT3_PKiS7_S2_PS3_PiS9_
                                        ; -- End function
	.section	.AMDGPU.csdata,"",@progbits
; Kernel info:
; codeLenInByte = 1164
; NumSgprs: 32
; NumVgprs: 29
; NumAgprs: 0
; TotalNumVgprs: 29
; ScratchSize: 0
; MemoryBound: 0
; FloatMode: 240
; IeeeMode: 1
; LDSByteSize: 1032 bytes/workgroup (compile time only)
; SGPRBlocks: 3
; VGPRBlocks: 3
; NumSGPRsForWavesPerEU: 32
; NumVGPRsForWavesPerEU: 29
; AccumOffset: 32
; Occupancy: 8
; WaveLimiterHint : 0
; COMPUTE_PGM_RSRC2:SCRATCH_EN: 0
; COMPUTE_PGM_RSRC2:USER_SGPR: 2
; COMPUTE_PGM_RSRC2:TRAP_HANDLER: 0
; COMPUTE_PGM_RSRC2:TGID_X_EN: 1
; COMPUTE_PGM_RSRC2:TGID_Y_EN: 0
; COMPUTE_PGM_RSRC2:TGID_Z_EN: 0
; COMPUTE_PGM_RSRC2:TIDIG_COMP_CNT: 0
; COMPUTE_PGM_RSRC3_GFX90A:ACCUM_OFFSET: 7
; COMPUTE_PGM_RSRC3_GFX90A:TG_SPLIT: 0
	.section	.text._ZN9rocsparseL44csr2gebsr_wavefront_per_row_multipass_kernelILi256ELi16ELi4ELi64EfEEv20rocsparse_direction_iiiiii21rocsparse_index_base_PKT3_PKiS7_S2_PS3_PiS9_,"axG",@progbits,_ZN9rocsparseL44csr2gebsr_wavefront_per_row_multipass_kernelILi256ELi16ELi4ELi64EfEEv20rocsparse_direction_iiiiii21rocsparse_index_base_PKT3_PKiS7_S2_PS3_PiS9_,comdat
	.globl	_ZN9rocsparseL44csr2gebsr_wavefront_per_row_multipass_kernelILi256ELi16ELi4ELi64EfEEv20rocsparse_direction_iiiiii21rocsparse_index_base_PKT3_PKiS7_S2_PS3_PiS9_ ; -- Begin function _ZN9rocsparseL44csr2gebsr_wavefront_per_row_multipass_kernelILi256ELi16ELi4ELi64EfEEv20rocsparse_direction_iiiiii21rocsparse_index_base_PKT3_PKiS7_S2_PS3_PiS9_
	.p2align	8
	.type	_ZN9rocsparseL44csr2gebsr_wavefront_per_row_multipass_kernelILi256ELi16ELi4ELi64EfEEv20rocsparse_direction_iiiiii21rocsparse_index_base_PKT3_PKiS7_S2_PS3_PiS9_,@function
_ZN9rocsparseL44csr2gebsr_wavefront_per_row_multipass_kernelILi256ELi16ELi4ELi64EfEEv20rocsparse_direction_iiiiii21rocsparse_index_base_PKT3_PKiS7_S2_PS3_PiS9_: ; @_ZN9rocsparseL44csr2gebsr_wavefront_per_row_multipass_kernelILi256ELi16ELi4ELi64EfEEv20rocsparse_direction_iiiiii21rocsparse_index_base_PKT3_PKiS7_S2_PS3_PiS9_
; %bb.0:
	s_load_dwordx2 s[14:15], s[0:1], 0x0
	s_load_dwordx4 s[4:7], s[0:1], 0xc
	s_load_dword s20, s[0:1], 0x1c
	s_load_dwordx2 s[8:9], s[0:1], 0x28
	v_lshrrev_b32_e32 v10, 6, v0
	v_bfe_u32 v8, v0, 2, 4
	v_lshl_or_b32 v4, s2, 2, v10
	s_waitcnt lgkmcnt(0)
	v_mad_u64_u32 v[2:3], s[2:3], v4, s6, v[8:9]
	v_cmp_gt_i32_e64 s[2:3], s15, v2
	v_cmp_gt_i32_e32 vcc, s6, v8
	s_and_b64 s[2:3], vcc, s[2:3]
	v_mov_b32_e32 v11, 0
	v_mov_b32_e32 v6, 0
	s_and_saveexec_b64 s[10:11], s[2:3]
	s_cbranch_execz .LBB47_2
; %bb.1:
	v_ashrrev_i32_e32 v3, 31, v2
	v_lshl_add_u64 v[6:7], v[2:3], 2, s[8:9]
	global_load_dword v1, v[6:7], off
	s_waitcnt vmcnt(0)
	v_subrev_u32_e32 v6, s20, v1
.LBB47_2:
	s_or_b64 exec, exec, s[10:11]
	s_and_saveexec_b64 s[10:11], s[2:3]
	s_cbranch_execz .LBB47_4
; %bb.3:
	v_ashrrev_i32_e32 v3, 31, v2
	v_lshl_add_u64 v[2:3], v[2:3], 2, s[8:9]
	global_load_dword v1, v[2:3], off offset:4
	s_waitcnt vmcnt(0)
	v_subrev_u32_e32 v11, s20, v1
.LBB47_4:
	s_or_b64 exec, exec, s[10:11]
	s_load_dword s21, s[0:1], 0x38
	v_cmp_gt_i32_e64 s[2:3], s4, v4
	v_mov_b32_e32 v2, 0
	s_and_saveexec_b64 s[8:9], s[2:3]
	s_cbranch_execz .LBB47_6
; %bb.5:
	s_load_dwordx2 s[2:3], s[0:1], 0x48
	v_ashrrev_i32_e32 v5, 31, v4
	s_waitcnt lgkmcnt(0)
	v_lshl_add_u64 v[2:3], v[4:5], 2, s[2:3]
	global_load_dword v1, v[2:3], off
	s_waitcnt vmcnt(0)
	v_subrev_u32_e32 v2, s21, v1
.LBB47_6:
	s_or_b64 exec, exec, s[8:9]
	s_cmp_lt_i32 s5, 1
	s_cbranch_scc1 .LBB47_21
; %bb.7:
	s_load_dwordx2 s[2:3], s[0:1], 0x20
	s_load_dwordx2 s[8:9], s[0:1], 0x50
	;; [unrolled: 1-line block ×4, first 2 shown]
	v_and_b32_e32 v4, 3, v0
	v_lshlrev_b32_e32 v16, 2, v8
	s_movk_i32 s0, 0xc0
	v_and_or_b32 v12, v0, s0, v16
	v_cmp_gt_u32_e64 s[0:1], s7, v4
	s_and_b64 s[12:13], vcc, s[0:1]
	s_cmp_eq_u32 s14, 0
	s_cselect_b64 vcc, -1, 0
	s_abs_i32 s4, s7
	v_cvt_f32_u32_e32 v7, s4
	v_mbcnt_lo_u32_b32 v0, -1, 0
	v_mbcnt_hi_u32_b32 v0, -1, v0
	v_lshlrev_b32_e32 v3, 2, v0
	v_or_b32_e32 v0, v12, v4
	v_mov_b32_e32 v5, 0
	v_rcp_iflag_f32_e32 v7, v7
	v_lshlrev_b32_e32 v15, 2, v0
	v_mul_lo_u32 v0, v4, s6
	v_mov_b32_e32 v1, v5
	v_mul_lo_u32 v8, v8, s7
	s_waitcnt lgkmcnt(0)
	v_lshl_add_u64 v[0:1], v[0:1], 2, s[16:17]
	v_mov_b32_e32 v17, v5
	v_ashrrev_i32_e32 v9, 31, v8
	v_lshl_add_u64 v[0:1], v[0:1], 0, v[16:17]
	v_lshl_add_u64 v[8:9], v[8:9], 2, s[16:17]
	v_lshlrev_b32_e32 v16, 2, v4
	v_or_b32_e32 v14, 12, v3
	v_lshl_add_u64 v[8:9], v[8:9], 0, v[16:17]
	v_or_b32_e32 v16, 0xfc, v3
	v_mul_f32_e32 v3, 0x4f7ffffe, v7
	v_cvt_u32_f32_e32 v3, v3
	s_ashr_i32 s22, s7, 31
	s_mul_hi_u32 s0, s7, s6
	s_mul_i32 s1, s22, s6
	s_add_i32 s23, s0, s1
	s_sub_i32 s0, 0, s4
	v_mul_lo_u32 v7, s0, v3
	v_mul_hi_u32 v7, v3, v7
	v_mov_b32_e32 v13, 0
	s_mul_i32 s6, s7, s6
	v_cndmask_b32_e32 v1, v1, v9, vcc
	v_cndmask_b32_e32 v0, v0, v8, vcc
	v_add_u32_e32 v17, v3, v7
	s_mov_b64 s[14:15], 0
	v_mov_b32_e32 v18, 1
	v_mov_b32_e32 v3, 0
	s_branch .LBB47_10
.LBB47_8:                               ;   in Loop: Header=BB47_10 Depth=1
	s_or_b64 exec, exec, s[16:17]
	v_mov_b32_e32 v7, 1
.LBB47_9:                               ;   in Loop: Header=BB47_10 Depth=1
	s_or_b64 exec, exec, s[0:1]
	v_mov_b32_dpp v3, v19 row_shr:1 row_mask:0xf bank_mask:0xf
	v_min_i32_e32 v3, v3, v19
	v_add_u32_e32 v2, v7, v2
	s_waitcnt lgkmcnt(0)
	v_mov_b32_dpp v8, v3 row_shr:2 row_mask:0xf bank_mask:0xf
	v_min_i32_e32 v3, v8, v3
	s_nop 1
	v_mov_b32_dpp v8, v3 row_shr:4 row_mask:0xf bank_mask:0xe
	v_min_i32_e32 v3, v8, v3
	s_nop 1
	;; [unrolled: 3-line block ×3, first 2 shown]
	v_mov_b32_dpp v8, v3 row_bcast:15 row_mask:0xa bank_mask:0xf
	v_min_i32_e32 v3, v8, v3
	s_nop 1
	v_mov_b32_dpp v8, v3 row_bcast:31 row_mask:0xc bank_mask:0xf
	v_min_i32_e32 v3, v8, v3
	ds_bpermute_b32 v3, v16, v3
	s_waitcnt lgkmcnt(0)
	v_cmp_le_i32_e32 vcc, s5, v3
	s_or_b64 s[14:15], vcc, s[14:15]
	s_andn2_b64 exec, exec, s[14:15]
	s_cbranch_execz .LBB47_21
.LBB47_10:                              ; =>This Loop Header: Depth=1
                                        ;     Child Loop BB47_13 Depth 2
	v_add_u32_e32 v20, v6, v4
	v_cmp_lt_i32_e32 vcc, v20, v11
	v_mov_b32_e32 v19, s5
	v_mov_b32_e32 v22, v11
	ds_write_b8 v10, v13 offset:1024
	ds_write_b32 v15, v5
	s_waitcnt lgkmcnt(0)
	s_and_saveexec_b64 s[16:17], vcc
	s_cbranch_execz .LBB47_18
; %bb.11:                               ;   in Loop: Header=BB47_10 Depth=1
	v_ashrrev_i32_e32 v7, 31, v6
	v_lshl_add_u64 v[6:7], v[4:5], 0, v[6:7]
	v_lshlrev_b64 v[8:9], 2, v[6:7]
	v_mul_lo_u32 v21, v3, s7
	v_lshl_add_u64 v[6:7], s[10:11], 0, v[8:9]
	v_lshl_add_u64 v[8:9], s[2:3], 0, v[8:9]
	s_mov_b64 s[18:19], 0
	v_mov_b32_e32 v19, s5
	v_mov_b32_e32 v22, v11
	s_branch .LBB47_13
.LBB47_12:                              ;   in Loop: Header=BB47_13 Depth=2
	s_or_b64 exec, exec, s[0:1]
	v_add_u32_e32 v20, 4, v20
	v_cmp_ge_i32_e64 s[0:1], v20, v11
	s_xor_b64 s[24:25], vcc, -1
	s_or_b64 s[0:1], s[24:25], s[0:1]
	s_and_b64 s[0:1], exec, s[0:1]
	v_lshl_add_u64 v[6:7], v[6:7], 0, 16
	s_or_b64 s[18:19], s[0:1], s[18:19]
	v_lshl_add_u64 v[8:9], v[8:9], 0, 16
	s_andn2_b64 exec, exec, s[18:19]
	s_cbranch_execz .LBB47_17
.LBB47_13:                              ;   Parent Loop BB47_10 Depth=1
                                        ; =>  This Inner Loop Header: Depth=2
	global_load_dword v23, v[6:7], off
	s_waitcnt vmcnt(0)
	v_subrev_u32_e32 v23, s20, v23
	v_sub_u32_e32 v25, 0, v23
	v_max_i32_e32 v25, v23, v25
	v_mul_hi_u32 v26, v25, v17
	v_mul_lo_u32 v27, v26, s4
	v_sub_u32_e32 v25, v25, v27
	v_add_u32_e32 v28, 1, v26
	v_cmp_le_u32_e32 vcc, s4, v25
	v_subrev_u32_e32 v27, s4, v25
	v_ashrrev_i32_e32 v24, 31, v23
	v_cndmask_b32_e32 v26, v26, v28, vcc
	v_cndmask_b32_e32 v25, v25, v27, vcc
	v_add_u32_e32 v27, 1, v26
	v_cmp_le_u32_e32 vcc, s4, v25
	v_xor_b32_e32 v24, s22, v24
	s_nop 0
	v_cndmask_b32_e32 v25, v26, v27, vcc
	v_xor_b32_e32 v25, v25, v24
	v_sub_u32_e32 v25, v25, v24
	v_cmp_eq_u32_e32 vcc, v25, v3
	v_cmp_ne_u32_e64 s[0:1], v25, v3
	v_mov_b32_e32 v24, v22
	s_and_saveexec_b64 s[24:25], s[0:1]
	s_xor_b64 s[0:1], exec, s[24:25]
; %bb.14:                               ;   in Loop: Header=BB47_13 Depth=2
	v_min_i32_e32 v19, v25, v19
                                        ; implicit-def: $vgpr23
                                        ; implicit-def: $vgpr24
; %bb.15:                               ;   in Loop: Header=BB47_13 Depth=2
	s_or_saveexec_b64 s[0:1], s[0:1]
	v_mov_b32_e32 v22, v20
	s_xor_b64 exec, exec, s[0:1]
	s_cbranch_execz .LBB47_12
; %bb.16:                               ;   in Loop: Header=BB47_13 Depth=2
	global_load_dword v22, v[8:9], off
	v_sub_u32_e32 v23, v23, v21
	v_add_lshl_u32 v23, v12, v23, 2
	ds_write_b8 v10, v18 offset:1024
	s_waitcnt vmcnt(0)
	ds_write_b32 v23, v22
	v_mov_b32_e32 v22, v24
	s_branch .LBB47_12
.LBB47_17:                              ;   in Loop: Header=BB47_10 Depth=1
	s_or_b64 exec, exec, s[18:19]
.LBB47_18:                              ;   in Loop: Header=BB47_10 Depth=1
	s_or_b64 exec, exec, s[16:17]
	v_mov_b32_dpp v6, v22 row_shr:1 row_mask:0xf bank_mask:0xf
	v_min_i32_e32 v6, v6, v22
	s_waitcnt lgkmcnt(0)
	ds_read_u8 v7, v10 offset:1024
	v_mov_b32_dpp v8, v6 row_shr:2 row_mask:0xf bank_mask:0xf
	v_min_i32_e32 v6, v8, v6
	ds_bpermute_b32 v6, v14, v6
	s_waitcnt lgkmcnt(1)
	v_and_b32_e32 v7, 1, v7
	v_cmp_eq_u32_e32 vcc, 1, v7
	v_mov_b32_e32 v7, 0
	s_and_saveexec_b64 s[0:1], vcc
	s_cbranch_execz .LBB47_9
; %bb.19:                               ;   in Loop: Header=BB47_10 Depth=1
	v_add_u32_e32 v7, s21, v3
	v_ashrrev_i32_e32 v3, 31, v2
	v_lshl_add_u64 v[8:9], v[2:3], 2, s[8:9]
	global_store_dword v[8:9], v7, off
	s_and_saveexec_b64 s[16:17], s[12:13]
	s_cbranch_execz .LBB47_8
; %bb.20:                               ;   in Loop: Header=BB47_10 Depth=1
	ds_read_b32 v7, v15
	v_mul_lo_u32 v20, s23, v2
	v_mul_lo_u32 v3, s6, v3
	v_mad_u64_u32 v[8:9], s[18:19], s6, v2, 0
	v_add3_u32 v9, v9, v3, v20
	v_lshl_add_u64 v[8:9], v[8:9], 2, v[0:1]
	s_waitcnt lgkmcnt(0)
	global_store_dword v[8:9], v7, off
	s_branch .LBB47_8
.LBB47_21:
	s_endpgm
	.section	.rodata,"a",@progbits
	.p2align	6, 0x0
	.amdhsa_kernel _ZN9rocsparseL44csr2gebsr_wavefront_per_row_multipass_kernelILi256ELi16ELi4ELi64EfEEv20rocsparse_direction_iiiiii21rocsparse_index_base_PKT3_PKiS7_S2_PS3_PiS9_
		.amdhsa_group_segment_fixed_size 1028
		.amdhsa_private_segment_fixed_size 0
		.amdhsa_kernarg_size 88
		.amdhsa_user_sgpr_count 2
		.amdhsa_user_sgpr_dispatch_ptr 0
		.amdhsa_user_sgpr_queue_ptr 0
		.amdhsa_user_sgpr_kernarg_segment_ptr 1
		.amdhsa_user_sgpr_dispatch_id 0
		.amdhsa_user_sgpr_kernarg_preload_length 0
		.amdhsa_user_sgpr_kernarg_preload_offset 0
		.amdhsa_user_sgpr_private_segment_size 0
		.amdhsa_uses_dynamic_stack 0
		.amdhsa_enable_private_segment 0
		.amdhsa_system_sgpr_workgroup_id_x 1
		.amdhsa_system_sgpr_workgroup_id_y 0
		.amdhsa_system_sgpr_workgroup_id_z 0
		.amdhsa_system_sgpr_workgroup_info 0
		.amdhsa_system_vgpr_workitem_id 0
		.amdhsa_next_free_vgpr 29
		.amdhsa_next_free_sgpr 26
		.amdhsa_accum_offset 32
		.amdhsa_reserve_vcc 1
		.amdhsa_float_round_mode_32 0
		.amdhsa_float_round_mode_16_64 0
		.amdhsa_float_denorm_mode_32 3
		.amdhsa_float_denorm_mode_16_64 3
		.amdhsa_dx10_clamp 1
		.amdhsa_ieee_mode 1
		.amdhsa_fp16_overflow 0
		.amdhsa_tg_split 0
		.amdhsa_exception_fp_ieee_invalid_op 0
		.amdhsa_exception_fp_denorm_src 0
		.amdhsa_exception_fp_ieee_div_zero 0
		.amdhsa_exception_fp_ieee_overflow 0
		.amdhsa_exception_fp_ieee_underflow 0
		.amdhsa_exception_fp_ieee_inexact 0
		.amdhsa_exception_int_div_zero 0
	.end_amdhsa_kernel
	.section	.text._ZN9rocsparseL44csr2gebsr_wavefront_per_row_multipass_kernelILi256ELi16ELi4ELi64EfEEv20rocsparse_direction_iiiiii21rocsparse_index_base_PKT3_PKiS7_S2_PS3_PiS9_,"axG",@progbits,_ZN9rocsparseL44csr2gebsr_wavefront_per_row_multipass_kernelILi256ELi16ELi4ELi64EfEEv20rocsparse_direction_iiiiii21rocsparse_index_base_PKT3_PKiS7_S2_PS3_PiS9_,comdat
.Lfunc_end47:
	.size	_ZN9rocsparseL44csr2gebsr_wavefront_per_row_multipass_kernelILi256ELi16ELi4ELi64EfEEv20rocsparse_direction_iiiiii21rocsparse_index_base_PKT3_PKiS7_S2_PS3_PiS9_, .Lfunc_end47-_ZN9rocsparseL44csr2gebsr_wavefront_per_row_multipass_kernelILi256ELi16ELi4ELi64EfEEv20rocsparse_direction_iiiiii21rocsparse_index_base_PKT3_PKiS7_S2_PS3_PiS9_
                                        ; -- End function
	.section	.AMDGPU.csdata,"",@progbits
; Kernel info:
; codeLenInByte = 1188
; NumSgprs: 32
; NumVgprs: 29
; NumAgprs: 0
; TotalNumVgprs: 29
; ScratchSize: 0
; MemoryBound: 0
; FloatMode: 240
; IeeeMode: 1
; LDSByteSize: 1028 bytes/workgroup (compile time only)
; SGPRBlocks: 3
; VGPRBlocks: 3
; NumSGPRsForWavesPerEU: 32
; NumVGPRsForWavesPerEU: 29
; AccumOffset: 32
; Occupancy: 8
; WaveLimiterHint : 0
; COMPUTE_PGM_RSRC2:SCRATCH_EN: 0
; COMPUTE_PGM_RSRC2:USER_SGPR: 2
; COMPUTE_PGM_RSRC2:TRAP_HANDLER: 0
; COMPUTE_PGM_RSRC2:TGID_X_EN: 1
; COMPUTE_PGM_RSRC2:TGID_Y_EN: 0
; COMPUTE_PGM_RSRC2:TGID_Z_EN: 0
; COMPUTE_PGM_RSRC2:TIDIG_COMP_CNT: 0
; COMPUTE_PGM_RSRC3_GFX90A:ACCUM_OFFSET: 7
; COMPUTE_PGM_RSRC3_GFX90A:TG_SPLIT: 0
	.section	.text._ZN9rocsparseL44csr2gebsr_wavefront_per_row_multipass_kernelILi256ELi16ELi4ELi32EfEEv20rocsparse_direction_iiiiii21rocsparse_index_base_PKT3_PKiS7_S2_PS3_PiS9_,"axG",@progbits,_ZN9rocsparseL44csr2gebsr_wavefront_per_row_multipass_kernelILi256ELi16ELi4ELi32EfEEv20rocsparse_direction_iiiiii21rocsparse_index_base_PKT3_PKiS7_S2_PS3_PiS9_,comdat
	.globl	_ZN9rocsparseL44csr2gebsr_wavefront_per_row_multipass_kernelILi256ELi16ELi4ELi32EfEEv20rocsparse_direction_iiiiii21rocsparse_index_base_PKT3_PKiS7_S2_PS3_PiS9_ ; -- Begin function _ZN9rocsparseL44csr2gebsr_wavefront_per_row_multipass_kernelILi256ELi16ELi4ELi32EfEEv20rocsparse_direction_iiiiii21rocsparse_index_base_PKT3_PKiS7_S2_PS3_PiS9_
	.p2align	8
	.type	_ZN9rocsparseL44csr2gebsr_wavefront_per_row_multipass_kernelILi256ELi16ELi4ELi32EfEEv20rocsparse_direction_iiiiii21rocsparse_index_base_PKT3_PKiS7_S2_PS3_PiS9_,@function
_ZN9rocsparseL44csr2gebsr_wavefront_per_row_multipass_kernelILi256ELi16ELi4ELi32EfEEv20rocsparse_direction_iiiiii21rocsparse_index_base_PKT3_PKiS7_S2_PS3_PiS9_: ; @_ZN9rocsparseL44csr2gebsr_wavefront_per_row_multipass_kernelILi256ELi16ELi4ELi32EfEEv20rocsparse_direction_iiiiii21rocsparse_index_base_PKT3_PKiS7_S2_PS3_PiS9_
; %bb.0:
	s_load_dwordx2 s[14:15], s[0:1], 0x0
	s_load_dwordx4 s[4:7], s[0:1], 0xc
	s_load_dword s24, s[0:1], 0x1c
	s_load_dwordx2 s[8:9], s[0:1], 0x28
	v_lshrrev_b32_e32 v18, 5, v0
	v_bfe_u32 v6, v0, 1, 4
	v_lshl_or_b32 v4, s2, 3, v18
	s_waitcnt lgkmcnt(0)
	v_mad_u64_u32 v[2:3], s[2:3], v4, s6, v[6:7]
	v_cmp_gt_i32_e64 s[2:3], s15, v2
	v_cmp_gt_i32_e32 vcc, s6, v6
	s_and_b64 s[2:3], vcc, s[2:3]
	v_mov_b32_e32 v19, 0
	v_mov_b32_e32 v12, 0
	s_and_saveexec_b64 s[10:11], s[2:3]
	s_cbranch_execz .LBB48_2
; %bb.1:
	v_ashrrev_i32_e32 v3, 31, v2
	v_lshl_add_u64 v[8:9], v[2:3], 2, s[8:9]
	global_load_dword v1, v[8:9], off
	s_waitcnt vmcnt(0)
	v_subrev_u32_e32 v12, s24, v1
.LBB48_2:
	s_or_b64 exec, exec, s[10:11]
	s_and_saveexec_b64 s[10:11], s[2:3]
	s_cbranch_execz .LBB48_4
; %bb.3:
	v_ashrrev_i32_e32 v3, 31, v2
	v_lshl_add_u64 v[2:3], v[2:3], 2, s[8:9]
	global_load_dword v1, v[2:3], off offset:4
	s_waitcnt vmcnt(0)
	v_subrev_u32_e32 v19, s24, v1
.LBB48_4:
	s_or_b64 exec, exec, s[10:11]
	s_load_dword s25, s[0:1], 0x38
	v_cmp_gt_i32_e64 s[2:3], s4, v4
	v_mov_b32_e32 v2, 0
	s_and_saveexec_b64 s[8:9], s[2:3]
	s_cbranch_execz .LBB48_6
; %bb.5:
	s_load_dwordx2 s[2:3], s[0:1], 0x48
	v_ashrrev_i32_e32 v5, 31, v4
	s_waitcnt lgkmcnt(0)
	v_lshl_add_u64 v[2:3], v[4:5], 2, s[2:3]
	global_load_dword v1, v[2:3], off
	s_waitcnt vmcnt(0)
	v_subrev_u32_e32 v2, s25, v1
.LBB48_6:
	s_or_b64 exec, exec, s[8:9]
	s_cmp_lt_i32 s5, 1
	s_cbranch_scc1 .LBB48_30
; %bb.7:
	v_mbcnt_lo_u32_b32 v1, -1, 0
	v_mbcnt_hi_u32_b32 v1, -1, v1
	s_cmp_lg_u32 s14, 0
	v_lshlrev_b32_e32 v3, 2, v1
	s_cselect_b64 s[14:15], -1, 0
	s_abs_i32 s28, s7
	v_or_b32_e32 v22, 4, v3
	v_or_b32_e32 v23, 0x7c, v3
	v_cvt_f32_u32_e32 v3, s28
	s_load_dwordx2 s[8:9], s[0:1], 0x20
	s_load_dwordx2 s[10:11], s[0:1], 0x50
	;; [unrolled: 1-line block ×4, first 2 shown]
	s_ashr_i32 s4, s7, 31
	v_and_b32_e32 v0, 1, v0
	v_rcp_iflag_f32_e32 v3, v3
	v_lshlrev_b32_e32 v4, 2, v6
	s_mul_hi_u32 s0, s7, s6
	s_mul_i32 s1, s4, s6
	v_mul_f32_e32 v3, 0x4f7ffffe, v3
	v_cvt_u32_f32_e32 v3, v3
	v_lshl_or_b32 v20, v18, 6, v4
	s_add_i32 s26, s0, s1
	v_mul_lo_u32 v6, v6, s7
	v_cmp_gt_u32_e64 s[0:1], s7, v0
	v_or_b32_e32 v10, v20, v0
	v_mov_b32_e32 v1, 0
	v_ashrrev_i32_e32 v7, 31, v6
	s_and_b64 s[16:17], s[0:1], vcc
	s_sub_i32 s0, 0, s28
	v_mov_b32_e32 v5, v1
	s_waitcnt lgkmcnt(0)
	v_lshl_add_u64 v[6:7], v[6:7], 2, s[2:3]
	v_lshlrev_b32_e32 v8, 2, v0
	v_mov_b32_e32 v9, v1
	v_lshlrev_b32_e32 v24, 2, v10
	v_or_b32_e32 v10, 2, v0
	v_mul_lo_u32 v13, s0, v3
	v_lshl_add_u64 v[4:5], s[2:3], 0, v[4:5]
	v_lshl_add_u64 v[6:7], v[6:7], 0, v[8:9]
	v_mul_lo_u32 v8, v0, s6
	v_cmp_gt_u32_e64 s[2:3], s7, v10
	v_mul_hi_u32 v13, v3, v13
	v_mov_b32_e32 v21, 0
	s_mul_i32 s27, s7, s6
	v_lshl_add_u32 v10, s6, 1, v8
	v_mov_b32_e32 v11, v1
	v_or_b32_e32 v25, 8, v24
	s_and_b64 s[2:3], vcc, s[2:3]
	v_add_u32_e32 v26, v3, v13
	s_mov_b64 s[18:19], 0
	v_mov_b32_e32 v27, 1
	v_mov_b32_e32 v3, 0
	s_branch .LBB48_11
.LBB48_8:                               ;   in Loop: Header=BB48_11 Depth=1
	v_mov_b32_e32 v13, s6
.LBB48_9:                               ;   in Loop: Header=BB48_11 Depth=1
	s_or_b64 exec, exec, s[20:21]
.LBB48_10:                              ;   in Loop: Header=BB48_11 Depth=1
	s_or_b64 exec, exec, s[0:1]
	v_mov_b32_dpp v3, v28 row_shr:1 row_mask:0xf bank_mask:0xf
	v_min_i32_e32 v3, v3, v28
	v_add_u32_e32 v2, v13, v2
	s_waitcnt lgkmcnt(0)
	v_mov_b32_dpp v14, v3 row_shr:2 row_mask:0xf bank_mask:0xf
	v_min_i32_e32 v3, v14, v3
	s_nop 1
	v_mov_b32_dpp v14, v3 row_shr:4 row_mask:0xf bank_mask:0xe
	v_min_i32_e32 v3, v14, v3
	s_nop 1
	;; [unrolled: 3-line block ×3, first 2 shown]
	v_mov_b32_dpp v14, v3 row_bcast:15 row_mask:0xa bank_mask:0xf
	v_min_i32_e32 v3, v14, v3
	ds_bpermute_b32 v3, v23, v3
	s_waitcnt lgkmcnt(0)
	v_cmp_le_i32_e32 vcc, s5, v3
	s_or_b64 s[18:19], vcc, s[18:19]
	s_andn2_b64 exec, exec, s[18:19]
	s_cbranch_execz .LBB48_30
.LBB48_11:                              ; =>This Loop Header: Depth=1
                                        ;     Child Loop BB48_14 Depth 2
	v_add_u32_e32 v16, v12, v0
	v_cmp_lt_i32_e32 vcc, v16, v19
	v_mov_b32_e32 v28, s5
	v_mov_b32_e32 v29, v19
	ds_write_b8 v18, v21 offset:2048
	ds_write_b32 v24, v1
	ds_write_b32 v25, v1
	s_waitcnt lgkmcnt(0)
	s_and_saveexec_b64 s[20:21], vcc
	s_cbranch_execz .LBB48_19
; %bb.12:                               ;   in Loop: Header=BB48_11 Depth=1
	v_ashrrev_i32_e32 v13, 31, v12
	v_lshl_add_u64 v[12:13], v[0:1], 0, v[12:13]
	v_lshlrev_b64 v[14:15], 2, v[12:13]
	v_mul_lo_u32 v17, v3, s7
	v_lshl_add_u64 v[12:13], s[12:13], 0, v[14:15]
	v_lshl_add_u64 v[14:15], s[8:9], 0, v[14:15]
	s_mov_b64 s[22:23], 0
	v_mov_b32_e32 v28, s5
	v_mov_b32_e32 v29, v19
	s_branch .LBB48_14
.LBB48_13:                              ;   in Loop: Header=BB48_14 Depth=2
	s_or_b64 exec, exec, s[0:1]
	v_add_u32_e32 v16, 2, v16
	v_cmp_ge_i32_e64 s[0:1], v16, v19
	s_xor_b64 s[30:31], vcc, -1
	s_or_b64 s[0:1], s[30:31], s[0:1]
	s_and_b64 s[0:1], exec, s[0:1]
	v_lshl_add_u64 v[12:13], v[12:13], 0, 8
	s_or_b64 s[22:23], s[0:1], s[22:23]
	v_lshl_add_u64 v[14:15], v[14:15], 0, 8
	s_andn2_b64 exec, exec, s[22:23]
	s_cbranch_execz .LBB48_18
.LBB48_14:                              ;   Parent Loop BB48_11 Depth=1
                                        ; =>  This Inner Loop Header: Depth=2
	global_load_dword v30, v[12:13], off
	s_waitcnt vmcnt(0)
	v_subrev_u32_e32 v30, s24, v30
	v_sub_u32_e32 v32, 0, v30
	v_max_i32_e32 v32, v30, v32
	v_mul_hi_u32 v33, v32, v26
	v_mul_lo_u32 v34, v33, s28
	v_sub_u32_e32 v32, v32, v34
	v_add_u32_e32 v35, 1, v33
	v_cmp_le_u32_e32 vcc, s28, v32
	v_subrev_u32_e32 v34, s28, v32
	v_ashrrev_i32_e32 v31, 31, v30
	v_cndmask_b32_e32 v33, v33, v35, vcc
	v_cndmask_b32_e32 v32, v32, v34, vcc
	v_add_u32_e32 v34, 1, v33
	v_cmp_le_u32_e32 vcc, s28, v32
	v_xor_b32_e32 v31, s4, v31
	s_nop 0
	v_cndmask_b32_e32 v32, v33, v34, vcc
	v_xor_b32_e32 v32, v32, v31
	v_sub_u32_e32 v32, v32, v31
	v_cmp_eq_u32_e32 vcc, v32, v3
	v_cmp_ne_u32_e64 s[0:1], v32, v3
	v_mov_b32_e32 v31, v29
	s_and_saveexec_b64 s[30:31], s[0:1]
	s_xor_b64 s[0:1], exec, s[30:31]
; %bb.15:                               ;   in Loop: Header=BB48_14 Depth=2
	v_min_i32_e32 v28, v32, v28
                                        ; implicit-def: $vgpr30
                                        ; implicit-def: $vgpr31
; %bb.16:                               ;   in Loop: Header=BB48_14 Depth=2
	s_or_saveexec_b64 s[0:1], s[0:1]
	v_mov_b32_e32 v29, v16
	s_xor_b64 exec, exec, s[0:1]
	s_cbranch_execz .LBB48_13
; %bb.17:                               ;   in Loop: Header=BB48_14 Depth=2
	global_load_dword v29, v[14:15], off
	v_sub_u32_e32 v30, v30, v17
	v_add_lshl_u32 v30, v20, v30, 2
	ds_write_b8 v18, v27 offset:2048
	s_waitcnt vmcnt(0)
	ds_write_b32 v30, v29
	v_mov_b32_e32 v29, v31
	s_branch .LBB48_13
.LBB48_18:                              ;   in Loop: Header=BB48_11 Depth=1
	s_or_b64 exec, exec, s[22:23]
.LBB48_19:                              ;   in Loop: Header=BB48_11 Depth=1
	s_or_b64 exec, exec, s[20:21]
	s_waitcnt lgkmcnt(0)
	ds_read_u8 v13, v18 offset:2048
	v_mov_b32_dpp v12, v29 row_shr:1 row_mask:0xf bank_mask:0xf
	v_min_i32_e32 v12, v12, v29
	ds_bpermute_b32 v12, v22, v12
	s_waitcnt lgkmcnt(1)
	v_and_b32_e32 v13, 1, v13
	v_cmp_eq_u32_e32 vcc, 1, v13
	v_mov_b32_e32 v13, 0
	s_and_saveexec_b64 s[0:1], vcc
	s_cbranch_execz .LBB48_10
; %bb.20:                               ;   in Loop: Header=BB48_11 Depth=1
	v_add_u32_e32 v13, s25, v3
	v_ashrrev_i32_e32 v3, 31, v2
	v_lshl_add_u64 v[14:15], v[2:3], 2, s[10:11]
	global_store_dword v[14:15], v13, off
	v_mul_lo_u32 v13, s26, v2
	v_mul_lo_u32 v3, s27, v3
	v_mad_u64_u32 v[14:15], s[20:21], s27, v2, 0
	v_add3_u32 v15, v15, v3, v13
	v_lshlrev_b64 v[14:15], 2, v[14:15]
	v_lshl_add_u64 v[16:17], v[4:5], 0, v[14:15]
	v_lshl_add_u64 v[14:15], v[6:7], 0, v[14:15]
	s_and_saveexec_b64 s[20:21], s[16:17]
	s_cbranch_execz .LBB48_24
; %bb.21:                               ;   in Loop: Header=BB48_11 Depth=1
	s_and_b64 vcc, exec, s[14:15]
	s_cbranch_vccz .LBB48_27
; %bb.22:                               ;   in Loop: Header=BB48_11 Depth=1
	ds_read_b32 v3, v24
	v_lshl_add_u64 v[30:31], v[8:9], 2, v[16:17]
	s_waitcnt lgkmcnt(0)
	global_store_dword v[30:31], v3, off
	s_cbranch_execnz .LBB48_24
.LBB48_23:                              ;   in Loop: Header=BB48_11 Depth=1
	ds_read_b32 v3, v24
	s_waitcnt lgkmcnt(0)
	global_store_dword v[14:15], v3, off
.LBB48_24:                              ;   in Loop: Header=BB48_11 Depth=1
	s_or_b64 exec, exec, s[20:21]
	v_mov_b32_e32 v13, 1
	s_and_saveexec_b64 s[20:21], s[2:3]
	s_cbranch_execz .LBB48_9
; %bb.25:                               ;   in Loop: Header=BB48_11 Depth=1
	s_andn2_b64 vcc, exec, s[14:15]
	s_cbranch_vccnz .LBB48_28
; %bb.26:                               ;   in Loop: Header=BB48_11 Depth=1
	ds_read_b32 v3, v24 offset:8
	v_lshl_add_u64 v[16:17], v[10:11], 2, v[16:17]
	s_mov_b32 s6, 1
	s_waitcnt lgkmcnt(0)
	global_store_dword v[16:17], v3, off
	s_cbranch_execnz .LBB48_8
	s_branch .LBB48_29
.LBB48_27:                              ;   in Loop: Header=BB48_11 Depth=1
	s_branch .LBB48_23
.LBB48_28:                              ;   in Loop: Header=BB48_11 Depth=1
                                        ; implicit-def: $sgpr6
.LBB48_29:                              ;   in Loop: Header=BB48_11 Depth=1
	ds_read_b32 v3, v24 offset:8
	s_mov_b32 s6, 1
	s_waitcnt lgkmcnt(0)
	global_store_dword v[14:15], v3, off offset:8
	s_branch .LBB48_8
.LBB48_30:
	s_endpgm
	.section	.rodata,"a",@progbits
	.p2align	6, 0x0
	.amdhsa_kernel _ZN9rocsparseL44csr2gebsr_wavefront_per_row_multipass_kernelILi256ELi16ELi4ELi32EfEEv20rocsparse_direction_iiiiii21rocsparse_index_base_PKT3_PKiS7_S2_PS3_PiS9_
		.amdhsa_group_segment_fixed_size 2056
		.amdhsa_private_segment_fixed_size 0
		.amdhsa_kernarg_size 88
		.amdhsa_user_sgpr_count 2
		.amdhsa_user_sgpr_dispatch_ptr 0
		.amdhsa_user_sgpr_queue_ptr 0
		.amdhsa_user_sgpr_kernarg_segment_ptr 1
		.amdhsa_user_sgpr_dispatch_id 0
		.amdhsa_user_sgpr_kernarg_preload_length 0
		.amdhsa_user_sgpr_kernarg_preload_offset 0
		.amdhsa_user_sgpr_private_segment_size 0
		.amdhsa_uses_dynamic_stack 0
		.amdhsa_enable_private_segment 0
		.amdhsa_system_sgpr_workgroup_id_x 1
		.amdhsa_system_sgpr_workgroup_id_y 0
		.amdhsa_system_sgpr_workgroup_id_z 0
		.amdhsa_system_sgpr_workgroup_info 0
		.amdhsa_system_vgpr_workitem_id 0
		.amdhsa_next_free_vgpr 36
		.amdhsa_next_free_sgpr 32
		.amdhsa_accum_offset 36
		.amdhsa_reserve_vcc 1
		.amdhsa_float_round_mode_32 0
		.amdhsa_float_round_mode_16_64 0
		.amdhsa_float_denorm_mode_32 3
		.amdhsa_float_denorm_mode_16_64 3
		.amdhsa_dx10_clamp 1
		.amdhsa_ieee_mode 1
		.amdhsa_fp16_overflow 0
		.amdhsa_tg_split 0
		.amdhsa_exception_fp_ieee_invalid_op 0
		.amdhsa_exception_fp_denorm_src 0
		.amdhsa_exception_fp_ieee_div_zero 0
		.amdhsa_exception_fp_ieee_overflow 0
		.amdhsa_exception_fp_ieee_underflow 0
		.amdhsa_exception_fp_ieee_inexact 0
		.amdhsa_exception_int_div_zero 0
	.end_amdhsa_kernel
	.section	.text._ZN9rocsparseL44csr2gebsr_wavefront_per_row_multipass_kernelILi256ELi16ELi4ELi32EfEEv20rocsparse_direction_iiiiii21rocsparse_index_base_PKT3_PKiS7_S2_PS3_PiS9_,"axG",@progbits,_ZN9rocsparseL44csr2gebsr_wavefront_per_row_multipass_kernelILi256ELi16ELi4ELi32EfEEv20rocsparse_direction_iiiiii21rocsparse_index_base_PKT3_PKiS7_S2_PS3_PiS9_,comdat
.Lfunc_end48:
	.size	_ZN9rocsparseL44csr2gebsr_wavefront_per_row_multipass_kernelILi256ELi16ELi4ELi32EfEEv20rocsparse_direction_iiiiii21rocsparse_index_base_PKT3_PKiS7_S2_PS3_PiS9_, .Lfunc_end48-_ZN9rocsparseL44csr2gebsr_wavefront_per_row_multipass_kernelILi256ELi16ELi4ELi32EfEEv20rocsparse_direction_iiiiii21rocsparse_index_base_PKT3_PKiS7_S2_PS3_PiS9_
                                        ; -- End function
	.section	.AMDGPU.csdata,"",@progbits
; Kernel info:
; codeLenInByte = 1328
; NumSgprs: 38
; NumVgprs: 36
; NumAgprs: 0
; TotalNumVgprs: 36
; ScratchSize: 0
; MemoryBound: 0
; FloatMode: 240
; IeeeMode: 1
; LDSByteSize: 2056 bytes/workgroup (compile time only)
; SGPRBlocks: 4
; VGPRBlocks: 4
; NumSGPRsForWavesPerEU: 38
; NumVGPRsForWavesPerEU: 36
; AccumOffset: 36
; Occupancy: 8
; WaveLimiterHint : 0
; COMPUTE_PGM_RSRC2:SCRATCH_EN: 0
; COMPUTE_PGM_RSRC2:USER_SGPR: 2
; COMPUTE_PGM_RSRC2:TRAP_HANDLER: 0
; COMPUTE_PGM_RSRC2:TGID_X_EN: 1
; COMPUTE_PGM_RSRC2:TGID_Y_EN: 0
; COMPUTE_PGM_RSRC2:TGID_Z_EN: 0
; COMPUTE_PGM_RSRC2:TIDIG_COMP_CNT: 0
; COMPUTE_PGM_RSRC3_GFX90A:ACCUM_OFFSET: 8
; COMPUTE_PGM_RSRC3_GFX90A:TG_SPLIT: 0
	.section	.text._ZN9rocsparseL44csr2gebsr_wavefront_per_row_multipass_kernelILi256ELi16ELi8ELi64EfEEv20rocsparse_direction_iiiiii21rocsparse_index_base_PKT3_PKiS7_S2_PS3_PiS9_,"axG",@progbits,_ZN9rocsparseL44csr2gebsr_wavefront_per_row_multipass_kernelILi256ELi16ELi8ELi64EfEEv20rocsparse_direction_iiiiii21rocsparse_index_base_PKT3_PKiS7_S2_PS3_PiS9_,comdat
	.globl	_ZN9rocsparseL44csr2gebsr_wavefront_per_row_multipass_kernelILi256ELi16ELi8ELi64EfEEv20rocsparse_direction_iiiiii21rocsparse_index_base_PKT3_PKiS7_S2_PS3_PiS9_ ; -- Begin function _ZN9rocsparseL44csr2gebsr_wavefront_per_row_multipass_kernelILi256ELi16ELi8ELi64EfEEv20rocsparse_direction_iiiiii21rocsparse_index_base_PKT3_PKiS7_S2_PS3_PiS9_
	.p2align	8
	.type	_ZN9rocsparseL44csr2gebsr_wavefront_per_row_multipass_kernelILi256ELi16ELi8ELi64EfEEv20rocsparse_direction_iiiiii21rocsparse_index_base_PKT3_PKiS7_S2_PS3_PiS9_,@function
_ZN9rocsparseL44csr2gebsr_wavefront_per_row_multipass_kernelILi256ELi16ELi8ELi64EfEEv20rocsparse_direction_iiiiii21rocsparse_index_base_PKT3_PKiS7_S2_PS3_PiS9_: ; @_ZN9rocsparseL44csr2gebsr_wavefront_per_row_multipass_kernelILi256ELi16ELi8ELi64EfEEv20rocsparse_direction_iiiiii21rocsparse_index_base_PKT3_PKiS7_S2_PS3_PiS9_
; %bb.0:
	s_load_dwordx2 s[14:15], s[0:1], 0x0
	s_load_dwordx4 s[4:7], s[0:1], 0xc
	s_load_dword s24, s[0:1], 0x1c
	s_load_dwordx2 s[8:9], s[0:1], 0x28
	v_lshrrev_b32_e32 v18, 6, v0
	v_bfe_u32 v6, v0, 2, 4
	v_lshl_or_b32 v4, s2, 2, v18
	s_waitcnt lgkmcnt(0)
	v_mad_u64_u32 v[2:3], s[2:3], v4, s6, v[6:7]
	v_cmp_gt_i32_e64 s[2:3], s15, v2
	v_cmp_gt_i32_e32 vcc, s6, v6
	s_and_b64 s[2:3], vcc, s[2:3]
	v_mov_b32_e32 v19, 0
	v_mov_b32_e32 v12, 0
	s_and_saveexec_b64 s[10:11], s[2:3]
	s_cbranch_execz .LBB49_2
; %bb.1:
	v_ashrrev_i32_e32 v3, 31, v2
	v_lshl_add_u64 v[8:9], v[2:3], 2, s[8:9]
	global_load_dword v1, v[8:9], off
	s_waitcnt vmcnt(0)
	v_subrev_u32_e32 v12, s24, v1
.LBB49_2:
	s_or_b64 exec, exec, s[10:11]
	s_and_saveexec_b64 s[10:11], s[2:3]
	s_cbranch_execz .LBB49_4
; %bb.3:
	v_ashrrev_i32_e32 v3, 31, v2
	v_lshl_add_u64 v[2:3], v[2:3], 2, s[8:9]
	global_load_dword v1, v[2:3], off offset:4
	s_waitcnt vmcnt(0)
	v_subrev_u32_e32 v19, s24, v1
.LBB49_4:
	s_or_b64 exec, exec, s[10:11]
	s_load_dword s25, s[0:1], 0x38
	v_cmp_gt_i32_e64 s[2:3], s4, v4
	v_mov_b32_e32 v2, 0
	s_and_saveexec_b64 s[8:9], s[2:3]
	s_cbranch_execz .LBB49_6
; %bb.5:
	s_load_dwordx2 s[2:3], s[0:1], 0x48
	v_ashrrev_i32_e32 v5, 31, v4
	s_waitcnt lgkmcnt(0)
	v_lshl_add_u64 v[2:3], v[4:5], 2, s[2:3]
	global_load_dword v1, v[2:3], off
	s_waitcnt vmcnt(0)
	v_subrev_u32_e32 v2, s25, v1
.LBB49_6:
	s_or_b64 exec, exec, s[8:9]
	s_cmp_lt_i32 s5, 1
	s_cbranch_scc1 .LBB49_30
; %bb.7:
	v_lshlrev_b32_e32 v1, 7, v18
	v_lshl_or_b32 v20, v6, 3, v1
	v_mbcnt_lo_u32_b32 v1, -1, 0
	v_mbcnt_hi_u32_b32 v1, -1, v1
	s_cmp_lg_u32 s14, 0
	v_lshlrev_b32_e32 v3, 2, v1
	s_cselect_b64 s[14:15], -1, 0
	s_abs_i32 s28, s7
	v_or_b32_e32 v22, 12, v3
	v_or_b32_e32 v23, 0xfc, v3
	v_cvt_f32_u32_e32 v3, s28
	s_load_dwordx2 s[8:9], s[0:1], 0x20
	s_load_dwordx2 s[10:11], s[0:1], 0x50
	;; [unrolled: 1-line block ×4, first 2 shown]
	s_ashr_i32 s4, s7, 31
	v_and_b32_e32 v0, 3, v0
	v_rcp_iflag_f32_e32 v3, v3
	s_mul_hi_u32 s0, s7, s6
	s_mul_i32 s1, s4, s6
	s_add_i32 s26, s0, s1
	v_mul_f32_e32 v3, 0x4f7ffffe, v3
	v_cvt_u32_f32_e32 v3, v3
	v_lshlrev_b32_e32 v4, 2, v6
	v_mul_lo_u32 v6, v6, s7
	v_cmp_gt_u32_e64 s[0:1], s7, v0
	v_or_b32_e32 v10, v20, v0
	v_mov_b32_e32 v1, 0
	v_ashrrev_i32_e32 v7, 31, v6
	s_and_b64 s[16:17], s[0:1], vcc
	s_sub_i32 s0, 0, s28
	v_mov_b32_e32 v5, v1
	s_waitcnt lgkmcnt(0)
	v_lshl_add_u64 v[6:7], v[6:7], 2, s[2:3]
	v_lshlrev_b32_e32 v8, 2, v0
	v_mov_b32_e32 v9, v1
	v_lshlrev_b32_e32 v24, 2, v10
	v_or_b32_e32 v10, 4, v0
	v_mul_lo_u32 v13, s0, v3
	v_lshl_add_u64 v[4:5], s[2:3], 0, v[4:5]
	v_lshl_add_u64 v[6:7], v[6:7], 0, v[8:9]
	v_mul_lo_u32 v8, v0, s6
	v_cmp_gt_u32_e64 s[2:3], s7, v10
	v_mul_hi_u32 v13, v3, v13
	v_mov_b32_e32 v21, 0
	s_mul_i32 s27, s7, s6
	v_lshl_add_u32 v10, s6, 2, v8
	v_mov_b32_e32 v11, v1
	v_or_b32_e32 v25, 16, v24
	s_and_b64 s[2:3], vcc, s[2:3]
	v_add_u32_e32 v26, v3, v13
	s_mov_b64 s[18:19], 0
	v_mov_b32_e32 v27, 1
	v_mov_b32_e32 v3, 0
	s_branch .LBB49_11
.LBB49_8:                               ;   in Loop: Header=BB49_11 Depth=1
	v_mov_b32_e32 v13, s6
.LBB49_9:                               ;   in Loop: Header=BB49_11 Depth=1
	s_or_b64 exec, exec, s[20:21]
.LBB49_10:                              ;   in Loop: Header=BB49_11 Depth=1
	s_or_b64 exec, exec, s[0:1]
	v_mov_b32_dpp v3, v28 row_shr:1 row_mask:0xf bank_mask:0xf
	v_min_i32_e32 v3, v3, v28
	v_add_u32_e32 v2, v13, v2
	s_waitcnt lgkmcnt(0)
	v_mov_b32_dpp v14, v3 row_shr:2 row_mask:0xf bank_mask:0xf
	v_min_i32_e32 v3, v14, v3
	s_nop 1
	v_mov_b32_dpp v14, v3 row_shr:4 row_mask:0xf bank_mask:0xe
	v_min_i32_e32 v3, v14, v3
	s_nop 1
	;; [unrolled: 3-line block ×3, first 2 shown]
	v_mov_b32_dpp v14, v3 row_bcast:15 row_mask:0xa bank_mask:0xf
	v_min_i32_e32 v3, v14, v3
	s_nop 1
	v_mov_b32_dpp v14, v3 row_bcast:31 row_mask:0xc bank_mask:0xf
	v_min_i32_e32 v3, v14, v3
	ds_bpermute_b32 v3, v23, v3
	s_waitcnt lgkmcnt(0)
	v_cmp_le_i32_e32 vcc, s5, v3
	s_or_b64 s[18:19], vcc, s[18:19]
	s_andn2_b64 exec, exec, s[18:19]
	s_cbranch_execz .LBB49_30
.LBB49_11:                              ; =>This Loop Header: Depth=1
                                        ;     Child Loop BB49_14 Depth 2
	v_add_u32_e32 v16, v12, v0
	v_cmp_lt_i32_e32 vcc, v16, v19
	v_mov_b32_e32 v28, s5
	v_mov_b32_e32 v29, v19
	ds_write_b8 v18, v21 offset:2048
	ds_write_b32 v24, v1
	ds_write_b32 v25, v1
	s_waitcnt lgkmcnt(0)
	s_and_saveexec_b64 s[20:21], vcc
	s_cbranch_execz .LBB49_19
; %bb.12:                               ;   in Loop: Header=BB49_11 Depth=1
	v_ashrrev_i32_e32 v13, 31, v12
	v_lshl_add_u64 v[12:13], v[0:1], 0, v[12:13]
	v_lshlrev_b64 v[14:15], 2, v[12:13]
	v_mul_lo_u32 v17, v3, s7
	v_lshl_add_u64 v[12:13], s[12:13], 0, v[14:15]
	v_lshl_add_u64 v[14:15], s[8:9], 0, v[14:15]
	s_mov_b64 s[22:23], 0
	v_mov_b32_e32 v28, s5
	v_mov_b32_e32 v29, v19
	s_branch .LBB49_14
.LBB49_13:                              ;   in Loop: Header=BB49_14 Depth=2
	s_or_b64 exec, exec, s[0:1]
	v_add_u32_e32 v16, 4, v16
	v_cmp_ge_i32_e64 s[0:1], v16, v19
	s_xor_b64 s[30:31], vcc, -1
	s_or_b64 s[0:1], s[30:31], s[0:1]
	s_and_b64 s[0:1], exec, s[0:1]
	v_lshl_add_u64 v[12:13], v[12:13], 0, 16
	s_or_b64 s[22:23], s[0:1], s[22:23]
	v_lshl_add_u64 v[14:15], v[14:15], 0, 16
	s_andn2_b64 exec, exec, s[22:23]
	s_cbranch_execz .LBB49_18
.LBB49_14:                              ;   Parent Loop BB49_11 Depth=1
                                        ; =>  This Inner Loop Header: Depth=2
	global_load_dword v30, v[12:13], off
	s_waitcnt vmcnt(0)
	v_subrev_u32_e32 v30, s24, v30
	v_sub_u32_e32 v32, 0, v30
	v_max_i32_e32 v32, v30, v32
	v_mul_hi_u32 v33, v32, v26
	v_mul_lo_u32 v34, v33, s28
	v_sub_u32_e32 v32, v32, v34
	v_add_u32_e32 v35, 1, v33
	v_cmp_le_u32_e32 vcc, s28, v32
	v_subrev_u32_e32 v34, s28, v32
	v_ashrrev_i32_e32 v31, 31, v30
	v_cndmask_b32_e32 v33, v33, v35, vcc
	v_cndmask_b32_e32 v32, v32, v34, vcc
	v_add_u32_e32 v34, 1, v33
	v_cmp_le_u32_e32 vcc, s28, v32
	v_xor_b32_e32 v31, s4, v31
	s_nop 0
	v_cndmask_b32_e32 v32, v33, v34, vcc
	v_xor_b32_e32 v32, v32, v31
	v_sub_u32_e32 v32, v32, v31
	v_cmp_eq_u32_e32 vcc, v32, v3
	v_cmp_ne_u32_e64 s[0:1], v32, v3
	v_mov_b32_e32 v31, v29
	s_and_saveexec_b64 s[30:31], s[0:1]
	s_xor_b64 s[0:1], exec, s[30:31]
; %bb.15:                               ;   in Loop: Header=BB49_14 Depth=2
	v_min_i32_e32 v28, v32, v28
                                        ; implicit-def: $vgpr30
                                        ; implicit-def: $vgpr31
; %bb.16:                               ;   in Loop: Header=BB49_14 Depth=2
	s_or_saveexec_b64 s[0:1], s[0:1]
	v_mov_b32_e32 v29, v16
	s_xor_b64 exec, exec, s[0:1]
	s_cbranch_execz .LBB49_13
; %bb.17:                               ;   in Loop: Header=BB49_14 Depth=2
	global_load_dword v29, v[14:15], off
	v_sub_u32_e32 v30, v30, v17
	v_add_lshl_u32 v30, v20, v30, 2
	ds_write_b8 v18, v27 offset:2048
	s_waitcnt vmcnt(0)
	ds_write_b32 v30, v29
	v_mov_b32_e32 v29, v31
	s_branch .LBB49_13
.LBB49_18:                              ;   in Loop: Header=BB49_11 Depth=1
	s_or_b64 exec, exec, s[22:23]
.LBB49_19:                              ;   in Loop: Header=BB49_11 Depth=1
	s_or_b64 exec, exec, s[20:21]
	v_mov_b32_dpp v12, v29 row_shr:1 row_mask:0xf bank_mask:0xf
	v_min_i32_e32 v12, v12, v29
	s_waitcnt lgkmcnt(0)
	ds_read_u8 v13, v18 offset:2048
	v_mov_b32_dpp v14, v12 row_shr:2 row_mask:0xf bank_mask:0xf
	v_min_i32_e32 v12, v14, v12
	ds_bpermute_b32 v12, v22, v12
	s_waitcnt lgkmcnt(1)
	v_and_b32_e32 v13, 1, v13
	v_cmp_eq_u32_e32 vcc, 1, v13
	v_mov_b32_e32 v13, 0
	s_and_saveexec_b64 s[0:1], vcc
	s_cbranch_execz .LBB49_10
; %bb.20:                               ;   in Loop: Header=BB49_11 Depth=1
	v_add_u32_e32 v13, s25, v3
	v_ashrrev_i32_e32 v3, 31, v2
	v_lshl_add_u64 v[14:15], v[2:3], 2, s[10:11]
	global_store_dword v[14:15], v13, off
	v_mul_lo_u32 v13, s26, v2
	v_mul_lo_u32 v3, s27, v3
	v_mad_u64_u32 v[14:15], s[20:21], s27, v2, 0
	v_add3_u32 v15, v15, v3, v13
	v_lshlrev_b64 v[14:15], 2, v[14:15]
	v_lshl_add_u64 v[16:17], v[4:5], 0, v[14:15]
	v_lshl_add_u64 v[14:15], v[6:7], 0, v[14:15]
	s_and_saveexec_b64 s[20:21], s[16:17]
	s_cbranch_execz .LBB49_24
; %bb.21:                               ;   in Loop: Header=BB49_11 Depth=1
	s_and_b64 vcc, exec, s[14:15]
	s_cbranch_vccz .LBB49_27
; %bb.22:                               ;   in Loop: Header=BB49_11 Depth=1
	ds_read_b32 v3, v24
	v_lshl_add_u64 v[30:31], v[8:9], 2, v[16:17]
	s_waitcnt lgkmcnt(0)
	global_store_dword v[30:31], v3, off
	s_cbranch_execnz .LBB49_24
.LBB49_23:                              ;   in Loop: Header=BB49_11 Depth=1
	ds_read_b32 v3, v24
	s_waitcnt lgkmcnt(0)
	global_store_dword v[14:15], v3, off
.LBB49_24:                              ;   in Loop: Header=BB49_11 Depth=1
	s_or_b64 exec, exec, s[20:21]
	v_mov_b32_e32 v13, 1
	s_and_saveexec_b64 s[20:21], s[2:3]
	s_cbranch_execz .LBB49_9
; %bb.25:                               ;   in Loop: Header=BB49_11 Depth=1
	s_andn2_b64 vcc, exec, s[14:15]
	s_cbranch_vccnz .LBB49_28
; %bb.26:                               ;   in Loop: Header=BB49_11 Depth=1
	ds_read_b32 v3, v24 offset:16
	v_lshl_add_u64 v[16:17], v[10:11], 2, v[16:17]
	s_mov_b32 s6, 1
	s_waitcnt lgkmcnt(0)
	global_store_dword v[16:17], v3, off
	s_cbranch_execnz .LBB49_8
	s_branch .LBB49_29
.LBB49_27:                              ;   in Loop: Header=BB49_11 Depth=1
	s_branch .LBB49_23
.LBB49_28:                              ;   in Loop: Header=BB49_11 Depth=1
                                        ; implicit-def: $sgpr6
.LBB49_29:                              ;   in Loop: Header=BB49_11 Depth=1
	ds_read_b32 v3, v24 offset:16
	s_mov_b32 s6, 1
	s_waitcnt lgkmcnt(0)
	global_store_dword v[14:15], v3, off offset:16
	s_branch .LBB49_8
.LBB49_30:
	s_endpgm
	.section	.rodata,"a",@progbits
	.p2align	6, 0x0
	.amdhsa_kernel _ZN9rocsparseL44csr2gebsr_wavefront_per_row_multipass_kernelILi256ELi16ELi8ELi64EfEEv20rocsparse_direction_iiiiii21rocsparse_index_base_PKT3_PKiS7_S2_PS3_PiS9_
		.amdhsa_group_segment_fixed_size 2052
		.amdhsa_private_segment_fixed_size 0
		.amdhsa_kernarg_size 88
		.amdhsa_user_sgpr_count 2
		.amdhsa_user_sgpr_dispatch_ptr 0
		.amdhsa_user_sgpr_queue_ptr 0
		.amdhsa_user_sgpr_kernarg_segment_ptr 1
		.amdhsa_user_sgpr_dispatch_id 0
		.amdhsa_user_sgpr_kernarg_preload_length 0
		.amdhsa_user_sgpr_kernarg_preload_offset 0
		.amdhsa_user_sgpr_private_segment_size 0
		.amdhsa_uses_dynamic_stack 0
		.amdhsa_enable_private_segment 0
		.amdhsa_system_sgpr_workgroup_id_x 1
		.amdhsa_system_sgpr_workgroup_id_y 0
		.amdhsa_system_sgpr_workgroup_id_z 0
		.amdhsa_system_sgpr_workgroup_info 0
		.amdhsa_system_vgpr_workitem_id 0
		.amdhsa_next_free_vgpr 36
		.amdhsa_next_free_sgpr 32
		.amdhsa_accum_offset 36
		.amdhsa_reserve_vcc 1
		.amdhsa_float_round_mode_32 0
		.amdhsa_float_round_mode_16_64 0
		.amdhsa_float_denorm_mode_32 3
		.amdhsa_float_denorm_mode_16_64 3
		.amdhsa_dx10_clamp 1
		.amdhsa_ieee_mode 1
		.amdhsa_fp16_overflow 0
		.amdhsa_tg_split 0
		.amdhsa_exception_fp_ieee_invalid_op 0
		.amdhsa_exception_fp_denorm_src 0
		.amdhsa_exception_fp_ieee_div_zero 0
		.amdhsa_exception_fp_ieee_overflow 0
		.amdhsa_exception_fp_ieee_underflow 0
		.amdhsa_exception_fp_ieee_inexact 0
		.amdhsa_exception_int_div_zero 0
	.end_amdhsa_kernel
	.section	.text._ZN9rocsparseL44csr2gebsr_wavefront_per_row_multipass_kernelILi256ELi16ELi8ELi64EfEEv20rocsparse_direction_iiiiii21rocsparse_index_base_PKT3_PKiS7_S2_PS3_PiS9_,"axG",@progbits,_ZN9rocsparseL44csr2gebsr_wavefront_per_row_multipass_kernelILi256ELi16ELi8ELi64EfEEv20rocsparse_direction_iiiiii21rocsparse_index_base_PKT3_PKiS7_S2_PS3_PiS9_,comdat
.Lfunc_end49:
	.size	_ZN9rocsparseL44csr2gebsr_wavefront_per_row_multipass_kernelILi256ELi16ELi8ELi64EfEEv20rocsparse_direction_iiiiii21rocsparse_index_base_PKT3_PKiS7_S2_PS3_PiS9_, .Lfunc_end49-_ZN9rocsparseL44csr2gebsr_wavefront_per_row_multipass_kernelILi256ELi16ELi8ELi64EfEEv20rocsparse_direction_iiiiii21rocsparse_index_base_PKT3_PKiS7_S2_PS3_PiS9_
                                        ; -- End function
	.section	.AMDGPU.csdata,"",@progbits
; Kernel info:
; codeLenInByte = 1360
; NumSgprs: 38
; NumVgprs: 36
; NumAgprs: 0
; TotalNumVgprs: 36
; ScratchSize: 0
; MemoryBound: 0
; FloatMode: 240
; IeeeMode: 1
; LDSByteSize: 2052 bytes/workgroup (compile time only)
; SGPRBlocks: 4
; VGPRBlocks: 4
; NumSGPRsForWavesPerEU: 38
; NumVGPRsForWavesPerEU: 36
; AccumOffset: 36
; Occupancy: 8
; WaveLimiterHint : 0
; COMPUTE_PGM_RSRC2:SCRATCH_EN: 0
; COMPUTE_PGM_RSRC2:USER_SGPR: 2
; COMPUTE_PGM_RSRC2:TRAP_HANDLER: 0
; COMPUTE_PGM_RSRC2:TGID_X_EN: 1
; COMPUTE_PGM_RSRC2:TGID_Y_EN: 0
; COMPUTE_PGM_RSRC2:TGID_Z_EN: 0
; COMPUTE_PGM_RSRC2:TIDIG_COMP_CNT: 0
; COMPUTE_PGM_RSRC3_GFX90A:ACCUM_OFFSET: 8
; COMPUTE_PGM_RSRC3_GFX90A:TG_SPLIT: 0
	.section	.text._ZN9rocsparseL44csr2gebsr_wavefront_per_row_multipass_kernelILi256ELi16ELi8ELi32EfEEv20rocsparse_direction_iiiiii21rocsparse_index_base_PKT3_PKiS7_S2_PS3_PiS9_,"axG",@progbits,_ZN9rocsparseL44csr2gebsr_wavefront_per_row_multipass_kernelILi256ELi16ELi8ELi32EfEEv20rocsparse_direction_iiiiii21rocsparse_index_base_PKT3_PKiS7_S2_PS3_PiS9_,comdat
	.globl	_ZN9rocsparseL44csr2gebsr_wavefront_per_row_multipass_kernelILi256ELi16ELi8ELi32EfEEv20rocsparse_direction_iiiiii21rocsparse_index_base_PKT3_PKiS7_S2_PS3_PiS9_ ; -- Begin function _ZN9rocsparseL44csr2gebsr_wavefront_per_row_multipass_kernelILi256ELi16ELi8ELi32EfEEv20rocsparse_direction_iiiiii21rocsparse_index_base_PKT3_PKiS7_S2_PS3_PiS9_
	.p2align	8
	.type	_ZN9rocsparseL44csr2gebsr_wavefront_per_row_multipass_kernelILi256ELi16ELi8ELi32EfEEv20rocsparse_direction_iiiiii21rocsparse_index_base_PKT3_PKiS7_S2_PS3_PiS9_,@function
_ZN9rocsparseL44csr2gebsr_wavefront_per_row_multipass_kernelILi256ELi16ELi8ELi32EfEEv20rocsparse_direction_iiiiii21rocsparse_index_base_PKT3_PKiS7_S2_PS3_PiS9_: ; @_ZN9rocsparseL44csr2gebsr_wavefront_per_row_multipass_kernelILi256ELi16ELi8ELi32EfEEv20rocsparse_direction_iiiiii21rocsparse_index_base_PKT3_PKiS7_S2_PS3_PiS9_
; %bb.0:
	s_load_dwordx2 s[4:5], s[0:1], 0x0
	s_load_dwordx4 s[8:11], s[0:1], 0xc
	s_load_dword s30, s[0:1], 0x1c
	s_load_dwordx2 s[6:7], s[0:1], 0x28
	v_lshrrev_b32_e32 v22, 5, v0
	v_bfe_u32 v6, v0, 1, 4
	v_lshl_or_b32 v4, s2, 3, v22
	s_waitcnt lgkmcnt(0)
	v_mad_u64_u32 v[2:3], s[2:3], v4, s10, v[6:7]
	v_cmp_gt_i32_e64 s[2:3], s5, v2
	v_cmp_gt_i32_e32 vcc, s10, v6
	s_and_b64 s[2:3], vcc, s[2:3]
	v_mov_b32_e32 v23, 0
	v_mov_b32_e32 v16, 0
	s_and_saveexec_b64 s[12:13], s[2:3]
	s_cbranch_execz .LBB50_2
; %bb.1:
	v_ashrrev_i32_e32 v3, 31, v2
	v_lshl_add_u64 v[8:9], v[2:3], 2, s[6:7]
	global_load_dword v1, v[8:9], off
	s_waitcnt vmcnt(0)
	v_subrev_u32_e32 v16, s30, v1
.LBB50_2:
	s_or_b64 exec, exec, s[12:13]
	s_and_saveexec_b64 s[12:13], s[2:3]
	s_cbranch_execz .LBB50_4
; %bb.3:
	v_ashrrev_i32_e32 v3, 31, v2
	v_lshl_add_u64 v[2:3], v[2:3], 2, s[6:7]
	global_load_dword v1, v[2:3], off offset:4
	s_waitcnt vmcnt(0)
	v_subrev_u32_e32 v23, s30, v1
.LBB50_4:
	s_or_b64 exec, exec, s[12:13]
	s_load_dword s31, s[0:1], 0x38
	v_cmp_gt_i32_e64 s[2:3], s8, v4
	v_mov_b32_e32 v2, 0
	s_and_saveexec_b64 s[6:7], s[2:3]
	s_cbranch_execz .LBB50_6
; %bb.5:
	s_load_dwordx2 s[2:3], s[0:1], 0x48
	v_ashrrev_i32_e32 v5, 31, v4
	s_waitcnt lgkmcnt(0)
	v_lshl_add_u64 v[2:3], v[4:5], 2, s[2:3]
	global_load_dword v1, v[2:3], off
	s_waitcnt vmcnt(0)
	v_subrev_u32_e32 v2, s31, v1
.LBB50_6:
	s_or_b64 exec, exec, s[6:7]
	s_cmp_lt_i32 s9, 1
	s_cbranch_scc1 .LBB50_40
; %bb.7:
	s_load_dwordx2 s[12:13], s[0:1], 0x20
	s_load_dwordx2 s[14:15], s[0:1], 0x50
	;; [unrolled: 1-line block ×4, first 2 shown]
	v_lshlrev_b32_e32 v1, 7, v22
	v_lshl_or_b32 v24, v6, 3, v1
	v_mbcnt_lo_u32_b32 v1, -1, 0
	v_mbcnt_hi_u32_b32 v1, -1, v1
	v_lshlrev_b32_e32 v4, 2, v6
	v_mul_lo_u32 v6, v6, s11
	v_and_b32_e32 v0, 1, v0
	v_lshlrev_b32_e32 v3, 2, v1
	s_cmp_lg_u32 s4, 0
	v_mov_b32_e32 v1, 0
	v_ashrrev_i32_e32 v7, 31, v6
	s_cselect_b64 s[18:19], -1, 0
	s_ashr_i32 s8, s11, 31
	s_waitcnt lgkmcnt(0)
	v_lshl_add_u64 v[6:7], v[6:7], 2, s[2:3]
	v_lshlrev_b32_e32 v8, 2, v0
	v_mov_b32_e32 v9, v1
	v_or_b32_e32 v10, v24, v0
	s_mul_hi_u32 s0, s11, s10
	s_mul_i32 s1, s8, s10
	s_mul_i32 s34, s11, s10
	v_lshl_add_u64 v[6:7], v[6:7], 0, v[8:9]
	v_mul_lo_u32 v8, v0, s10
	s_lshl_b32 s10, s10, 1
	v_or_b32_e32 v26, 4, v3
	v_mov_b32_e32 v5, v1
	v_or_b32_e32 v27, 0x7c, v3
	v_lshlrev_b32_e32 v28, 2, v10
	v_or_b32_e32 v3, 2, v0
	v_add_u32_e32 v10, s10, v8
	v_lshl_add_u64 v[4:5], s[2:3], 0, v[4:5]
	v_cmp_gt_u32_e64 s[2:3], s11, v3
	v_or_b32_e32 v3, 4, v0
	v_add_u32_e32 v12, s10, v10
	v_cmp_gt_u32_e64 s[4:5], s11, v3
	v_or_b32_e32 v3, 6, v0
	v_add_u32_e32 v14, s10, v12
	s_abs_i32 s10, s11
	v_cmp_gt_u32_e64 s[6:7], s11, v3
	v_cvt_f32_u32_e32 v3, s10
	s_add_i32 s33, s0, s1
	v_cmp_gt_u32_e64 s[0:1], s11, v0
	s_and_b64 s[20:21], s[0:1], vcc
	v_rcp_iflag_f32_e32 v3, v3
	s_sub_i32 s0, 0, s10
	v_mov_b32_e32 v25, 0
	v_mov_b32_e32 v11, v1
	v_mul_f32_e32 v3, 0x4f7ffffe, v3
	v_cvt_u32_f32_e32 v3, v3
	v_mov_b32_e32 v13, v1
	v_mov_b32_e32 v15, v1
	v_or_b32_e32 v29, 8, v28
	v_mul_lo_u32 v17, s0, v3
	v_mul_hi_u32 v17, v3, v17
	v_or_b32_e32 v30, 16, v28
	v_or_b32_e32 v31, 24, v28
	s_and_b64 s[2:3], vcc, s[2:3]
	s_and_b64 s[4:5], vcc, s[4:5]
	;; [unrolled: 1-line block ×3, first 2 shown]
	v_add_u32_e32 v32, v3, v17
	s_mov_b64 s[22:23], 0
	v_mov_b32_e32 v33, 1
	v_mov_b32_e32 v3, 0
	s_branch .LBB50_11
.LBB50_8:                               ;   in Loop: Header=BB50_11 Depth=1
	v_mov_b32_e32 v17, s28
.LBB50_9:                               ;   in Loop: Header=BB50_11 Depth=1
	s_or_b64 exec, exec, s[26:27]
.LBB50_10:                              ;   in Loop: Header=BB50_11 Depth=1
	s_or_b64 exec, exec, s[24:25]
	v_mov_b32_dpp v3, v34 row_shr:1 row_mask:0xf bank_mask:0xf
	v_min_i32_e32 v3, v3, v34
	v_add_u32_e32 v2, v17, v2
	s_waitcnt lgkmcnt(0)
	v_mov_b32_dpp v18, v3 row_shr:2 row_mask:0xf bank_mask:0xf
	v_min_i32_e32 v3, v18, v3
	s_nop 1
	v_mov_b32_dpp v18, v3 row_shr:4 row_mask:0xf bank_mask:0xe
	v_min_i32_e32 v3, v18, v3
	s_nop 1
	;; [unrolled: 3-line block ×3, first 2 shown]
	v_mov_b32_dpp v18, v3 row_bcast:15 row_mask:0xa bank_mask:0xf
	v_min_i32_e32 v3, v18, v3
	ds_bpermute_b32 v3, v27, v3
	s_waitcnt lgkmcnt(0)
	v_cmp_le_i32_e32 vcc, s9, v3
	s_or_b64 s[22:23], vcc, s[22:23]
	s_andn2_b64 exec, exec, s[22:23]
	s_cbranch_execz .LBB50_40
.LBB50_11:                              ; =>This Loop Header: Depth=1
                                        ;     Child Loop BB50_14 Depth 2
	v_add_u32_e32 v20, v16, v0
	v_cmp_lt_i32_e32 vcc, v20, v23
	v_mov_b32_e32 v34, s9
	v_mov_b32_e32 v35, v23
	ds_write_b8 v22, v25 offset:4096
	ds_write_b32 v28, v1
	ds_write_b32 v29, v1
	;; [unrolled: 1-line block ×4, first 2 shown]
	s_waitcnt lgkmcnt(0)
	s_and_saveexec_b64 s[24:25], vcc
	s_cbranch_execz .LBB50_19
; %bb.12:                               ;   in Loop: Header=BB50_11 Depth=1
	v_ashrrev_i32_e32 v17, 31, v16
	v_lshl_add_u64 v[16:17], v[0:1], 0, v[16:17]
	v_lshlrev_b64 v[18:19], 2, v[16:17]
	v_mul_lo_u32 v21, v3, s11
	v_lshl_add_u64 v[16:17], s[16:17], 0, v[18:19]
	v_lshl_add_u64 v[18:19], s[12:13], 0, v[18:19]
	s_mov_b64 s[26:27], 0
	v_mov_b32_e32 v34, s9
	v_mov_b32_e32 v35, v23
	s_branch .LBB50_14
.LBB50_13:                              ;   in Loop: Header=BB50_14 Depth=2
	s_or_b64 exec, exec, s[0:1]
	v_add_u32_e32 v20, 2, v20
	v_cmp_ge_i32_e64 s[0:1], v20, v23
	s_xor_b64 s[28:29], vcc, -1
	s_or_b64 s[0:1], s[28:29], s[0:1]
	s_and_b64 s[0:1], exec, s[0:1]
	v_lshl_add_u64 v[16:17], v[16:17], 0, 8
	s_or_b64 s[26:27], s[0:1], s[26:27]
	v_lshl_add_u64 v[18:19], v[18:19], 0, 8
	s_andn2_b64 exec, exec, s[26:27]
	s_cbranch_execz .LBB50_18
.LBB50_14:                              ;   Parent Loop BB50_11 Depth=1
                                        ; =>  This Inner Loop Header: Depth=2
	global_load_dword v36, v[16:17], off
	s_waitcnt vmcnt(0)
	v_subrev_u32_e32 v36, s30, v36
	v_sub_u32_e32 v38, 0, v36
	v_max_i32_e32 v38, v36, v38
	v_mul_hi_u32 v39, v38, v32
	v_mul_lo_u32 v40, v39, s10
	v_sub_u32_e32 v38, v38, v40
	v_add_u32_e32 v41, 1, v39
	v_cmp_le_u32_e32 vcc, s10, v38
	v_subrev_u32_e32 v40, s10, v38
	v_ashrrev_i32_e32 v37, 31, v36
	v_cndmask_b32_e32 v39, v39, v41, vcc
	v_cndmask_b32_e32 v38, v38, v40, vcc
	v_add_u32_e32 v40, 1, v39
	v_cmp_le_u32_e32 vcc, s10, v38
	v_xor_b32_e32 v37, s8, v37
	s_nop 0
	v_cndmask_b32_e32 v38, v39, v40, vcc
	v_xor_b32_e32 v38, v38, v37
	v_sub_u32_e32 v38, v38, v37
	v_cmp_eq_u32_e32 vcc, v38, v3
	v_cmp_ne_u32_e64 s[0:1], v38, v3
	v_mov_b32_e32 v37, v35
	s_and_saveexec_b64 s[28:29], s[0:1]
	s_xor_b64 s[0:1], exec, s[28:29]
; %bb.15:                               ;   in Loop: Header=BB50_14 Depth=2
	v_min_i32_e32 v34, v38, v34
                                        ; implicit-def: $vgpr36
                                        ; implicit-def: $vgpr37
; %bb.16:                               ;   in Loop: Header=BB50_14 Depth=2
	s_or_saveexec_b64 s[0:1], s[0:1]
	v_mov_b32_e32 v35, v20
	s_xor_b64 exec, exec, s[0:1]
	s_cbranch_execz .LBB50_13
; %bb.17:                               ;   in Loop: Header=BB50_14 Depth=2
	global_load_dword v35, v[18:19], off
	v_sub_u32_e32 v36, v36, v21
	v_add_lshl_u32 v36, v24, v36, 2
	ds_write_b8 v22, v33 offset:4096
	s_waitcnt vmcnt(0)
	ds_write_b32 v36, v35
	v_mov_b32_e32 v35, v37
	s_branch .LBB50_13
.LBB50_18:                              ;   in Loop: Header=BB50_11 Depth=1
	s_or_b64 exec, exec, s[26:27]
.LBB50_19:                              ;   in Loop: Header=BB50_11 Depth=1
	s_or_b64 exec, exec, s[24:25]
	s_waitcnt lgkmcnt(0)
	ds_read_u8 v17, v22 offset:4096
	v_mov_b32_dpp v16, v35 row_shr:1 row_mask:0xf bank_mask:0xf
	v_min_i32_e32 v16, v16, v35
	ds_bpermute_b32 v16, v26, v16
	s_waitcnt lgkmcnt(1)
	v_and_b32_e32 v17, 1, v17
	v_cmp_eq_u32_e32 vcc, 1, v17
	v_mov_b32_e32 v17, 0
	s_and_saveexec_b64 s[24:25], vcc
	s_cbranch_execz .LBB50_10
; %bb.20:                               ;   in Loop: Header=BB50_11 Depth=1
	v_add_u32_e32 v17, s31, v3
	v_ashrrev_i32_e32 v3, 31, v2
	v_lshl_add_u64 v[18:19], v[2:3], 2, s[14:15]
	global_store_dword v[18:19], v17, off
	v_mul_lo_u32 v17, s33, v2
	v_mul_lo_u32 v3, s34, v3
	v_mad_u64_u32 v[18:19], s[0:1], s34, v2, 0
	v_add3_u32 v19, v19, v3, v17
	v_lshlrev_b64 v[18:19], 2, v[18:19]
	v_lshl_add_u64 v[20:21], v[4:5], 0, v[18:19]
	v_lshl_add_u64 v[18:19], v[6:7], 0, v[18:19]
	s_and_saveexec_b64 s[0:1], s[20:21]
	s_cbranch_execz .LBB50_24
; %bb.21:                               ;   in Loop: Header=BB50_11 Depth=1
	s_and_b64 vcc, exec, s[18:19]
	s_cbranch_vccz .LBB50_35
; %bb.22:                               ;   in Loop: Header=BB50_11 Depth=1
	ds_read_b32 v3, v28
	v_lshl_add_u64 v[36:37], v[8:9], 2, v[20:21]
	s_waitcnt lgkmcnt(0)
	global_store_dword v[36:37], v3, off
	s_cbranch_execnz .LBB50_24
.LBB50_23:                              ;   in Loop: Header=BB50_11 Depth=1
	ds_read_b32 v3, v28
	s_waitcnt lgkmcnt(0)
	global_store_dword v[18:19], v3, off
.LBB50_24:                              ;   in Loop: Header=BB50_11 Depth=1
	s_or_b64 exec, exec, s[0:1]
	v_cndmask_b32_e64 v3, 0, 1, s[18:19]
	v_cmp_ne_u32_e64 s[0:1], 1, v3
	s_and_saveexec_b64 s[26:27], s[2:3]
	s_cbranch_execz .LBB50_28
; %bb.25:                               ;   in Loop: Header=BB50_11 Depth=1
	s_and_b64 vcc, exec, s[0:1]
	s_cbranch_vccnz .LBB50_36
; %bb.26:                               ;   in Loop: Header=BB50_11 Depth=1
	ds_read_b32 v3, v28 offset:8
	v_lshl_add_u64 v[36:37], v[10:11], 2, v[20:21]
	s_waitcnt lgkmcnt(0)
	global_store_dword v[36:37], v3, off
	s_cbranch_execnz .LBB50_28
.LBB50_27:                              ;   in Loop: Header=BB50_11 Depth=1
	ds_read_b32 v3, v28 offset:8
	s_waitcnt lgkmcnt(0)
	global_store_dword v[18:19], v3, off offset:8
.LBB50_28:                              ;   in Loop: Header=BB50_11 Depth=1
	s_or_b64 exec, exec, s[26:27]
	s_and_saveexec_b64 s[26:27], s[4:5]
	s_cbranch_execz .LBB50_32
; %bb.29:                               ;   in Loop: Header=BB50_11 Depth=1
	s_and_b64 vcc, exec, s[0:1]
	s_cbranch_vccnz .LBB50_37
; %bb.30:                               ;   in Loop: Header=BB50_11 Depth=1
	ds_read_b32 v3, v28 offset:16
	v_lshl_add_u64 v[36:37], v[12:13], 2, v[20:21]
	s_waitcnt lgkmcnt(0)
	global_store_dword v[36:37], v3, off
	s_cbranch_execnz .LBB50_32
.LBB50_31:                              ;   in Loop: Header=BB50_11 Depth=1
	ds_read_b32 v3, v28 offset:16
	s_waitcnt lgkmcnt(0)
	global_store_dword v[18:19], v3, off offset:16
.LBB50_32:                              ;   in Loop: Header=BB50_11 Depth=1
	s_or_b64 exec, exec, s[26:27]
	v_mov_b32_e32 v17, 1
	s_and_saveexec_b64 s[26:27], s[6:7]
	s_cbranch_execz .LBB50_9
; %bb.33:                               ;   in Loop: Header=BB50_11 Depth=1
	s_and_b64 vcc, exec, s[0:1]
	s_cbranch_vccnz .LBB50_38
; %bb.34:                               ;   in Loop: Header=BB50_11 Depth=1
	ds_read_b32 v3, v28 offset:24
	v_lshl_add_u64 v[20:21], v[14:15], 2, v[20:21]
	s_mov_b32 s28, 1
	s_waitcnt lgkmcnt(0)
	global_store_dword v[20:21], v3, off
	s_cbranch_execnz .LBB50_8
	s_branch .LBB50_39
.LBB50_35:                              ;   in Loop: Header=BB50_11 Depth=1
	s_branch .LBB50_23
.LBB50_36:                              ;   in Loop: Header=BB50_11 Depth=1
	s_branch .LBB50_27
.LBB50_37:                              ;   in Loop: Header=BB50_11 Depth=1
	s_branch .LBB50_31
.LBB50_38:                              ;   in Loop: Header=BB50_11 Depth=1
                                        ; implicit-def: $sgpr28
.LBB50_39:                              ;   in Loop: Header=BB50_11 Depth=1
	ds_read_b32 v3, v28 offset:24
	s_mov_b32 s28, 1
	s_waitcnt lgkmcnt(0)
	global_store_dword v[18:19], v3, off offset:24
	s_branch .LBB50_8
.LBB50_40:
	s_endpgm
	.section	.rodata,"a",@progbits
	.p2align	6, 0x0
	.amdhsa_kernel _ZN9rocsparseL44csr2gebsr_wavefront_per_row_multipass_kernelILi256ELi16ELi8ELi32EfEEv20rocsparse_direction_iiiiii21rocsparse_index_base_PKT3_PKiS7_S2_PS3_PiS9_
		.amdhsa_group_segment_fixed_size 4104
		.amdhsa_private_segment_fixed_size 0
		.amdhsa_kernarg_size 88
		.amdhsa_user_sgpr_count 2
		.amdhsa_user_sgpr_dispatch_ptr 0
		.amdhsa_user_sgpr_queue_ptr 0
		.amdhsa_user_sgpr_kernarg_segment_ptr 1
		.amdhsa_user_sgpr_dispatch_id 0
		.amdhsa_user_sgpr_kernarg_preload_length 0
		.amdhsa_user_sgpr_kernarg_preload_offset 0
		.amdhsa_user_sgpr_private_segment_size 0
		.amdhsa_uses_dynamic_stack 0
		.amdhsa_enable_private_segment 0
		.amdhsa_system_sgpr_workgroup_id_x 1
		.amdhsa_system_sgpr_workgroup_id_y 0
		.amdhsa_system_sgpr_workgroup_id_z 0
		.amdhsa_system_sgpr_workgroup_info 0
		.amdhsa_system_vgpr_workitem_id 0
		.amdhsa_next_free_vgpr 42
		.amdhsa_next_free_sgpr 35
		.amdhsa_accum_offset 44
		.amdhsa_reserve_vcc 1
		.amdhsa_float_round_mode_32 0
		.amdhsa_float_round_mode_16_64 0
		.amdhsa_float_denorm_mode_32 3
		.amdhsa_float_denorm_mode_16_64 3
		.amdhsa_dx10_clamp 1
		.amdhsa_ieee_mode 1
		.amdhsa_fp16_overflow 0
		.amdhsa_tg_split 0
		.amdhsa_exception_fp_ieee_invalid_op 0
		.amdhsa_exception_fp_denorm_src 0
		.amdhsa_exception_fp_ieee_div_zero 0
		.amdhsa_exception_fp_ieee_overflow 0
		.amdhsa_exception_fp_ieee_underflow 0
		.amdhsa_exception_fp_ieee_inexact 0
		.amdhsa_exception_int_div_zero 0
	.end_amdhsa_kernel
	.section	.text._ZN9rocsparseL44csr2gebsr_wavefront_per_row_multipass_kernelILi256ELi16ELi8ELi32EfEEv20rocsparse_direction_iiiiii21rocsparse_index_base_PKT3_PKiS7_S2_PS3_PiS9_,"axG",@progbits,_ZN9rocsparseL44csr2gebsr_wavefront_per_row_multipass_kernelILi256ELi16ELi8ELi32EfEEv20rocsparse_direction_iiiiii21rocsparse_index_base_PKT3_PKiS7_S2_PS3_PiS9_,comdat
.Lfunc_end50:
	.size	_ZN9rocsparseL44csr2gebsr_wavefront_per_row_multipass_kernelILi256ELi16ELi8ELi32EfEEv20rocsparse_direction_iiiiii21rocsparse_index_base_PKT3_PKiS7_S2_PS3_PiS9_, .Lfunc_end50-_ZN9rocsparseL44csr2gebsr_wavefront_per_row_multipass_kernelILi256ELi16ELi8ELi32EfEEv20rocsparse_direction_iiiiii21rocsparse_index_base_PKT3_PKiS7_S2_PS3_PiS9_
                                        ; -- End function
	.section	.AMDGPU.csdata,"",@progbits
; Kernel info:
; codeLenInByte = 1572
; NumSgprs: 41
; NumVgprs: 42
; NumAgprs: 0
; TotalNumVgprs: 42
; ScratchSize: 0
; MemoryBound: 0
; FloatMode: 240
; IeeeMode: 1
; LDSByteSize: 4104 bytes/workgroup (compile time only)
; SGPRBlocks: 5
; VGPRBlocks: 5
; NumSGPRsForWavesPerEU: 41
; NumVGPRsForWavesPerEU: 42
; AccumOffset: 44
; Occupancy: 8
; WaveLimiterHint : 0
; COMPUTE_PGM_RSRC2:SCRATCH_EN: 0
; COMPUTE_PGM_RSRC2:USER_SGPR: 2
; COMPUTE_PGM_RSRC2:TRAP_HANDLER: 0
; COMPUTE_PGM_RSRC2:TGID_X_EN: 1
; COMPUTE_PGM_RSRC2:TGID_Y_EN: 0
; COMPUTE_PGM_RSRC2:TGID_Z_EN: 0
; COMPUTE_PGM_RSRC2:TIDIG_COMP_CNT: 0
; COMPUTE_PGM_RSRC3_GFX90A:ACCUM_OFFSET: 10
; COMPUTE_PGM_RSRC3_GFX90A:TG_SPLIT: 0
	.section	.text._ZN9rocsparseL44csr2gebsr_wavefront_per_row_multipass_kernelILi256ELi16ELi16ELi64EfEEv20rocsparse_direction_iiiiii21rocsparse_index_base_PKT3_PKiS7_S2_PS3_PiS9_,"axG",@progbits,_ZN9rocsparseL44csr2gebsr_wavefront_per_row_multipass_kernelILi256ELi16ELi16ELi64EfEEv20rocsparse_direction_iiiiii21rocsparse_index_base_PKT3_PKiS7_S2_PS3_PiS9_,comdat
	.globl	_ZN9rocsparseL44csr2gebsr_wavefront_per_row_multipass_kernelILi256ELi16ELi16ELi64EfEEv20rocsparse_direction_iiiiii21rocsparse_index_base_PKT3_PKiS7_S2_PS3_PiS9_ ; -- Begin function _ZN9rocsparseL44csr2gebsr_wavefront_per_row_multipass_kernelILi256ELi16ELi16ELi64EfEEv20rocsparse_direction_iiiiii21rocsparse_index_base_PKT3_PKiS7_S2_PS3_PiS9_
	.p2align	8
	.type	_ZN9rocsparseL44csr2gebsr_wavefront_per_row_multipass_kernelILi256ELi16ELi16ELi64EfEEv20rocsparse_direction_iiiiii21rocsparse_index_base_PKT3_PKiS7_S2_PS3_PiS9_,@function
_ZN9rocsparseL44csr2gebsr_wavefront_per_row_multipass_kernelILi256ELi16ELi16ELi64EfEEv20rocsparse_direction_iiiiii21rocsparse_index_base_PKT3_PKiS7_S2_PS3_PiS9_: ; @_ZN9rocsparseL44csr2gebsr_wavefront_per_row_multipass_kernelILi256ELi16ELi16ELi64EfEEv20rocsparse_direction_iiiiii21rocsparse_index_base_PKT3_PKiS7_S2_PS3_PiS9_
; %bb.0:
	s_load_dwordx2 s[4:5], s[0:1], 0x0
	s_load_dwordx4 s[8:11], s[0:1], 0xc
	s_load_dword s30, s[0:1], 0x1c
	s_load_dwordx2 s[6:7], s[0:1], 0x28
	v_lshrrev_b32_e32 v22, 6, v0
	v_bfe_u32 v6, v0, 2, 4
	v_lshl_or_b32 v4, s2, 2, v22
	s_waitcnt lgkmcnt(0)
	v_mad_u64_u32 v[2:3], s[2:3], v4, s10, v[6:7]
	v_cmp_gt_i32_e64 s[2:3], s5, v2
	v_cmp_gt_i32_e32 vcc, s10, v6
	s_and_b64 s[2:3], vcc, s[2:3]
	v_mov_b32_e32 v23, 0
	v_mov_b32_e32 v16, 0
	s_and_saveexec_b64 s[12:13], s[2:3]
	s_cbranch_execz .LBB51_2
; %bb.1:
	v_ashrrev_i32_e32 v3, 31, v2
	v_lshl_add_u64 v[8:9], v[2:3], 2, s[6:7]
	global_load_dword v1, v[8:9], off
	s_waitcnt vmcnt(0)
	v_subrev_u32_e32 v16, s30, v1
.LBB51_2:
	s_or_b64 exec, exec, s[12:13]
	s_and_saveexec_b64 s[12:13], s[2:3]
	s_cbranch_execz .LBB51_4
; %bb.3:
	v_ashrrev_i32_e32 v3, 31, v2
	v_lshl_add_u64 v[2:3], v[2:3], 2, s[6:7]
	global_load_dword v1, v[2:3], off offset:4
	s_waitcnt vmcnt(0)
	v_subrev_u32_e32 v23, s30, v1
.LBB51_4:
	s_or_b64 exec, exec, s[12:13]
	s_load_dword s31, s[0:1], 0x38
	v_cmp_gt_i32_e64 s[2:3], s8, v4
	v_mov_b32_e32 v2, 0
	s_and_saveexec_b64 s[6:7], s[2:3]
	s_cbranch_execz .LBB51_6
; %bb.5:
	s_load_dwordx2 s[2:3], s[0:1], 0x48
	v_ashrrev_i32_e32 v5, 31, v4
	s_waitcnt lgkmcnt(0)
	v_lshl_add_u64 v[2:3], v[4:5], 2, s[2:3]
	global_load_dword v1, v[2:3], off
	s_waitcnt vmcnt(0)
	v_subrev_u32_e32 v2, s31, v1
.LBB51_6:
	s_or_b64 exec, exec, s[6:7]
	s_cmp_lt_i32 s9, 1
	s_cbranch_scc1 .LBB51_40
; %bb.7:
	s_load_dwordx2 s[12:13], s[0:1], 0x20
	s_load_dwordx2 s[14:15], s[0:1], 0x50
	;; [unrolled: 1-line block ×4, first 2 shown]
	v_lshlrev_b32_e32 v1, 8, v22
	v_lshl_or_b32 v24, v6, 4, v1
	v_mbcnt_lo_u32_b32 v1, -1, 0
	v_mbcnt_hi_u32_b32 v1, -1, v1
	v_lshlrev_b32_e32 v4, 2, v6
	v_mul_lo_u32 v6, v6, s11
	v_and_b32_e32 v0, 3, v0
	v_lshlrev_b32_e32 v3, 2, v1
	s_cmp_lg_u32 s4, 0
	v_mov_b32_e32 v1, 0
	v_ashrrev_i32_e32 v7, 31, v6
	s_cselect_b64 s[18:19], -1, 0
	s_ashr_i32 s8, s11, 31
	s_waitcnt lgkmcnt(0)
	v_lshl_add_u64 v[6:7], v[6:7], 2, s[2:3]
	v_lshlrev_b32_e32 v8, 2, v0
	v_mov_b32_e32 v9, v1
	v_or_b32_e32 v10, v24, v0
	s_mul_hi_u32 s0, s11, s10
	s_mul_i32 s1, s8, s10
	s_mul_i32 s34, s11, s10
	v_lshl_add_u64 v[6:7], v[6:7], 0, v[8:9]
	v_mul_lo_u32 v8, v0, s10
	s_lshl_b32 s10, s10, 2
	v_or_b32_e32 v26, 12, v3
	v_mov_b32_e32 v5, v1
	v_or_b32_e32 v27, 0xfc, v3
	v_lshlrev_b32_e32 v28, 2, v10
	v_or_b32_e32 v3, 4, v0
	v_add_u32_e32 v10, s10, v8
	v_lshl_add_u64 v[4:5], s[2:3], 0, v[4:5]
	v_cmp_gt_u32_e64 s[2:3], s11, v3
	v_or_b32_e32 v3, 8, v0
	v_add_u32_e32 v12, s10, v10
	v_cmp_gt_u32_e64 s[4:5], s11, v3
	v_or_b32_e32 v3, 12, v0
	v_add_u32_e32 v14, s10, v12
	s_abs_i32 s10, s11
	v_cmp_gt_u32_e64 s[6:7], s11, v3
	v_cvt_f32_u32_e32 v3, s10
	s_add_i32 s33, s0, s1
	v_cmp_gt_u32_e64 s[0:1], s11, v0
	s_and_b64 s[20:21], s[0:1], vcc
	v_rcp_iflag_f32_e32 v3, v3
	s_sub_i32 s0, 0, s10
	v_mov_b32_e32 v25, 0
	v_mov_b32_e32 v11, v1
	v_mul_f32_e32 v3, 0x4f7ffffe, v3
	v_cvt_u32_f32_e32 v3, v3
	v_mov_b32_e32 v13, v1
	v_mov_b32_e32 v15, v1
	v_or_b32_e32 v29, 16, v28
	v_mul_lo_u32 v17, s0, v3
	v_mul_hi_u32 v17, v3, v17
	v_or_b32_e32 v30, 32, v28
	v_or_b32_e32 v31, 48, v28
	s_and_b64 s[2:3], vcc, s[2:3]
	s_and_b64 s[4:5], vcc, s[4:5]
	;; [unrolled: 1-line block ×3, first 2 shown]
	v_add_u32_e32 v32, v3, v17
	s_mov_b64 s[22:23], 0
	v_mov_b32_e32 v33, 1
	v_mov_b32_e32 v3, 0
	s_branch .LBB51_11
.LBB51_8:                               ;   in Loop: Header=BB51_11 Depth=1
	v_mov_b32_e32 v17, s28
.LBB51_9:                               ;   in Loop: Header=BB51_11 Depth=1
	s_or_b64 exec, exec, s[26:27]
.LBB51_10:                              ;   in Loop: Header=BB51_11 Depth=1
	s_or_b64 exec, exec, s[24:25]
	v_mov_b32_dpp v3, v34 row_shr:1 row_mask:0xf bank_mask:0xf
	v_min_i32_e32 v3, v3, v34
	v_add_u32_e32 v2, v17, v2
	s_waitcnt lgkmcnt(0)
	v_mov_b32_dpp v18, v3 row_shr:2 row_mask:0xf bank_mask:0xf
	v_min_i32_e32 v3, v18, v3
	s_nop 1
	v_mov_b32_dpp v18, v3 row_shr:4 row_mask:0xf bank_mask:0xe
	v_min_i32_e32 v3, v18, v3
	s_nop 1
	;; [unrolled: 3-line block ×3, first 2 shown]
	v_mov_b32_dpp v18, v3 row_bcast:15 row_mask:0xa bank_mask:0xf
	v_min_i32_e32 v3, v18, v3
	s_nop 1
	v_mov_b32_dpp v18, v3 row_bcast:31 row_mask:0xc bank_mask:0xf
	v_min_i32_e32 v3, v18, v3
	ds_bpermute_b32 v3, v27, v3
	s_waitcnt lgkmcnt(0)
	v_cmp_le_i32_e32 vcc, s9, v3
	s_or_b64 s[22:23], vcc, s[22:23]
	s_andn2_b64 exec, exec, s[22:23]
	s_cbranch_execz .LBB51_40
.LBB51_11:                              ; =>This Loop Header: Depth=1
                                        ;     Child Loop BB51_14 Depth 2
	v_add_u32_e32 v20, v16, v0
	v_cmp_lt_i32_e32 vcc, v20, v23
	v_mov_b32_e32 v34, s9
	v_mov_b32_e32 v35, v23
	ds_write_b8 v22, v25 offset:4096
	ds_write_b32 v28, v1
	ds_write_b32 v29, v1
	;; [unrolled: 1-line block ×4, first 2 shown]
	s_waitcnt lgkmcnt(0)
	s_and_saveexec_b64 s[24:25], vcc
	s_cbranch_execz .LBB51_19
; %bb.12:                               ;   in Loop: Header=BB51_11 Depth=1
	v_ashrrev_i32_e32 v17, 31, v16
	v_lshl_add_u64 v[16:17], v[0:1], 0, v[16:17]
	v_lshlrev_b64 v[18:19], 2, v[16:17]
	v_mul_lo_u32 v21, v3, s11
	v_lshl_add_u64 v[16:17], s[16:17], 0, v[18:19]
	v_lshl_add_u64 v[18:19], s[12:13], 0, v[18:19]
	s_mov_b64 s[26:27], 0
	v_mov_b32_e32 v34, s9
	v_mov_b32_e32 v35, v23
	s_branch .LBB51_14
.LBB51_13:                              ;   in Loop: Header=BB51_14 Depth=2
	s_or_b64 exec, exec, s[0:1]
	v_add_u32_e32 v20, 4, v20
	v_cmp_ge_i32_e64 s[0:1], v20, v23
	s_xor_b64 s[28:29], vcc, -1
	s_or_b64 s[0:1], s[28:29], s[0:1]
	s_and_b64 s[0:1], exec, s[0:1]
	v_lshl_add_u64 v[16:17], v[16:17], 0, 16
	s_or_b64 s[26:27], s[0:1], s[26:27]
	v_lshl_add_u64 v[18:19], v[18:19], 0, 16
	s_andn2_b64 exec, exec, s[26:27]
	s_cbranch_execz .LBB51_18
.LBB51_14:                              ;   Parent Loop BB51_11 Depth=1
                                        ; =>  This Inner Loop Header: Depth=2
	global_load_dword v36, v[16:17], off
	s_waitcnt vmcnt(0)
	v_subrev_u32_e32 v36, s30, v36
	v_sub_u32_e32 v38, 0, v36
	v_max_i32_e32 v38, v36, v38
	v_mul_hi_u32 v39, v38, v32
	v_mul_lo_u32 v40, v39, s10
	v_sub_u32_e32 v38, v38, v40
	v_add_u32_e32 v41, 1, v39
	v_cmp_le_u32_e32 vcc, s10, v38
	v_subrev_u32_e32 v40, s10, v38
	v_ashrrev_i32_e32 v37, 31, v36
	v_cndmask_b32_e32 v39, v39, v41, vcc
	v_cndmask_b32_e32 v38, v38, v40, vcc
	v_add_u32_e32 v40, 1, v39
	v_cmp_le_u32_e32 vcc, s10, v38
	v_xor_b32_e32 v37, s8, v37
	s_nop 0
	v_cndmask_b32_e32 v38, v39, v40, vcc
	v_xor_b32_e32 v38, v38, v37
	v_sub_u32_e32 v38, v38, v37
	v_cmp_eq_u32_e32 vcc, v38, v3
	v_cmp_ne_u32_e64 s[0:1], v38, v3
	v_mov_b32_e32 v37, v35
	s_and_saveexec_b64 s[28:29], s[0:1]
	s_xor_b64 s[0:1], exec, s[28:29]
; %bb.15:                               ;   in Loop: Header=BB51_14 Depth=2
	v_min_i32_e32 v34, v38, v34
                                        ; implicit-def: $vgpr36
                                        ; implicit-def: $vgpr37
; %bb.16:                               ;   in Loop: Header=BB51_14 Depth=2
	s_or_saveexec_b64 s[0:1], s[0:1]
	v_mov_b32_e32 v35, v20
	s_xor_b64 exec, exec, s[0:1]
	s_cbranch_execz .LBB51_13
; %bb.17:                               ;   in Loop: Header=BB51_14 Depth=2
	global_load_dword v35, v[18:19], off
	v_sub_u32_e32 v36, v36, v21
	v_add_lshl_u32 v36, v24, v36, 2
	ds_write_b8 v22, v33 offset:4096
	s_waitcnt vmcnt(0)
	ds_write_b32 v36, v35
	v_mov_b32_e32 v35, v37
	s_branch .LBB51_13
.LBB51_18:                              ;   in Loop: Header=BB51_11 Depth=1
	s_or_b64 exec, exec, s[26:27]
.LBB51_19:                              ;   in Loop: Header=BB51_11 Depth=1
	s_or_b64 exec, exec, s[24:25]
	v_mov_b32_dpp v16, v35 row_shr:1 row_mask:0xf bank_mask:0xf
	v_min_i32_e32 v16, v16, v35
	s_waitcnt lgkmcnt(0)
	ds_read_u8 v17, v22 offset:4096
	v_mov_b32_dpp v18, v16 row_shr:2 row_mask:0xf bank_mask:0xf
	v_min_i32_e32 v16, v18, v16
	ds_bpermute_b32 v16, v26, v16
	s_waitcnt lgkmcnt(1)
	v_and_b32_e32 v17, 1, v17
	v_cmp_eq_u32_e32 vcc, 1, v17
	v_mov_b32_e32 v17, 0
	s_and_saveexec_b64 s[24:25], vcc
	s_cbranch_execz .LBB51_10
; %bb.20:                               ;   in Loop: Header=BB51_11 Depth=1
	v_add_u32_e32 v17, s31, v3
	v_ashrrev_i32_e32 v3, 31, v2
	v_lshl_add_u64 v[18:19], v[2:3], 2, s[14:15]
	global_store_dword v[18:19], v17, off
	v_mul_lo_u32 v17, s33, v2
	v_mul_lo_u32 v3, s34, v3
	v_mad_u64_u32 v[18:19], s[0:1], s34, v2, 0
	v_add3_u32 v19, v19, v3, v17
	v_lshlrev_b64 v[18:19], 2, v[18:19]
	v_lshl_add_u64 v[20:21], v[4:5], 0, v[18:19]
	v_lshl_add_u64 v[18:19], v[6:7], 0, v[18:19]
	s_and_saveexec_b64 s[0:1], s[20:21]
	s_cbranch_execz .LBB51_24
; %bb.21:                               ;   in Loop: Header=BB51_11 Depth=1
	s_and_b64 vcc, exec, s[18:19]
	s_cbranch_vccz .LBB51_35
; %bb.22:                               ;   in Loop: Header=BB51_11 Depth=1
	ds_read_b32 v3, v28
	v_lshl_add_u64 v[36:37], v[8:9], 2, v[20:21]
	s_waitcnt lgkmcnt(0)
	global_store_dword v[36:37], v3, off
	s_cbranch_execnz .LBB51_24
.LBB51_23:                              ;   in Loop: Header=BB51_11 Depth=1
	ds_read_b32 v3, v28
	s_waitcnt lgkmcnt(0)
	global_store_dword v[18:19], v3, off
.LBB51_24:                              ;   in Loop: Header=BB51_11 Depth=1
	s_or_b64 exec, exec, s[0:1]
	v_cndmask_b32_e64 v3, 0, 1, s[18:19]
	v_cmp_ne_u32_e64 s[0:1], 1, v3
	s_and_saveexec_b64 s[26:27], s[2:3]
	s_cbranch_execz .LBB51_28
; %bb.25:                               ;   in Loop: Header=BB51_11 Depth=1
	s_and_b64 vcc, exec, s[0:1]
	s_cbranch_vccnz .LBB51_36
; %bb.26:                               ;   in Loop: Header=BB51_11 Depth=1
	ds_read_b32 v3, v28 offset:16
	v_lshl_add_u64 v[36:37], v[10:11], 2, v[20:21]
	s_waitcnt lgkmcnt(0)
	global_store_dword v[36:37], v3, off
	s_cbranch_execnz .LBB51_28
.LBB51_27:                              ;   in Loop: Header=BB51_11 Depth=1
	ds_read_b32 v3, v28 offset:16
	s_waitcnt lgkmcnt(0)
	global_store_dword v[18:19], v3, off offset:16
.LBB51_28:                              ;   in Loop: Header=BB51_11 Depth=1
	s_or_b64 exec, exec, s[26:27]
	s_and_saveexec_b64 s[26:27], s[4:5]
	s_cbranch_execz .LBB51_32
; %bb.29:                               ;   in Loop: Header=BB51_11 Depth=1
	s_and_b64 vcc, exec, s[0:1]
	s_cbranch_vccnz .LBB51_37
; %bb.30:                               ;   in Loop: Header=BB51_11 Depth=1
	ds_read_b32 v3, v28 offset:32
	v_lshl_add_u64 v[36:37], v[12:13], 2, v[20:21]
	s_waitcnt lgkmcnt(0)
	global_store_dword v[36:37], v3, off
	s_cbranch_execnz .LBB51_32
.LBB51_31:                              ;   in Loop: Header=BB51_11 Depth=1
	ds_read_b32 v3, v28 offset:32
	s_waitcnt lgkmcnt(0)
	global_store_dword v[18:19], v3, off offset:32
.LBB51_32:                              ;   in Loop: Header=BB51_11 Depth=1
	s_or_b64 exec, exec, s[26:27]
	v_mov_b32_e32 v17, 1
	s_and_saveexec_b64 s[26:27], s[6:7]
	s_cbranch_execz .LBB51_9
; %bb.33:                               ;   in Loop: Header=BB51_11 Depth=1
	s_and_b64 vcc, exec, s[0:1]
	s_cbranch_vccnz .LBB51_38
; %bb.34:                               ;   in Loop: Header=BB51_11 Depth=1
	ds_read_b32 v3, v28 offset:48
	v_lshl_add_u64 v[20:21], v[14:15], 2, v[20:21]
	s_mov_b32 s28, 1
	s_waitcnt lgkmcnt(0)
	global_store_dword v[20:21], v3, off
	s_cbranch_execnz .LBB51_8
	s_branch .LBB51_39
.LBB51_35:                              ;   in Loop: Header=BB51_11 Depth=1
	s_branch .LBB51_23
.LBB51_36:                              ;   in Loop: Header=BB51_11 Depth=1
	s_branch .LBB51_27
.LBB51_37:                              ;   in Loop: Header=BB51_11 Depth=1
	s_branch .LBB51_31
.LBB51_38:                              ;   in Loop: Header=BB51_11 Depth=1
                                        ; implicit-def: $sgpr28
.LBB51_39:                              ;   in Loop: Header=BB51_11 Depth=1
	ds_read_b32 v3, v28 offset:48
	s_mov_b32 s28, 1
	s_waitcnt lgkmcnt(0)
	global_store_dword v[18:19], v3, off offset:48
	s_branch .LBB51_8
.LBB51_40:
	s_endpgm
	.section	.rodata,"a",@progbits
	.p2align	6, 0x0
	.amdhsa_kernel _ZN9rocsparseL44csr2gebsr_wavefront_per_row_multipass_kernelILi256ELi16ELi16ELi64EfEEv20rocsparse_direction_iiiiii21rocsparse_index_base_PKT3_PKiS7_S2_PS3_PiS9_
		.amdhsa_group_segment_fixed_size 4100
		.amdhsa_private_segment_fixed_size 0
		.amdhsa_kernarg_size 88
		.amdhsa_user_sgpr_count 2
		.amdhsa_user_sgpr_dispatch_ptr 0
		.amdhsa_user_sgpr_queue_ptr 0
		.amdhsa_user_sgpr_kernarg_segment_ptr 1
		.amdhsa_user_sgpr_dispatch_id 0
		.amdhsa_user_sgpr_kernarg_preload_length 0
		.amdhsa_user_sgpr_kernarg_preload_offset 0
		.amdhsa_user_sgpr_private_segment_size 0
		.amdhsa_uses_dynamic_stack 0
		.amdhsa_enable_private_segment 0
		.amdhsa_system_sgpr_workgroup_id_x 1
		.amdhsa_system_sgpr_workgroup_id_y 0
		.amdhsa_system_sgpr_workgroup_id_z 0
		.amdhsa_system_sgpr_workgroup_info 0
		.amdhsa_system_vgpr_workitem_id 0
		.amdhsa_next_free_vgpr 42
		.amdhsa_next_free_sgpr 35
		.amdhsa_accum_offset 44
		.amdhsa_reserve_vcc 1
		.amdhsa_float_round_mode_32 0
		.amdhsa_float_round_mode_16_64 0
		.amdhsa_float_denorm_mode_32 3
		.amdhsa_float_denorm_mode_16_64 3
		.amdhsa_dx10_clamp 1
		.amdhsa_ieee_mode 1
		.amdhsa_fp16_overflow 0
		.amdhsa_tg_split 0
		.amdhsa_exception_fp_ieee_invalid_op 0
		.amdhsa_exception_fp_denorm_src 0
		.amdhsa_exception_fp_ieee_div_zero 0
		.amdhsa_exception_fp_ieee_overflow 0
		.amdhsa_exception_fp_ieee_underflow 0
		.amdhsa_exception_fp_ieee_inexact 0
		.amdhsa_exception_int_div_zero 0
	.end_amdhsa_kernel
	.section	.text._ZN9rocsparseL44csr2gebsr_wavefront_per_row_multipass_kernelILi256ELi16ELi16ELi64EfEEv20rocsparse_direction_iiiiii21rocsparse_index_base_PKT3_PKiS7_S2_PS3_PiS9_,"axG",@progbits,_ZN9rocsparseL44csr2gebsr_wavefront_per_row_multipass_kernelILi256ELi16ELi16ELi64EfEEv20rocsparse_direction_iiiiii21rocsparse_index_base_PKT3_PKiS7_S2_PS3_PiS9_,comdat
.Lfunc_end51:
	.size	_ZN9rocsparseL44csr2gebsr_wavefront_per_row_multipass_kernelILi256ELi16ELi16ELi64EfEEv20rocsparse_direction_iiiiii21rocsparse_index_base_PKT3_PKiS7_S2_PS3_PiS9_, .Lfunc_end51-_ZN9rocsparseL44csr2gebsr_wavefront_per_row_multipass_kernelILi256ELi16ELi16ELi64EfEEv20rocsparse_direction_iiiiii21rocsparse_index_base_PKT3_PKiS7_S2_PS3_PiS9_
                                        ; -- End function
	.section	.AMDGPU.csdata,"",@progbits
; Kernel info:
; codeLenInByte = 1600
; NumSgprs: 41
; NumVgprs: 42
; NumAgprs: 0
; TotalNumVgprs: 42
; ScratchSize: 0
; MemoryBound: 0
; FloatMode: 240
; IeeeMode: 1
; LDSByteSize: 4100 bytes/workgroup (compile time only)
; SGPRBlocks: 5
; VGPRBlocks: 5
; NumSGPRsForWavesPerEU: 41
; NumVGPRsForWavesPerEU: 42
; AccumOffset: 44
; Occupancy: 8
; WaveLimiterHint : 0
; COMPUTE_PGM_RSRC2:SCRATCH_EN: 0
; COMPUTE_PGM_RSRC2:USER_SGPR: 2
; COMPUTE_PGM_RSRC2:TRAP_HANDLER: 0
; COMPUTE_PGM_RSRC2:TGID_X_EN: 1
; COMPUTE_PGM_RSRC2:TGID_Y_EN: 0
; COMPUTE_PGM_RSRC2:TGID_Z_EN: 0
; COMPUTE_PGM_RSRC2:TIDIG_COMP_CNT: 0
; COMPUTE_PGM_RSRC3_GFX90A:ACCUM_OFFSET: 10
; COMPUTE_PGM_RSRC3_GFX90A:TG_SPLIT: 0
	.section	.text._ZN9rocsparseL44csr2gebsr_wavefront_per_row_multipass_kernelILi256ELi16ELi16ELi32EfEEv20rocsparse_direction_iiiiii21rocsparse_index_base_PKT3_PKiS7_S2_PS3_PiS9_,"axG",@progbits,_ZN9rocsparseL44csr2gebsr_wavefront_per_row_multipass_kernelILi256ELi16ELi16ELi32EfEEv20rocsparse_direction_iiiiii21rocsparse_index_base_PKT3_PKiS7_S2_PS3_PiS9_,comdat
	.globl	_ZN9rocsparseL44csr2gebsr_wavefront_per_row_multipass_kernelILi256ELi16ELi16ELi32EfEEv20rocsparse_direction_iiiiii21rocsparse_index_base_PKT3_PKiS7_S2_PS3_PiS9_ ; -- Begin function _ZN9rocsparseL44csr2gebsr_wavefront_per_row_multipass_kernelILi256ELi16ELi16ELi32EfEEv20rocsparse_direction_iiiiii21rocsparse_index_base_PKT3_PKiS7_S2_PS3_PiS9_
	.p2align	8
	.type	_ZN9rocsparseL44csr2gebsr_wavefront_per_row_multipass_kernelILi256ELi16ELi16ELi32EfEEv20rocsparse_direction_iiiiii21rocsparse_index_base_PKT3_PKiS7_S2_PS3_PiS9_,@function
_ZN9rocsparseL44csr2gebsr_wavefront_per_row_multipass_kernelILi256ELi16ELi16ELi32EfEEv20rocsparse_direction_iiiiii21rocsparse_index_base_PKT3_PKiS7_S2_PS3_PiS9_: ; @_ZN9rocsparseL44csr2gebsr_wavefront_per_row_multipass_kernelILi256ELi16ELi16ELi32EfEEv20rocsparse_direction_iiiiii21rocsparse_index_base_PKT3_PKiS7_S2_PS3_PiS9_
; %bb.0:
	s_load_dwordx2 s[4:5], s[0:1], 0x0
	s_load_dwordx4 s[16:19], s[0:1], 0xc
	s_load_dword s33, s[0:1], 0x1c
	s_load_dwordx2 s[6:7], s[0:1], 0x28
	v_lshrrev_b32_e32 v30, 5, v0
	v_bfe_u32 v6, v0, 1, 4
	v_lshl_or_b32 v4, s2, 3, v30
	s_waitcnt lgkmcnt(0)
	v_mad_u64_u32 v[2:3], s[2:3], v4, s18, v[6:7]
	v_cmp_gt_i32_e64 s[2:3], s5, v2
	v_cmp_gt_i32_e32 vcc, s18, v6
	s_and_b64 s[2:3], vcc, s[2:3]
	v_mov_b32_e32 v31, 0
	v_mov_b32_e32 v22, 0
	s_and_saveexec_b64 s[8:9], s[2:3]
	s_cbranch_execz .LBB52_2
; %bb.1:
	v_ashrrev_i32_e32 v3, 31, v2
	v_lshl_add_u64 v[8:9], v[2:3], 2, s[6:7]
	global_load_dword v1, v[8:9], off
	s_waitcnt vmcnt(0)
	v_subrev_u32_e32 v22, s33, v1
.LBB52_2:
	s_or_b64 exec, exec, s[8:9]
	s_and_saveexec_b64 s[8:9], s[2:3]
	s_cbranch_execz .LBB52_4
; %bb.3:
	v_ashrrev_i32_e32 v3, 31, v2
	v_lshl_add_u64 v[2:3], v[2:3], 2, s[6:7]
	global_load_dword v1, v[2:3], off offset:4
	s_waitcnt vmcnt(0)
	v_subrev_u32_e32 v31, s33, v1
.LBB52_4:
	s_or_b64 exec, exec, s[8:9]
	s_load_dword s40, s[0:1], 0x38
	v_cmp_gt_i32_e64 s[2:3], s16, v4
	v_mov_b32_e32 v2, 0
	s_and_saveexec_b64 s[6:7], s[2:3]
	s_cbranch_execz .LBB52_6
; %bb.5:
	s_load_dwordx2 s[2:3], s[0:1], 0x48
	v_ashrrev_i32_e32 v5, 31, v4
	s_waitcnt lgkmcnt(0)
	v_lshl_add_u64 v[2:3], v[4:5], 2, s[2:3]
	global_load_dword v1, v[2:3], off
	s_waitcnt vmcnt(0)
	v_subrev_u32_e32 v2, s40, v1
.LBB52_6:
	s_or_b64 exec, exec, s[6:7]
	s_cmp_lt_i32 s17, 1
	s_cbranch_scc1 .LBB52_60
; %bb.7:
	s_load_dwordx2 s[20:21], s[0:1], 0x20
	s_load_dwordx2 s[22:23], s[0:1], 0x50
	;; [unrolled: 1-line block ×4, first 2 shown]
	v_lshlrev_b32_e32 v1, 8, v30
	v_lshl_or_b32 v32, v6, 4, v1
	v_mbcnt_lo_u32_b32 v1, -1, 0
	v_mbcnt_hi_u32_b32 v1, -1, v1
	v_lshlrev_b32_e32 v4, 2, v6
	v_mul_lo_u32 v6, v6, s19
	v_and_b32_e32 v0, 1, v0
	v_lshlrev_b32_e32 v3, 2, v1
	s_cmp_lg_u32 s4, 0
	v_mov_b32_e32 v1, 0
	v_ashrrev_i32_e32 v7, 31, v6
	s_cselect_b64 s[26:27], -1, 0
	s_ashr_i32 s16, s19, 31
	s_waitcnt lgkmcnt(0)
	v_lshl_add_u64 v[6:7], v[6:7], 2, s[2:3]
	v_lshlrev_b32_e32 v8, 2, v0
	v_mov_b32_e32 v9, v1
	v_or_b32_e32 v10, v32, v0
	s_mul_hi_u32 s0, s19, s18
	s_mul_i32 s1, s16, s18
	s_mul_i32 s42, s19, s18
	v_lshl_add_u64 v[6:7], v[6:7], 0, v[8:9]
	v_mul_lo_u32 v8, v0, s18
	s_lshl_b32 s18, s18, 1
	v_or_b32_e32 v34, 4, v3
	v_mov_b32_e32 v5, v1
	v_or_b32_e32 v35, 0x7c, v3
	v_lshlrev_b32_e32 v36, 2, v10
	v_or_b32_e32 v3, 2, v0
	v_add_u32_e32 v10, s18, v8
	v_lshl_add_u64 v[4:5], s[2:3], 0, v[4:5]
	v_cmp_gt_u32_e64 s[2:3], s19, v3
	v_or_b32_e32 v3, 4, v0
	v_add_u32_e32 v12, s18, v10
	v_cmp_gt_u32_e64 s[4:5], s19, v3
	v_or_b32_e32 v3, 6, v0
	v_add_u32_e32 v14, s18, v12
	;; [unrolled: 3-line block ×6, first 2 shown]
	s_abs_i32 s18, s19
	v_cmp_gt_u32_e64 s[14:15], s19, v3
	v_cvt_f32_u32_e32 v3, s18
	s_add_i32 s41, s0, s1
	v_cmp_gt_u32_e64 s[0:1], s19, v0
	s_and_b64 s[28:29], s[0:1], vcc
	v_rcp_iflag_f32_e32 v3, v3
	s_sub_i32 s0, 0, s18
	v_mov_b32_e32 v33, 0
	v_mov_b32_e32 v11, v1
	v_mul_f32_e32 v3, 0x4f7ffffe, v3
	v_cvt_u32_f32_e32 v3, v3
	v_mov_b32_e32 v13, v1
	v_mov_b32_e32 v15, v1
	;; [unrolled: 1-line block ×3, first 2 shown]
	v_mul_lo_u32 v23, s0, v3
	v_mul_hi_u32 v23, v3, v23
	v_mov_b32_e32 v19, v1
	v_mov_b32_e32 v21, v1
	;; [unrolled: 1-line block ×3, first 2 shown]
	v_or_b32_e32 v37, 8, v36
	v_or_b32_e32 v38, 16, v36
	;; [unrolled: 1-line block ×7, first 2 shown]
	s_and_b64 s[2:3], vcc, s[2:3]
	s_and_b64 s[4:5], vcc, s[4:5]
	;; [unrolled: 1-line block ×7, first 2 shown]
	v_add_u32_e32 v44, v3, v23
	s_mov_b64 s[30:31], 0
	v_mov_b32_e32 v45, 1
	v_mov_b32_e32 v3, 0
	s_branch .LBB52_11
.LBB52_8:                               ;   in Loop: Header=BB52_11 Depth=1
	v_mov_b32_e32 v23, s38
.LBB52_9:                               ;   in Loop: Header=BB52_11 Depth=1
	s_or_b64 exec, exec, s[36:37]
.LBB52_10:                              ;   in Loop: Header=BB52_11 Depth=1
	s_or_b64 exec, exec, s[34:35]
	v_mov_b32_dpp v3, v46 row_shr:1 row_mask:0xf bank_mask:0xf
	v_min_i32_e32 v3, v3, v46
	v_add_u32_e32 v2, v23, v2
	s_waitcnt lgkmcnt(0)
	v_mov_b32_dpp v26, v3 row_shr:2 row_mask:0xf bank_mask:0xf
	v_min_i32_e32 v3, v26, v3
	s_nop 1
	v_mov_b32_dpp v26, v3 row_shr:4 row_mask:0xf bank_mask:0xe
	v_min_i32_e32 v3, v26, v3
	s_nop 1
	v_mov_b32_dpp v26, v3 row_shr:8 row_mask:0xf bank_mask:0xc
	v_min_i32_e32 v3, v26, v3
	s_nop 1
	v_mov_b32_dpp v26, v3 row_bcast:15 row_mask:0xa bank_mask:0xf
	v_min_i32_e32 v3, v26, v3
	ds_bpermute_b32 v3, v35, v3
	s_waitcnt lgkmcnt(0)
	v_cmp_le_i32_e32 vcc, s17, v3
	s_or_b64 s[30:31], vcc, s[30:31]
	s_andn2_b64 exec, exec, s[30:31]
	s_cbranch_execz .LBB52_60
.LBB52_11:                              ; =>This Loop Header: Depth=1
                                        ;     Child Loop BB52_14 Depth 2
	v_add_u32_e32 v28, v22, v0
	v_cmp_lt_i32_e32 vcc, v28, v31
	v_mov_b32_e32 v46, s17
	v_mov_b32_e32 v47, v31
	ds_write_b8 v30, v33 offset:8192
	ds_write_b32 v36, v1
	ds_write_b32 v37, v1
	;; [unrolled: 1-line block ×8, first 2 shown]
	s_waitcnt lgkmcnt(0)
	s_and_saveexec_b64 s[34:35], vcc
	s_cbranch_execz .LBB52_19
; %bb.12:                               ;   in Loop: Header=BB52_11 Depth=1
	v_ashrrev_i32_e32 v23, 31, v22
	v_lshl_add_u64 v[22:23], v[0:1], 0, v[22:23]
	v_lshlrev_b64 v[26:27], 2, v[22:23]
	v_mul_lo_u32 v29, v3, s19
	v_lshl_add_u64 v[22:23], s[24:25], 0, v[26:27]
	v_lshl_add_u64 v[26:27], s[20:21], 0, v[26:27]
	s_mov_b64 s[36:37], 0
	v_mov_b32_e32 v46, s17
	v_mov_b32_e32 v47, v31
	s_branch .LBB52_14
.LBB52_13:                              ;   in Loop: Header=BB52_14 Depth=2
	s_or_b64 exec, exec, s[0:1]
	v_add_u32_e32 v28, 2, v28
	v_cmp_ge_i32_e64 s[0:1], v28, v31
	s_xor_b64 s[38:39], vcc, -1
	s_or_b64 s[0:1], s[38:39], s[0:1]
	s_and_b64 s[0:1], exec, s[0:1]
	v_lshl_add_u64 v[22:23], v[22:23], 0, 8
	s_or_b64 s[36:37], s[0:1], s[36:37]
	v_lshl_add_u64 v[26:27], v[26:27], 0, 8
	s_andn2_b64 exec, exec, s[36:37]
	s_cbranch_execz .LBB52_18
.LBB52_14:                              ;   Parent Loop BB52_11 Depth=1
                                        ; =>  This Inner Loop Header: Depth=2
	global_load_dword v48, v[22:23], off
	s_waitcnt vmcnt(0)
	v_subrev_u32_e32 v48, s33, v48
	v_sub_u32_e32 v50, 0, v48
	v_max_i32_e32 v50, v48, v50
	v_mul_hi_u32 v51, v50, v44
	v_mul_lo_u32 v52, v51, s18
	v_sub_u32_e32 v50, v50, v52
	v_add_u32_e32 v53, 1, v51
	v_cmp_le_u32_e32 vcc, s18, v50
	v_subrev_u32_e32 v52, s18, v50
	v_ashrrev_i32_e32 v49, 31, v48
	v_cndmask_b32_e32 v51, v51, v53, vcc
	v_cndmask_b32_e32 v50, v50, v52, vcc
	v_add_u32_e32 v52, 1, v51
	v_cmp_le_u32_e32 vcc, s18, v50
	v_xor_b32_e32 v49, s16, v49
	s_nop 0
	v_cndmask_b32_e32 v50, v51, v52, vcc
	v_xor_b32_e32 v50, v50, v49
	v_sub_u32_e32 v50, v50, v49
	v_cmp_eq_u32_e32 vcc, v50, v3
	v_cmp_ne_u32_e64 s[0:1], v50, v3
	v_mov_b32_e32 v49, v47
	s_and_saveexec_b64 s[38:39], s[0:1]
	s_xor_b64 s[0:1], exec, s[38:39]
; %bb.15:                               ;   in Loop: Header=BB52_14 Depth=2
	v_min_i32_e32 v46, v50, v46
                                        ; implicit-def: $vgpr48
                                        ; implicit-def: $vgpr49
; %bb.16:                               ;   in Loop: Header=BB52_14 Depth=2
	s_or_saveexec_b64 s[0:1], s[0:1]
	v_mov_b32_e32 v47, v28
	s_xor_b64 exec, exec, s[0:1]
	s_cbranch_execz .LBB52_13
; %bb.17:                               ;   in Loop: Header=BB52_14 Depth=2
	global_load_dword v47, v[26:27], off
	v_sub_u32_e32 v48, v48, v29
	v_add_lshl_u32 v48, v32, v48, 2
	ds_write_b8 v30, v45 offset:8192
	s_waitcnt vmcnt(0)
	ds_write_b32 v48, v47
	v_mov_b32_e32 v47, v49
	s_branch .LBB52_13
.LBB52_18:                              ;   in Loop: Header=BB52_11 Depth=1
	s_or_b64 exec, exec, s[36:37]
.LBB52_19:                              ;   in Loop: Header=BB52_11 Depth=1
	s_or_b64 exec, exec, s[34:35]
	s_waitcnt lgkmcnt(0)
	ds_read_u8 v23, v30 offset:8192
	v_mov_b32_dpp v22, v47 row_shr:1 row_mask:0xf bank_mask:0xf
	v_min_i32_e32 v22, v22, v47
	ds_bpermute_b32 v22, v34, v22
	s_waitcnt lgkmcnt(1)
	v_and_b32_e32 v23, 1, v23
	v_cmp_eq_u32_e32 vcc, 1, v23
	v_mov_b32_e32 v23, 0
	s_and_saveexec_b64 s[34:35], vcc
	s_cbranch_execz .LBB52_10
; %bb.20:                               ;   in Loop: Header=BB52_11 Depth=1
	v_add_u32_e32 v23, s40, v3
	v_ashrrev_i32_e32 v3, 31, v2
	v_lshl_add_u64 v[26:27], v[2:3], 2, s[22:23]
	global_store_dword v[26:27], v23, off
	v_mul_lo_u32 v23, s41, v2
	v_mul_lo_u32 v3, s42, v3
	v_mad_u64_u32 v[26:27], s[0:1], s42, v2, 0
	v_add3_u32 v27, v27, v3, v23
	v_lshlrev_b64 v[26:27], 2, v[26:27]
	v_lshl_add_u64 v[28:29], v[4:5], 0, v[26:27]
	v_lshl_add_u64 v[26:27], v[6:7], 0, v[26:27]
	s_and_saveexec_b64 s[0:1], s[28:29]
	s_cbranch_execz .LBB52_24
; %bb.21:                               ;   in Loop: Header=BB52_11 Depth=1
	s_and_b64 vcc, exec, s[26:27]
	s_cbranch_vccz .LBB52_51
; %bb.22:                               ;   in Loop: Header=BB52_11 Depth=1
	ds_read_b32 v3, v36
	v_lshl_add_u64 v[48:49], v[8:9], 2, v[28:29]
	s_waitcnt lgkmcnt(0)
	global_store_dword v[48:49], v3, off
	s_cbranch_execnz .LBB52_24
.LBB52_23:                              ;   in Loop: Header=BB52_11 Depth=1
	ds_read_b32 v3, v36
	s_waitcnt lgkmcnt(0)
	global_store_dword v[26:27], v3, off
.LBB52_24:                              ;   in Loop: Header=BB52_11 Depth=1
	s_or_b64 exec, exec, s[0:1]
	v_cndmask_b32_e64 v3, 0, 1, s[26:27]
	v_cmp_ne_u32_e64 s[0:1], 1, v3
	s_and_saveexec_b64 s[36:37], s[2:3]
	s_cbranch_execz .LBB52_28
; %bb.25:                               ;   in Loop: Header=BB52_11 Depth=1
	s_and_b64 vcc, exec, s[0:1]
	s_cbranch_vccnz .LBB52_52
; %bb.26:                               ;   in Loop: Header=BB52_11 Depth=1
	ds_read_b32 v3, v36 offset:8
	v_lshl_add_u64 v[48:49], v[10:11], 2, v[28:29]
	s_waitcnt lgkmcnt(0)
	global_store_dword v[48:49], v3, off
	s_cbranch_execnz .LBB52_28
.LBB52_27:                              ;   in Loop: Header=BB52_11 Depth=1
	ds_read_b32 v3, v36 offset:8
	s_waitcnt lgkmcnt(0)
	global_store_dword v[26:27], v3, off offset:8
.LBB52_28:                              ;   in Loop: Header=BB52_11 Depth=1
	s_or_b64 exec, exec, s[36:37]
	s_and_saveexec_b64 s[36:37], s[4:5]
	s_cbranch_execz .LBB52_32
; %bb.29:                               ;   in Loop: Header=BB52_11 Depth=1
	s_and_b64 vcc, exec, s[0:1]
	s_cbranch_vccnz .LBB52_53
; %bb.30:                               ;   in Loop: Header=BB52_11 Depth=1
	ds_read_b32 v3, v36 offset:16
	v_lshl_add_u64 v[48:49], v[12:13], 2, v[28:29]
	s_waitcnt lgkmcnt(0)
	global_store_dword v[48:49], v3, off
	s_cbranch_execnz .LBB52_32
.LBB52_31:                              ;   in Loop: Header=BB52_11 Depth=1
	ds_read_b32 v3, v36 offset:16
	s_waitcnt lgkmcnt(0)
	global_store_dword v[26:27], v3, off offset:16
.LBB52_32:                              ;   in Loop: Header=BB52_11 Depth=1
	s_or_b64 exec, exec, s[36:37]
	s_and_saveexec_b64 s[36:37], s[6:7]
	s_cbranch_execz .LBB52_36
; %bb.33:                               ;   in Loop: Header=BB52_11 Depth=1
	s_and_b64 vcc, exec, s[0:1]
	s_cbranch_vccnz .LBB52_54
; %bb.34:                               ;   in Loop: Header=BB52_11 Depth=1
	ds_read_b32 v3, v36 offset:24
	v_lshl_add_u64 v[48:49], v[14:15], 2, v[28:29]
	s_waitcnt lgkmcnt(0)
	global_store_dword v[48:49], v3, off
	s_cbranch_execnz .LBB52_36
.LBB52_35:                              ;   in Loop: Header=BB52_11 Depth=1
	ds_read_b32 v3, v36 offset:24
	s_waitcnt lgkmcnt(0)
	global_store_dword v[26:27], v3, off offset:24
.LBB52_36:                              ;   in Loop: Header=BB52_11 Depth=1
	s_or_b64 exec, exec, s[36:37]
	s_and_saveexec_b64 s[36:37], s[8:9]
	s_cbranch_execz .LBB52_40
; %bb.37:                               ;   in Loop: Header=BB52_11 Depth=1
	s_and_b64 vcc, exec, s[0:1]
	s_cbranch_vccnz .LBB52_55
; %bb.38:                               ;   in Loop: Header=BB52_11 Depth=1
	ds_read_b32 v3, v36 offset:32
	v_lshl_add_u64 v[48:49], v[16:17], 2, v[28:29]
	s_waitcnt lgkmcnt(0)
	global_store_dword v[48:49], v3, off
	s_cbranch_execnz .LBB52_40
.LBB52_39:                              ;   in Loop: Header=BB52_11 Depth=1
	ds_read_b32 v3, v36 offset:32
	s_waitcnt lgkmcnt(0)
	global_store_dword v[26:27], v3, off offset:32
.LBB52_40:                              ;   in Loop: Header=BB52_11 Depth=1
	s_or_b64 exec, exec, s[36:37]
	s_and_saveexec_b64 s[36:37], s[10:11]
	s_cbranch_execz .LBB52_44
; %bb.41:                               ;   in Loop: Header=BB52_11 Depth=1
	s_and_b64 vcc, exec, s[0:1]
	s_cbranch_vccnz .LBB52_56
; %bb.42:                               ;   in Loop: Header=BB52_11 Depth=1
	ds_read_b32 v3, v36 offset:40
	v_lshl_add_u64 v[48:49], v[18:19], 2, v[28:29]
	s_waitcnt lgkmcnt(0)
	global_store_dword v[48:49], v3, off
	s_cbranch_execnz .LBB52_44
.LBB52_43:                              ;   in Loop: Header=BB52_11 Depth=1
	ds_read_b32 v3, v36 offset:40
	s_waitcnt lgkmcnt(0)
	global_store_dword v[26:27], v3, off offset:40
.LBB52_44:                              ;   in Loop: Header=BB52_11 Depth=1
	s_or_b64 exec, exec, s[36:37]
	s_and_saveexec_b64 s[36:37], s[12:13]
	s_cbranch_execz .LBB52_48
; %bb.45:                               ;   in Loop: Header=BB52_11 Depth=1
	s_and_b64 vcc, exec, s[0:1]
	s_cbranch_vccnz .LBB52_57
; %bb.46:                               ;   in Loop: Header=BB52_11 Depth=1
	ds_read_b32 v3, v36 offset:48
	v_lshl_add_u64 v[48:49], v[20:21], 2, v[28:29]
	s_waitcnt lgkmcnt(0)
	global_store_dword v[48:49], v3, off
	s_cbranch_execnz .LBB52_48
.LBB52_47:                              ;   in Loop: Header=BB52_11 Depth=1
	ds_read_b32 v3, v36 offset:48
	s_waitcnt lgkmcnt(0)
	global_store_dword v[26:27], v3, off offset:48
.LBB52_48:                              ;   in Loop: Header=BB52_11 Depth=1
	s_or_b64 exec, exec, s[36:37]
	v_mov_b32_e32 v23, 1
	s_and_saveexec_b64 s[36:37], s[14:15]
	s_cbranch_execz .LBB52_9
; %bb.49:                               ;   in Loop: Header=BB52_11 Depth=1
	s_and_b64 vcc, exec, s[0:1]
	s_cbranch_vccnz .LBB52_58
; %bb.50:                               ;   in Loop: Header=BB52_11 Depth=1
	ds_read_b32 v3, v36 offset:56
	v_lshl_add_u64 v[28:29], v[24:25], 2, v[28:29]
	s_mov_b32 s38, 1
	s_waitcnt lgkmcnt(0)
	global_store_dword v[28:29], v3, off
	s_cbranch_execnz .LBB52_8
	s_branch .LBB52_59
.LBB52_51:                              ;   in Loop: Header=BB52_11 Depth=1
	s_branch .LBB52_23
.LBB52_52:                              ;   in Loop: Header=BB52_11 Depth=1
	s_branch .LBB52_27
.LBB52_53:                              ;   in Loop: Header=BB52_11 Depth=1
	s_branch .LBB52_31
.LBB52_54:                              ;   in Loop: Header=BB52_11 Depth=1
	s_branch .LBB52_35
.LBB52_55:                              ;   in Loop: Header=BB52_11 Depth=1
	s_branch .LBB52_39
.LBB52_56:                              ;   in Loop: Header=BB52_11 Depth=1
	s_branch .LBB52_43
.LBB52_57:                              ;   in Loop: Header=BB52_11 Depth=1
	s_branch .LBB52_47
.LBB52_58:                              ;   in Loop: Header=BB52_11 Depth=1
                                        ; implicit-def: $sgpr38
.LBB52_59:                              ;   in Loop: Header=BB52_11 Depth=1
	ds_read_b32 v3, v36 offset:56
	s_mov_b32 s38, 1
	s_waitcnt lgkmcnt(0)
	global_store_dword v[26:27], v3, off offset:56
	s_branch .LBB52_8
.LBB52_60:
	s_endpgm
	.section	.rodata,"a",@progbits
	.p2align	6, 0x0
	.amdhsa_kernel _ZN9rocsparseL44csr2gebsr_wavefront_per_row_multipass_kernelILi256ELi16ELi16ELi32EfEEv20rocsparse_direction_iiiiii21rocsparse_index_base_PKT3_PKiS7_S2_PS3_PiS9_
		.amdhsa_group_segment_fixed_size 8200
		.amdhsa_private_segment_fixed_size 0
		.amdhsa_kernarg_size 88
		.amdhsa_user_sgpr_count 2
		.amdhsa_user_sgpr_dispatch_ptr 0
		.amdhsa_user_sgpr_queue_ptr 0
		.amdhsa_user_sgpr_kernarg_segment_ptr 1
		.amdhsa_user_sgpr_dispatch_id 0
		.amdhsa_user_sgpr_kernarg_preload_length 0
		.amdhsa_user_sgpr_kernarg_preload_offset 0
		.amdhsa_user_sgpr_private_segment_size 0
		.amdhsa_uses_dynamic_stack 0
		.amdhsa_enable_private_segment 0
		.amdhsa_system_sgpr_workgroup_id_x 1
		.amdhsa_system_sgpr_workgroup_id_y 0
		.amdhsa_system_sgpr_workgroup_id_z 0
		.amdhsa_system_sgpr_workgroup_info 0
		.amdhsa_system_vgpr_workitem_id 0
		.amdhsa_next_free_vgpr 54
		.amdhsa_next_free_sgpr 43
		.amdhsa_accum_offset 56
		.amdhsa_reserve_vcc 1
		.amdhsa_float_round_mode_32 0
		.amdhsa_float_round_mode_16_64 0
		.amdhsa_float_denorm_mode_32 3
		.amdhsa_float_denorm_mode_16_64 3
		.amdhsa_dx10_clamp 1
		.amdhsa_ieee_mode 1
		.amdhsa_fp16_overflow 0
		.amdhsa_tg_split 0
		.amdhsa_exception_fp_ieee_invalid_op 0
		.amdhsa_exception_fp_denorm_src 0
		.amdhsa_exception_fp_ieee_div_zero 0
		.amdhsa_exception_fp_ieee_overflow 0
		.amdhsa_exception_fp_ieee_underflow 0
		.amdhsa_exception_fp_ieee_inexact 0
		.amdhsa_exception_int_div_zero 0
	.end_amdhsa_kernel
	.section	.text._ZN9rocsparseL44csr2gebsr_wavefront_per_row_multipass_kernelILi256ELi16ELi16ELi32EfEEv20rocsparse_direction_iiiiii21rocsparse_index_base_PKT3_PKiS7_S2_PS3_PiS9_,"axG",@progbits,_ZN9rocsparseL44csr2gebsr_wavefront_per_row_multipass_kernelILi256ELi16ELi16ELi32EfEEv20rocsparse_direction_iiiiii21rocsparse_index_base_PKT3_PKiS7_S2_PS3_PiS9_,comdat
.Lfunc_end52:
	.size	_ZN9rocsparseL44csr2gebsr_wavefront_per_row_multipass_kernelILi256ELi16ELi16ELi32EfEEv20rocsparse_direction_iiiiii21rocsparse_index_base_PKT3_PKiS7_S2_PS3_PiS9_, .Lfunc_end52-_ZN9rocsparseL44csr2gebsr_wavefront_per_row_multipass_kernelILi256ELi16ELi16ELi32EfEEv20rocsparse_direction_iiiiii21rocsparse_index_base_PKT3_PKiS7_S2_PS3_PiS9_
                                        ; -- End function
	.section	.AMDGPU.csdata,"",@progbits
; Kernel info:
; codeLenInByte = 2020
; NumSgprs: 49
; NumVgprs: 54
; NumAgprs: 0
; TotalNumVgprs: 54
; ScratchSize: 0
; MemoryBound: 0
; FloatMode: 240
; IeeeMode: 1
; LDSByteSize: 8200 bytes/workgroup (compile time only)
; SGPRBlocks: 6
; VGPRBlocks: 6
; NumSGPRsForWavesPerEU: 49
; NumVGPRsForWavesPerEU: 54
; AccumOffset: 56
; Occupancy: 7
; WaveLimiterHint : 0
; COMPUTE_PGM_RSRC2:SCRATCH_EN: 0
; COMPUTE_PGM_RSRC2:USER_SGPR: 2
; COMPUTE_PGM_RSRC2:TRAP_HANDLER: 0
; COMPUTE_PGM_RSRC2:TGID_X_EN: 1
; COMPUTE_PGM_RSRC2:TGID_Y_EN: 0
; COMPUTE_PGM_RSRC2:TGID_Z_EN: 0
; COMPUTE_PGM_RSRC2:TIDIG_COMP_CNT: 0
; COMPUTE_PGM_RSRC3_GFX90A:ACCUM_OFFSET: 13
; COMPUTE_PGM_RSRC3_GFX90A:TG_SPLIT: 0
	.section	.text._ZN9rocsparseL40csr2gebsr_block_per_row_multipass_kernelILj128ELj16ELj32EfEEv20rocsparse_direction_iiiiii21rocsparse_index_base_PKT2_PKiS7_S2_PS3_PiS9_,"axG",@progbits,_ZN9rocsparseL40csr2gebsr_block_per_row_multipass_kernelILj128ELj16ELj32EfEEv20rocsparse_direction_iiiiii21rocsparse_index_base_PKT2_PKiS7_S2_PS3_PiS9_,comdat
	.globl	_ZN9rocsparseL40csr2gebsr_block_per_row_multipass_kernelILj128ELj16ELj32EfEEv20rocsparse_direction_iiiiii21rocsparse_index_base_PKT2_PKiS7_S2_PS3_PiS9_ ; -- Begin function _ZN9rocsparseL40csr2gebsr_block_per_row_multipass_kernelILj128ELj16ELj32EfEEv20rocsparse_direction_iiiiii21rocsparse_index_base_PKT2_PKiS7_S2_PS3_PiS9_
	.p2align	8
	.type	_ZN9rocsparseL40csr2gebsr_block_per_row_multipass_kernelILj128ELj16ELj32EfEEv20rocsparse_direction_iiiiii21rocsparse_index_base_PKT2_PKiS7_S2_PS3_PiS9_,@function
_ZN9rocsparseL40csr2gebsr_block_per_row_multipass_kernelILj128ELj16ELj32EfEEv20rocsparse_direction_iiiiii21rocsparse_index_base_PKT2_PKiS7_S2_PS3_PiS9_: ; @_ZN9rocsparseL40csr2gebsr_block_per_row_multipass_kernelILj128ELj16ELj32EfEEv20rocsparse_direction_iiiiii21rocsparse_index_base_PKT2_PKiS7_S2_PS3_PiS9_
; %bb.0:
	s_load_dwordx4 s[20:23], s[0:1], 0x10
	s_load_dwordx2 s[6:7], s[0:1], 0x0
	s_load_dwordx2 s[8:9], s[0:1], 0x28
	v_lshrrev_b32_e32 v1, 3, v0
	v_mov_b32_e32 v16, 0
	s_waitcnt lgkmcnt(0)
	s_mul_i32 s3, s2, s21
	v_add_u32_e32 v2, s3, v1
	v_cmp_gt_i32_e64 s[4:5], s7, v2
	v_cmp_gt_i32_e32 vcc, s21, v1
	s_and_b64 s[4:5], vcc, s[4:5]
	v_mov_b32_e32 v25, 0
	s_and_saveexec_b64 s[10:11], s[4:5]
	s_cbranch_execnz .LBB53_3
; %bb.1:
	s_or_b64 exec, exec, s[10:11]
	s_and_saveexec_b64 s[10:11], s[4:5]
	s_cbranch_execnz .LBB53_4
.LBB53_2:
	s_or_b64 exec, exec, s[10:11]
	s_cmp_lt_i32 s20, 1
	s_cbranch_scc0 .LBB53_5
	s_branch .LBB53_39
.LBB53_3:
	v_ashrrev_i32_e32 v3, 31, v2
	v_lshl_add_u64 v[4:5], v[2:3], 2, s[8:9]
	global_load_dword v3, v[4:5], off
	s_waitcnt vmcnt(0)
	v_subrev_u32_e32 v25, s23, v3
	s_or_b64 exec, exec, s[10:11]
	s_and_saveexec_b64 s[10:11], s[4:5]
	s_cbranch_execz .LBB53_2
.LBB53_4:
	v_ashrrev_i32_e32 v3, 31, v2
	v_lshl_add_u64 v[2:3], v[2:3], 2, s[8:9]
	global_load_dword v2, v[2:3], off offset:4
	s_waitcnt vmcnt(0)
	v_subrev_u32_e32 v16, s23, v2
	s_or_b64 exec, exec, s[10:11]
	s_cmp_lt_i32 s20, 1
	s_cbranch_scc1 .LBB53_39
.LBB53_5:
	s_load_dwordx4 s[8:11], s[0:1], 0x40
	s_load_dwordx2 s[18:19], s[0:1], 0x50
	s_load_dword s33, s[0:1], 0x38
	s_ashr_i32 s3, s2, 31
	s_lshl_b64 s[2:3], s[2:3], 2
	s_waitcnt lgkmcnt(0)
	s_add_u32 s2, s10, s2
	s_addc_u32 s3, s11, s3
	s_load_dword s4, s[2:3], 0x0
	s_load_dwordx2 s[24:25], s[0:1], 0x20
	s_load_dwordx2 s[26:27], s[0:1], 0x30
	v_mbcnt_lo_u32_b32 v2, -1, 0
	v_mbcnt_hi_u32_b32 v2, -1, v2
	s_waitcnt lgkmcnt(0)
	s_sub_i32 s28, s4, s33
	v_mul_lo_u32 v6, v1, s22
	v_and_b32_e32 v17, 7, v0
	v_lshl_or_b32 v20, v2, 2, 28
	s_cmp_eq_u32 s6, 0
	v_lshlrev_b32_e32 v2, 2, v1
	v_mov_b32_e32 v3, 0
	v_ashrrev_i32_e32 v7, 31, v6
	s_cselect_b64 s[0:1], -1, 0
	s_ashr_i32 s46, s22, 31
	v_lshl_add_u64 v[4:5], s[8:9], 0, v[2:3]
	v_lshl_add_u64 v[6:7], v[6:7], 2, s[8:9]
	v_lshlrev_b32_e32 v2, 2, v17
	s_mul_hi_u32 s2, s22, s21
	s_mul_i32 s3, s46, s21
	s_mul_i32 s48, s22, s21
	v_lshl_add_u64 v[6:7], v[6:7], 0, v[2:3]
	v_mul_lo_u32 v2, v17, s21
	s_lshl_b32 s29, s21, 3
	s_abs_i32 s21, s22
	v_cvt_f32_u32_e32 v10, s21
	v_lshlrev_b32_e32 v18, 5, v1
	s_add_i32 s47, s2, s3
	v_lshlrev_b32_e32 v21, 2, v0
	v_rcp_iflag_f32_e32 v10, v10
	v_cmp_gt_u32_e64 s[2:3], 64, v0
	v_cmp_gt_u32_e64 s[4:5], 32, v0
	;; [unrolled: 1-line block ×6, first 2 shown]
	v_cmp_eq_u32_e64 s[14:15], 0, v0
	v_or_b32_e32 v0, v18, v17
	v_lshlrev_b32_e32 v22, 2, v0
	v_cmp_gt_u32_e64 s[16:17], s22, v17
	v_or_b32_e32 v0, 8, v17
	v_mul_f32_e32 v10, 0x4f7ffffe, v10
	s_and_b64 s[30:31], vcc, s[16:17]
	v_cmp_gt_u32_e64 s[16:17], s22, v0
	v_or_b32_e32 v8, 16, v17
	v_cvt_u32_f32_e32 v12, v10
	s_and_b64 s[34:35], vcc, s[16:17]
	v_cmp_gt_u32_e64 s[16:17], s22, v8
	v_or_b32_e32 v11, 24, v17
	s_and_b64 s[36:37], vcc, s[16:17]
	v_cmp_gt_u32_e64 s[16:17], s22, v11
	s_and_b64 s[38:39], vcc, s[16:17]
	s_sub_i32 s16, 0, s21
	v_add_u32_e32 v0, s29, v2
	v_mul_lo_u32 v13, s16, v12
	v_add_u32_e32 v8, s29, v0
	v_mul_hi_u32 v13, v12, v13
	v_mov_b32_e32 v19, 0
	v_mov_b32_e32 v1, v3
	;; [unrolled: 1-line block ×3, first 2 shown]
	v_add_u32_e32 v10, s29, v8
	v_mov_b32_e32 v11, v3
	v_add_u32_e32 v23, v12, v13
	s_mov_b64 s[40:41], 0x60
	v_mov_b32_e32 v24, 1
	v_mov_b32_e32 v14, 0
	s_branch .LBB53_7
.LBB53_6:                               ;   in Loop: Header=BB53_7 Depth=1
	s_or_b64 exec, exec, s[16:17]
	s_waitcnt lgkmcnt(0)
	s_barrier
	ds_read_b32 v14, v3
	s_add_i32 s28, s29, s28
	s_waitcnt lgkmcnt(0)
	s_barrier
	v_cmp_gt_i32_e32 vcc, s20, v14
	s_cbranch_vccz .LBB53_39
.LBB53_7:                               ; =>This Loop Header: Depth=1
                                        ;     Child Loop BB53_10 Depth 2
	v_add_u32_e32 v12, v25, v17
	v_cmp_lt_i32_e32 vcc, v12, v16
	v_mov_b32_e32 v26, s20
	v_mov_b32_e32 v25, v16
	ds_write_b8 v3, v19 offset:2048
	ds_write2_b32 v22, v3, v3 offset1:8
	ds_write2_b32 v22, v3, v3 offset0:16 offset1:24
	s_waitcnt lgkmcnt(0)
	s_barrier
	s_and_saveexec_b64 s[42:43], vcc
	s_cbranch_execz .LBB53_15
; %bb.8:                                ;   in Loop: Header=BB53_7 Depth=1
	v_mul_lo_u32 v15, v14, s22
	s_mov_b64 s[44:45], 0
	v_mov_b32_e32 v26, s20
	v_mov_b32_e32 v25, v16
	s_branch .LBB53_10
.LBB53_9:                               ;   in Loop: Header=BB53_10 Depth=2
	s_or_b64 exec, exec, s[16:17]
	v_add_u32_e32 v12, 8, v12
	v_cmp_ge_i32_e64 s[16:17], v12, v16
	s_xor_b64 s[50:51], vcc, -1
	s_or_b64 s[16:17], s[50:51], s[16:17]
	s_and_b64 s[16:17], exec, s[16:17]
	s_or_b64 s[44:45], s[16:17], s[44:45]
	s_andn2_b64 exec, exec, s[44:45]
	s_cbranch_execz .LBB53_14
.LBB53_10:                              ;   Parent Loop BB53_7 Depth=1
                                        ; =>  This Inner Loop Header: Depth=2
	v_ashrrev_i32_e32 v13, 31, v12
	v_lshl_add_u64 v[28:29], v[12:13], 2, s[26:27]
	global_load_dword v27, v[28:29], off
	s_waitcnt vmcnt(0)
	v_subrev_u32_e32 v27, s23, v27
	v_sub_u32_e32 v29, 0, v27
	v_max_i32_e32 v29, v27, v29
	v_mul_hi_u32 v30, v29, v23
	v_mul_lo_u32 v31, v30, s21
	v_sub_u32_e32 v29, v29, v31
	v_add_u32_e32 v32, 1, v30
	v_cmp_le_u32_e32 vcc, s21, v29
	v_subrev_u32_e32 v31, s21, v29
	v_ashrrev_i32_e32 v28, 31, v27
	v_cndmask_b32_e32 v30, v30, v32, vcc
	v_cndmask_b32_e32 v29, v29, v31, vcc
	v_add_u32_e32 v31, 1, v30
	v_cmp_le_u32_e32 vcc, s21, v29
	v_xor_b32_e32 v28, s46, v28
	s_nop 0
	v_cndmask_b32_e32 v29, v30, v31, vcc
	v_xor_b32_e32 v29, v29, v28
	v_sub_u32_e32 v29, v29, v28
	v_cmp_eq_u32_e32 vcc, v29, v14
	v_cmp_ne_u32_e64 s[16:17], v29, v14
	v_mov_b32_e32 v28, v25
	s_and_saveexec_b64 s[50:51], s[16:17]
	s_xor_b64 s[16:17], exec, s[50:51]
; %bb.11:                               ;   in Loop: Header=BB53_10 Depth=2
	v_min_i32_e32 v26, v29, v26
                                        ; implicit-def: $vgpr27
                                        ; implicit-def: $vgpr28
; %bb.12:                               ;   in Loop: Header=BB53_10 Depth=2
	s_or_saveexec_b64 s[16:17], s[16:17]
	v_mov_b32_e32 v25, v12
	s_xor_b64 exec, exec, s[16:17]
	s_cbranch_execz .LBB53_9
; %bb.13:                               ;   in Loop: Header=BB53_10 Depth=2
	v_lshl_add_u64 v[30:31], v[12:13], 2, s[24:25]
	global_load_dword v13, v[30:31], off
	v_sub_u32_e32 v25, v27, v15
	v_add_lshl_u32 v25, v25, v18, 2
	ds_write_b8 v3, v24 offset:2048
	s_waitcnt vmcnt(0)
	ds_write_b32 v25, v13
	v_mov_b32_e32 v25, v28
	s_branch .LBB53_9
.LBB53_14:                              ;   in Loop: Header=BB53_7 Depth=1
	s_or_b64 exec, exec, s[44:45]
.LBB53_15:                              ;   in Loop: Header=BB53_7 Depth=1
	s_or_b64 exec, exec, s[42:43]
	v_mov_b32_dpp v12, v25 row_shr:1 row_mask:0xf bank_mask:0xf
	v_min_i32_e32 v12, v12, v25
	s_waitcnt lgkmcnt(0)
	s_barrier
	v_mov_b32_dpp v13, v12 row_shr:2 row_mask:0xf bank_mask:0xf
	v_min_i32_e32 v12, v13, v12
	ds_read_u8 v13, v3 offset:2048
	s_nop 0
	v_mov_b32_dpp v15, v12 row_shr:4 row_mask:0xf bank_mask:0xe
	v_min_i32_e32 v12, v15, v12
	ds_bpermute_b32 v25, v20, v12
	s_mov_b32 s29, 0
	s_waitcnt lgkmcnt(1)
	v_cmp_eq_u32_e32 vcc, 0, v13
	s_cbranch_vccnz .LBB53_22
; %bb.16:                               ;   in Loop: Header=BB53_7 Depth=1
	s_ashr_i32 s29, s28, 31
	s_lshl_b64 s[16:17], s[28:29], 2
	s_add_u32 s16, s18, s16
	v_add_u32_e32 v12, s33, v14
	s_addc_u32 s17, s19, s17
	global_store_dword v3, v12, s[16:17]
	s_mul_hi_u32 s16, s48, s28
	s_mul_i32 s17, s48, s29
	s_add_i32 s16, s16, s17
	s_mul_i32 s17, s47, s28
	s_add_i32 s17, s16, s17
	s_mul_i32 s16, s48, s28
	s_lshl_b64 s[16:17], s[16:17], 2
	v_lshl_add_u64 v[12:13], v[4:5], 0, s[16:17]
	v_lshl_add_u64 v[14:15], v[6:7], 0, s[16:17]
	s_and_saveexec_b64 s[16:17], s[30:31]
	s_cbranch_execnz .LBB53_36
; %bb.17:                               ;   in Loop: Header=BB53_7 Depth=1
	s_or_b64 exec, exec, s[16:17]
	s_and_saveexec_b64 s[16:17], s[34:35]
	s_cbranch_execnz .LBB53_37
.LBB53_18:                              ;   in Loop: Header=BB53_7 Depth=1
	s_or_b64 exec, exec, s[16:17]
	s_and_saveexec_b64 s[16:17], s[36:37]
	s_cbranch_execnz .LBB53_38
.LBB53_19:                              ;   in Loop: Header=BB53_7 Depth=1
	s_or_b64 exec, exec, s[16:17]
	s_and_saveexec_b64 s[16:17], s[38:39]
	s_cbranch_execz .LBB53_21
.LBB53_20:                              ;   in Loop: Header=BB53_7 Depth=1
	ds_read_b32 v27, v22 offset:96
	v_lshl_add_u64 v[14:15], v[14:15], 0, s[40:41]
	v_lshl_add_u64 v[12:13], v[10:11], 2, v[12:13]
	v_cndmask_b32_e64 v13, v13, v15, s[0:1]
	v_cndmask_b32_e64 v12, v12, v14, s[0:1]
	s_waitcnt lgkmcnt(0)
	global_store_dword v[12:13], v27, off
.LBB53_21:                              ;   in Loop: Header=BB53_7 Depth=1
	s_or_b64 exec, exec, s[16:17]
	s_mov_b32 s29, 1
.LBB53_22:                              ;   in Loop: Header=BB53_7 Depth=1
	s_waitcnt lgkmcnt(0)
	s_barrier
	ds_write_b32 v21, v26
	s_waitcnt lgkmcnt(0)
	s_barrier
	s_and_saveexec_b64 s[16:17], s[2:3]
	s_cbranch_execz .LBB53_24
; %bb.23:                               ;   in Loop: Header=BB53_7 Depth=1
	ds_read2st64_b32 v[12:13], v21 offset1:1
	s_waitcnt lgkmcnt(0)
	v_min_i32_e32 v12, v13, v12
	ds_write_b32 v21, v12
.LBB53_24:                              ;   in Loop: Header=BB53_7 Depth=1
	s_or_b64 exec, exec, s[16:17]
	s_waitcnt lgkmcnt(0)
	s_barrier
	s_and_saveexec_b64 s[16:17], s[4:5]
	s_cbranch_execz .LBB53_26
; %bb.25:                               ;   in Loop: Header=BB53_7 Depth=1
	ds_read2_b32 v[12:13], v21 offset1:32
	s_waitcnt lgkmcnt(0)
	v_min_i32_e32 v12, v13, v12
	ds_write_b32 v21, v12
.LBB53_26:                              ;   in Loop: Header=BB53_7 Depth=1
	s_or_b64 exec, exec, s[16:17]
	s_waitcnt lgkmcnt(0)
	s_barrier
	s_and_saveexec_b64 s[16:17], s[6:7]
	s_cbranch_execz .LBB53_28
; %bb.27:                               ;   in Loop: Header=BB53_7 Depth=1
	ds_read2_b32 v[12:13], v21 offset1:16
	s_waitcnt lgkmcnt(0)
	v_min_i32_e32 v12, v13, v12
	ds_write_b32 v21, v12
.LBB53_28:                              ;   in Loop: Header=BB53_7 Depth=1
	;; [unrolled: 11-line block ×5, first 2 shown]
	s_or_b64 exec, exec, s[16:17]
	s_waitcnt lgkmcnt(0)
	s_barrier
	s_and_saveexec_b64 s[16:17], s[14:15]
	s_cbranch_execz .LBB53_6
; %bb.35:                               ;   in Loop: Header=BB53_7 Depth=1
	ds_read_b64 v[12:13], v3
	s_waitcnt lgkmcnt(0)
	v_min_i32_e32 v12, v13, v12
	ds_write_b32 v3, v12
	s_branch .LBB53_6
.LBB53_36:                              ;   in Loop: Header=BB53_7 Depth=1
	ds_read_b32 v27, v22
	v_lshl_add_u64 v[28:29], v[2:3], 2, v[12:13]
	v_cndmask_b32_e64 v29, v29, v15, s[0:1]
	v_cndmask_b32_e64 v28, v28, v14, s[0:1]
	s_waitcnt lgkmcnt(0)
	global_store_dword v[28:29], v27, off
	s_or_b64 exec, exec, s[16:17]
	s_and_saveexec_b64 s[16:17], s[34:35]
	s_cbranch_execz .LBB53_18
.LBB53_37:                              ;   in Loop: Header=BB53_7 Depth=1
	ds_read_b32 v27, v22 offset:32
	v_lshl_add_u64 v[28:29], v[14:15], 0, 32
	v_lshl_add_u64 v[30:31], v[0:1], 2, v[12:13]
	v_cndmask_b32_e64 v29, v31, v29, s[0:1]
	v_cndmask_b32_e64 v28, v30, v28, s[0:1]
	s_waitcnt lgkmcnt(0)
	global_store_dword v[28:29], v27, off
	s_or_b64 exec, exec, s[16:17]
	s_and_saveexec_b64 s[16:17], s[36:37]
	s_cbranch_execz .LBB53_19
.LBB53_38:                              ;   in Loop: Header=BB53_7 Depth=1
	ds_read_b32 v27, v22 offset:64
	v_lshl_add_u64 v[28:29], v[14:15], 0, 64
	v_lshl_add_u64 v[30:31], v[8:9], 2, v[12:13]
	v_cndmask_b32_e64 v29, v31, v29, s[0:1]
	v_cndmask_b32_e64 v28, v30, v28, s[0:1]
	s_waitcnt lgkmcnt(0)
	global_store_dword v[28:29], v27, off
	s_or_b64 exec, exec, s[16:17]
	s_and_saveexec_b64 s[16:17], s[38:39]
	s_cbranch_execnz .LBB53_20
	s_branch .LBB53_21
.LBB53_39:
	s_endpgm
	.section	.rodata,"a",@progbits
	.p2align	6, 0x0
	.amdhsa_kernel _ZN9rocsparseL40csr2gebsr_block_per_row_multipass_kernelILj128ELj16ELj32EfEEv20rocsparse_direction_iiiiii21rocsparse_index_base_PKT2_PKiS7_S2_PS3_PiS9_
		.amdhsa_group_segment_fixed_size 2052
		.amdhsa_private_segment_fixed_size 0
		.amdhsa_kernarg_size 88
		.amdhsa_user_sgpr_count 2
		.amdhsa_user_sgpr_dispatch_ptr 0
		.amdhsa_user_sgpr_queue_ptr 0
		.amdhsa_user_sgpr_kernarg_segment_ptr 1
		.amdhsa_user_sgpr_dispatch_id 0
		.amdhsa_user_sgpr_kernarg_preload_length 0
		.amdhsa_user_sgpr_kernarg_preload_offset 0
		.amdhsa_user_sgpr_private_segment_size 0
		.amdhsa_uses_dynamic_stack 0
		.amdhsa_enable_private_segment 0
		.amdhsa_system_sgpr_workgroup_id_x 1
		.amdhsa_system_sgpr_workgroup_id_y 0
		.amdhsa_system_sgpr_workgroup_id_z 0
		.amdhsa_system_sgpr_workgroup_info 0
		.amdhsa_system_vgpr_workitem_id 0
		.amdhsa_next_free_vgpr 33
		.amdhsa_next_free_sgpr 52
		.amdhsa_accum_offset 36
		.amdhsa_reserve_vcc 1
		.amdhsa_float_round_mode_32 0
		.amdhsa_float_round_mode_16_64 0
		.amdhsa_float_denorm_mode_32 3
		.amdhsa_float_denorm_mode_16_64 3
		.amdhsa_dx10_clamp 1
		.amdhsa_ieee_mode 1
		.amdhsa_fp16_overflow 0
		.amdhsa_tg_split 0
		.amdhsa_exception_fp_ieee_invalid_op 0
		.amdhsa_exception_fp_denorm_src 0
		.amdhsa_exception_fp_ieee_div_zero 0
		.amdhsa_exception_fp_ieee_overflow 0
		.amdhsa_exception_fp_ieee_underflow 0
		.amdhsa_exception_fp_ieee_inexact 0
		.amdhsa_exception_int_div_zero 0
	.end_amdhsa_kernel
	.section	.text._ZN9rocsparseL40csr2gebsr_block_per_row_multipass_kernelILj128ELj16ELj32EfEEv20rocsparse_direction_iiiiii21rocsparse_index_base_PKT2_PKiS7_S2_PS3_PiS9_,"axG",@progbits,_ZN9rocsparseL40csr2gebsr_block_per_row_multipass_kernelILj128ELj16ELj32EfEEv20rocsparse_direction_iiiiii21rocsparse_index_base_PKT2_PKiS7_S2_PS3_PiS9_,comdat
.Lfunc_end53:
	.size	_ZN9rocsparseL40csr2gebsr_block_per_row_multipass_kernelILj128ELj16ELj32EfEEv20rocsparse_direction_iiiiii21rocsparse_index_base_PKT2_PKiS7_S2_PS3_PiS9_, .Lfunc_end53-_ZN9rocsparseL40csr2gebsr_block_per_row_multipass_kernelILj128ELj16ELj32EfEEv20rocsparse_direction_iiiiii21rocsparse_index_base_PKT2_PKiS7_S2_PS3_PiS9_
                                        ; -- End function
	.section	.AMDGPU.csdata,"",@progbits
; Kernel info:
; codeLenInByte = 1748
; NumSgprs: 58
; NumVgprs: 33
; NumAgprs: 0
; TotalNumVgprs: 33
; ScratchSize: 0
; MemoryBound: 0
; FloatMode: 240
; IeeeMode: 1
; LDSByteSize: 2052 bytes/workgroup (compile time only)
; SGPRBlocks: 7
; VGPRBlocks: 4
; NumSGPRsForWavesPerEU: 58
; NumVGPRsForWavesPerEU: 33
; AccumOffset: 36
; Occupancy: 8
; WaveLimiterHint : 0
; COMPUTE_PGM_RSRC2:SCRATCH_EN: 0
; COMPUTE_PGM_RSRC2:USER_SGPR: 2
; COMPUTE_PGM_RSRC2:TRAP_HANDLER: 0
; COMPUTE_PGM_RSRC2:TGID_X_EN: 1
; COMPUTE_PGM_RSRC2:TGID_Y_EN: 0
; COMPUTE_PGM_RSRC2:TGID_Z_EN: 0
; COMPUTE_PGM_RSRC2:TIDIG_COMP_CNT: 0
; COMPUTE_PGM_RSRC3_GFX90A:ACCUM_OFFSET: 8
; COMPUTE_PGM_RSRC3_GFX90A:TG_SPLIT: 0
	.section	.text._ZN9rocsparseL40csr2gebsr_block_per_row_multipass_kernelILj128ELj16ELj64EfEEv20rocsparse_direction_iiiiii21rocsparse_index_base_PKT2_PKiS7_S2_PS3_PiS9_,"axG",@progbits,_ZN9rocsparseL40csr2gebsr_block_per_row_multipass_kernelILj128ELj16ELj64EfEEv20rocsparse_direction_iiiiii21rocsparse_index_base_PKT2_PKiS7_S2_PS3_PiS9_,comdat
	.globl	_ZN9rocsparseL40csr2gebsr_block_per_row_multipass_kernelILj128ELj16ELj64EfEEv20rocsparse_direction_iiiiii21rocsparse_index_base_PKT2_PKiS7_S2_PS3_PiS9_ ; -- Begin function _ZN9rocsparseL40csr2gebsr_block_per_row_multipass_kernelILj128ELj16ELj64EfEEv20rocsparse_direction_iiiiii21rocsparse_index_base_PKT2_PKiS7_S2_PS3_PiS9_
	.p2align	8
	.type	_ZN9rocsparseL40csr2gebsr_block_per_row_multipass_kernelILj128ELj16ELj64EfEEv20rocsparse_direction_iiiiii21rocsparse_index_base_PKT2_PKiS7_S2_PS3_PiS9_,@function
_ZN9rocsparseL40csr2gebsr_block_per_row_multipass_kernelILj128ELj16ELj64EfEEv20rocsparse_direction_iiiiii21rocsparse_index_base_PKT2_PKiS7_S2_PS3_PiS9_: ; @_ZN9rocsparseL40csr2gebsr_block_per_row_multipass_kernelILj128ELj16ELj64EfEEv20rocsparse_direction_iiiiii21rocsparse_index_base_PKT2_PKiS7_S2_PS3_PiS9_
; %bb.0:
	s_load_dwordx4 s[20:23], s[0:1], 0x10
	s_load_dwordx2 s[6:7], s[0:1], 0x0
	s_load_dwordx2 s[8:9], s[0:1], 0x28
	v_lshrrev_b32_e32 v1, 3, v0
	v_mov_b32_e32 v24, 0
	s_waitcnt lgkmcnt(0)
	s_mul_i32 s3, s2, s21
	v_add_u32_e32 v2, s3, v1
	v_cmp_gt_i32_e64 s[4:5], s7, v2
	v_cmp_gt_i32_e32 vcc, s21, v1
	s_and_b64 s[4:5], vcc, s[4:5]
	v_mov_b32_e32 v31, 0
	s_and_saveexec_b64 s[10:11], s[4:5]
	s_cbranch_execnz .LBB54_3
; %bb.1:
	s_or_b64 exec, exec, s[10:11]
	s_and_saveexec_b64 s[10:11], s[4:5]
	s_cbranch_execnz .LBB54_4
.LBB54_2:
	s_or_b64 exec, exec, s[10:11]
	s_cmp_lt_i32 s20, 1
	s_cbranch_scc0 .LBB54_5
	s_branch .LBB54_47
.LBB54_3:
	v_ashrrev_i32_e32 v3, 31, v2
	v_lshl_add_u64 v[4:5], v[2:3], 2, s[8:9]
	global_load_dword v3, v[4:5], off
	s_waitcnt vmcnt(0)
	v_subrev_u32_e32 v31, s23, v3
	s_or_b64 exec, exec, s[10:11]
	s_and_saveexec_b64 s[10:11], s[4:5]
	s_cbranch_execz .LBB54_2
.LBB54_4:
	v_ashrrev_i32_e32 v3, 31, v2
	v_lshl_add_u64 v[2:3], v[2:3], 2, s[8:9]
	global_load_dword v2, v[2:3], off offset:4
	s_waitcnt vmcnt(0)
	v_subrev_u32_e32 v24, s23, v2
	s_or_b64 exec, exec, s[10:11]
	s_cmp_lt_i32 s20, 1
	s_cbranch_scc1 .LBB54_47
.LBB54_5:
	s_load_dwordx4 s[8:11], s[0:1], 0x40
	s_load_dwordx2 s[18:19], s[0:1], 0x50
	s_load_dword s33, s[0:1], 0x38
	s_ashr_i32 s3, s2, 31
	s_lshl_b64 s[2:3], s[2:3], 2
	s_waitcnt lgkmcnt(0)
	s_add_u32 s2, s10, s2
	s_addc_u32 s3, s11, s3
	s_load_dword s4, s[2:3], 0x0
	s_load_dwordx2 s[24:25], s[0:1], 0x20
	s_load_dwordx2 s[26:27], s[0:1], 0x30
	v_mbcnt_lo_u32_b32 v2, -1, 0
	v_mbcnt_hi_u32_b32 v2, -1, v2
	s_waitcnt lgkmcnt(0)
	s_sub_i32 s28, s4, s33
	v_mul_lo_u32 v6, v1, s22
	v_and_b32_e32 v25, 7, v0
	v_lshl_or_b32 v28, v2, 2, 28
	s_cmp_eq_u32 s6, 0
	v_lshlrev_b32_e32 v2, 2, v1
	v_mov_b32_e32 v3, 0
	v_ashrrev_i32_e32 v7, 31, v6
	s_cselect_b64 s[0:1], -1, 0
	s_ashr_i32 s62, s22, 31
	v_lshl_add_u64 v[4:5], s[8:9], 0, v[2:3]
	v_lshl_add_u64 v[6:7], v[6:7], 2, s[8:9]
	v_lshlrev_b32_e32 v2, 2, v25
	s_mul_hi_u32 s2, s22, s21
	s_mul_i32 s3, s62, s21
	s_mul_i32 s64, s22, s21
	v_lshl_add_u64 v[6:7], v[6:7], 0, v[2:3]
	v_mul_lo_u32 v2, v25, s21
	s_lshl_b32 s29, s21, 3
	s_abs_i32 s21, s22
	v_cvt_f32_u32_e32 v18, s21
	v_lshlrev_b32_e32 v26, 6, v1
	s_add_i32 s63, s2, s3
	v_lshlrev_b32_e32 v29, 2, v0
	v_cmp_gt_u32_e64 s[2:3], 64, v0
	v_cmp_gt_u32_e64 s[4:5], 32, v0
	;; [unrolled: 1-line block ×6, first 2 shown]
	v_cmp_eq_u32_e64 s[14:15], 0, v0
	v_or_b32_e32 v0, v26, v25
	v_lshlrev_b32_e32 v30, 2, v0
	v_cmp_gt_u32_e64 s[16:17], s22, v25
	v_or_b32_e32 v0, 8, v25
	v_rcp_iflag_f32_e32 v18, v18
	s_and_b64 s[30:31], vcc, s[16:17]
	v_cmp_gt_u32_e64 s[16:17], s22, v0
	v_or_b32_e32 v8, 16, v25
	s_and_b64 s[34:35], vcc, s[16:17]
	v_cmp_gt_u32_e64 s[16:17], s22, v8
	v_or_b32_e32 v10, 24, v25
	;; [unrolled: 3-line block ×4, first 2 shown]
	v_mul_f32_e32 v18, 0x4f7ffffe, v18
	v_add_u32_e32 v0, s29, v2
	s_and_b64 s[40:41], vcc, s[16:17]
	v_cmp_gt_u32_e64 s[16:17], s22, v14
	v_or_b32_e32 v16, 48, v25
	v_cvt_u32_f32_e32 v20, v18
	v_add_u32_e32 v8, s29, v0
	s_and_b64 s[42:43], vcc, s[16:17]
	v_cmp_gt_u32_e64 s[16:17], s22, v16
	v_or_b32_e32 v19, 56, v25
	v_add_u32_e32 v10, s29, v8
	s_and_b64 s[44:45], vcc, s[16:17]
	v_cmp_gt_u32_e64 s[16:17], s22, v19
	v_add_u32_e32 v12, s29, v10
	s_and_b64 s[46:47], vcc, s[16:17]
	s_sub_i32 s16, 0, s21
	v_add_u32_e32 v14, s29, v12
	v_mul_lo_u32 v21, s16, v20
	v_add_u32_e32 v16, s29, v14
	v_mul_hi_u32 v21, v20, v21
	v_mov_b32_e32 v27, 0
	v_mov_b32_e32 v1, v3
	;; [unrolled: 1-line block ×7, first 2 shown]
	v_add_u32_e32 v18, s29, v16
	v_mov_b32_e32 v19, v3
	v_add_u32_e32 v32, v20, v21
	s_mov_b64 s[48:49], 0x60
	s_mov_b64 s[50:51], 0x80
	;; [unrolled: 1-line block ×5, first 2 shown]
	v_mov_b32_e32 v33, 1
	v_mov_b32_e32 v22, 0
	s_branch .LBB54_7
.LBB54_6:                               ;   in Loop: Header=BB54_7 Depth=1
	s_or_b64 exec, exec, s[16:17]
	s_waitcnt lgkmcnt(0)
	s_barrier
	ds_read_b32 v22, v3
	s_add_i32 s28, s29, s28
	s_waitcnt lgkmcnt(0)
	s_barrier
	v_cmp_gt_i32_e32 vcc, s20, v22
	s_cbranch_vccz .LBB54_47
.LBB54_7:                               ; =>This Loop Header: Depth=1
                                        ;     Child Loop BB54_10 Depth 2
	v_add_u32_e32 v20, v31, v25
	v_cmp_lt_i32_e32 vcc, v20, v24
	v_mov_b32_e32 v34, s20
	v_mov_b32_e32 v31, v24
	ds_write_b8 v3, v27 offset:4096
	ds_write2_b32 v30, v3, v3 offset1:8
	ds_write2_b32 v30, v3, v3 offset0:16 offset1:24
	ds_write2_b32 v30, v3, v3 offset0:32 offset1:40
	;; [unrolled: 1-line block ×3, first 2 shown]
	s_waitcnt lgkmcnt(0)
	s_barrier
	s_and_saveexec_b64 s[58:59], vcc
	s_cbranch_execz .LBB54_15
; %bb.8:                                ;   in Loop: Header=BB54_7 Depth=1
	v_mul_lo_u32 v23, v22, s22
	s_mov_b64 s[60:61], 0
	v_mov_b32_e32 v34, s20
	v_mov_b32_e32 v31, v24
	s_branch .LBB54_10
.LBB54_9:                               ;   in Loop: Header=BB54_10 Depth=2
	s_or_b64 exec, exec, s[16:17]
	v_add_u32_e32 v20, 8, v20
	v_cmp_ge_i32_e64 s[16:17], v20, v24
	s_xor_b64 s[66:67], vcc, -1
	s_or_b64 s[16:17], s[66:67], s[16:17]
	s_and_b64 s[16:17], exec, s[16:17]
	s_or_b64 s[60:61], s[16:17], s[60:61]
	s_andn2_b64 exec, exec, s[60:61]
	s_cbranch_execz .LBB54_14
.LBB54_10:                              ;   Parent Loop BB54_7 Depth=1
                                        ; =>  This Inner Loop Header: Depth=2
	v_ashrrev_i32_e32 v21, 31, v20
	v_lshl_add_u64 v[36:37], v[20:21], 2, s[26:27]
	global_load_dword v35, v[36:37], off
	s_waitcnt vmcnt(0)
	v_subrev_u32_e32 v35, s23, v35
	v_sub_u32_e32 v37, 0, v35
	v_max_i32_e32 v37, v35, v37
	v_mul_hi_u32 v38, v37, v32
	v_mul_lo_u32 v39, v38, s21
	v_sub_u32_e32 v37, v37, v39
	v_add_u32_e32 v40, 1, v38
	v_cmp_le_u32_e32 vcc, s21, v37
	v_subrev_u32_e32 v39, s21, v37
	v_ashrrev_i32_e32 v36, 31, v35
	v_cndmask_b32_e32 v38, v38, v40, vcc
	v_cndmask_b32_e32 v37, v37, v39, vcc
	v_add_u32_e32 v39, 1, v38
	v_cmp_le_u32_e32 vcc, s21, v37
	v_xor_b32_e32 v36, s62, v36
	s_nop 0
	v_cndmask_b32_e32 v37, v38, v39, vcc
	v_xor_b32_e32 v37, v37, v36
	v_sub_u32_e32 v37, v37, v36
	v_cmp_eq_u32_e32 vcc, v37, v22
	v_cmp_ne_u32_e64 s[16:17], v37, v22
	v_mov_b32_e32 v36, v31
	s_and_saveexec_b64 s[66:67], s[16:17]
	s_xor_b64 s[16:17], exec, s[66:67]
; %bb.11:                               ;   in Loop: Header=BB54_10 Depth=2
	v_min_i32_e32 v34, v37, v34
                                        ; implicit-def: $vgpr35
                                        ; implicit-def: $vgpr36
; %bb.12:                               ;   in Loop: Header=BB54_10 Depth=2
	s_or_saveexec_b64 s[16:17], s[16:17]
	v_mov_b32_e32 v31, v20
	s_xor_b64 exec, exec, s[16:17]
	s_cbranch_execz .LBB54_9
; %bb.13:                               ;   in Loop: Header=BB54_10 Depth=2
	v_lshl_add_u64 v[38:39], v[20:21], 2, s[24:25]
	global_load_dword v21, v[38:39], off
	v_sub_u32_e32 v31, v35, v23
	v_add_lshl_u32 v31, v31, v26, 2
	ds_write_b8 v3, v33 offset:4096
	s_waitcnt vmcnt(0)
	ds_write_b32 v31, v21
	v_mov_b32_e32 v31, v36
	s_branch .LBB54_9
.LBB54_14:                              ;   in Loop: Header=BB54_7 Depth=1
	s_or_b64 exec, exec, s[60:61]
.LBB54_15:                              ;   in Loop: Header=BB54_7 Depth=1
	s_or_b64 exec, exec, s[58:59]
	v_mov_b32_dpp v20, v31 row_shr:1 row_mask:0xf bank_mask:0xf
	v_min_i32_e32 v20, v20, v31
	s_waitcnt lgkmcnt(0)
	s_barrier
	v_mov_b32_dpp v21, v20 row_shr:2 row_mask:0xf bank_mask:0xf
	v_min_i32_e32 v20, v21, v20
	ds_read_u8 v21, v3 offset:4096
	s_nop 0
	v_mov_b32_dpp v23, v20 row_shr:4 row_mask:0xf bank_mask:0xe
	v_min_i32_e32 v20, v23, v20
	ds_bpermute_b32 v31, v28, v20
	s_mov_b32 s29, 0
	s_waitcnt lgkmcnt(1)
	v_cmp_eq_u32_e32 vcc, 0, v21
	s_cbranch_vccnz .LBB54_26
; %bb.16:                               ;   in Loop: Header=BB54_7 Depth=1
	s_ashr_i32 s29, s28, 31
	s_lshl_b64 s[16:17], s[28:29], 2
	s_add_u32 s16, s18, s16
	v_add_u32_e32 v20, s33, v22
	s_addc_u32 s17, s19, s17
	global_store_dword v3, v20, s[16:17]
	s_mul_hi_u32 s16, s64, s28
	s_mul_i32 s17, s64, s29
	s_add_i32 s16, s16, s17
	s_mul_i32 s17, s63, s28
	s_add_i32 s17, s16, s17
	s_mul_i32 s16, s64, s28
	s_lshl_b64 s[16:17], s[16:17], 2
	v_lshl_add_u64 v[20:21], v[4:5], 0, s[16:17]
	v_lshl_add_u64 v[22:23], v[6:7], 0, s[16:17]
	s_and_saveexec_b64 s[16:17], s[30:31]
	s_cbranch_execnz .LBB54_40
; %bb.17:                               ;   in Loop: Header=BB54_7 Depth=1
	s_or_b64 exec, exec, s[16:17]
	s_and_saveexec_b64 s[16:17], s[34:35]
	s_cbranch_execnz .LBB54_41
.LBB54_18:                              ;   in Loop: Header=BB54_7 Depth=1
	s_or_b64 exec, exec, s[16:17]
	s_and_saveexec_b64 s[16:17], s[36:37]
	s_cbranch_execnz .LBB54_42
.LBB54_19:                              ;   in Loop: Header=BB54_7 Depth=1
	s_or_b64 exec, exec, s[16:17]
	s_and_saveexec_b64 s[16:17], s[38:39]
	s_cbranch_execnz .LBB54_43
.LBB54_20:                              ;   in Loop: Header=BB54_7 Depth=1
	s_or_b64 exec, exec, s[16:17]
	s_and_saveexec_b64 s[16:17], s[40:41]
	s_cbranch_execnz .LBB54_44
.LBB54_21:                              ;   in Loop: Header=BB54_7 Depth=1
	s_or_b64 exec, exec, s[16:17]
	s_and_saveexec_b64 s[16:17], s[42:43]
	s_cbranch_execnz .LBB54_45
.LBB54_22:                              ;   in Loop: Header=BB54_7 Depth=1
	s_or_b64 exec, exec, s[16:17]
	s_and_saveexec_b64 s[16:17], s[44:45]
	s_cbranch_execnz .LBB54_46
.LBB54_23:                              ;   in Loop: Header=BB54_7 Depth=1
	s_or_b64 exec, exec, s[16:17]
	s_and_saveexec_b64 s[16:17], s[46:47]
	s_cbranch_execz .LBB54_25
.LBB54_24:                              ;   in Loop: Header=BB54_7 Depth=1
	ds_read_b32 v35, v30 offset:224
	v_lshl_add_u64 v[22:23], v[22:23], 0, s[56:57]
	v_lshl_add_u64 v[20:21], v[18:19], 2, v[20:21]
	v_cndmask_b32_e64 v21, v21, v23, s[0:1]
	v_cndmask_b32_e64 v20, v20, v22, s[0:1]
	s_waitcnt lgkmcnt(0)
	global_store_dword v[20:21], v35, off
.LBB54_25:                              ;   in Loop: Header=BB54_7 Depth=1
	s_or_b64 exec, exec, s[16:17]
	s_mov_b32 s29, 1
.LBB54_26:                              ;   in Loop: Header=BB54_7 Depth=1
	s_waitcnt lgkmcnt(0)
	s_barrier
	ds_write_b32 v29, v34
	s_waitcnt lgkmcnt(0)
	s_barrier
	s_and_saveexec_b64 s[16:17], s[2:3]
	s_cbranch_execz .LBB54_28
; %bb.27:                               ;   in Loop: Header=BB54_7 Depth=1
	ds_read2st64_b32 v[20:21], v29 offset1:1
	s_waitcnt lgkmcnt(0)
	v_min_i32_e32 v20, v21, v20
	ds_write_b32 v29, v20
.LBB54_28:                              ;   in Loop: Header=BB54_7 Depth=1
	s_or_b64 exec, exec, s[16:17]
	s_waitcnt lgkmcnt(0)
	s_barrier
	s_and_saveexec_b64 s[16:17], s[4:5]
	s_cbranch_execz .LBB54_30
; %bb.29:                               ;   in Loop: Header=BB54_7 Depth=1
	ds_read2_b32 v[20:21], v29 offset1:32
	s_waitcnt lgkmcnt(0)
	v_min_i32_e32 v20, v21, v20
	ds_write_b32 v29, v20
.LBB54_30:                              ;   in Loop: Header=BB54_7 Depth=1
	s_or_b64 exec, exec, s[16:17]
	s_waitcnt lgkmcnt(0)
	s_barrier
	s_and_saveexec_b64 s[16:17], s[6:7]
	s_cbranch_execz .LBB54_32
; %bb.31:                               ;   in Loop: Header=BB54_7 Depth=1
	ds_read2_b32 v[20:21], v29 offset1:16
	s_waitcnt lgkmcnt(0)
	v_min_i32_e32 v20, v21, v20
	ds_write_b32 v29, v20
.LBB54_32:                              ;   in Loop: Header=BB54_7 Depth=1
	;; [unrolled: 11-line block ×5, first 2 shown]
	s_or_b64 exec, exec, s[16:17]
	s_waitcnt lgkmcnt(0)
	s_barrier
	s_and_saveexec_b64 s[16:17], s[14:15]
	s_cbranch_execz .LBB54_6
; %bb.39:                               ;   in Loop: Header=BB54_7 Depth=1
	ds_read_b64 v[20:21], v3
	s_waitcnt lgkmcnt(0)
	v_min_i32_e32 v20, v21, v20
	ds_write_b32 v3, v20
	s_branch .LBB54_6
.LBB54_40:                              ;   in Loop: Header=BB54_7 Depth=1
	ds_read_b32 v35, v30
	v_lshl_add_u64 v[36:37], v[2:3], 2, v[20:21]
	v_cndmask_b32_e64 v37, v37, v23, s[0:1]
	v_cndmask_b32_e64 v36, v36, v22, s[0:1]
	s_waitcnt lgkmcnt(0)
	global_store_dword v[36:37], v35, off
	s_or_b64 exec, exec, s[16:17]
	s_and_saveexec_b64 s[16:17], s[34:35]
	s_cbranch_execz .LBB54_18
.LBB54_41:                              ;   in Loop: Header=BB54_7 Depth=1
	ds_read_b32 v35, v30 offset:32
	v_lshl_add_u64 v[36:37], v[22:23], 0, 32
	v_lshl_add_u64 v[38:39], v[0:1], 2, v[20:21]
	v_cndmask_b32_e64 v37, v39, v37, s[0:1]
	v_cndmask_b32_e64 v36, v38, v36, s[0:1]
	s_waitcnt lgkmcnt(0)
	global_store_dword v[36:37], v35, off
	s_or_b64 exec, exec, s[16:17]
	s_and_saveexec_b64 s[16:17], s[36:37]
	s_cbranch_execz .LBB54_19
.LBB54_42:                              ;   in Loop: Header=BB54_7 Depth=1
	ds_read_b32 v35, v30 offset:64
	v_lshl_add_u64 v[36:37], v[22:23], 0, 64
	v_lshl_add_u64 v[38:39], v[8:9], 2, v[20:21]
	v_cndmask_b32_e64 v37, v39, v37, s[0:1]
	v_cndmask_b32_e64 v36, v38, v36, s[0:1]
	s_waitcnt lgkmcnt(0)
	global_store_dword v[36:37], v35, off
	s_or_b64 exec, exec, s[16:17]
	s_and_saveexec_b64 s[16:17], s[38:39]
	s_cbranch_execz .LBB54_20
.LBB54_43:                              ;   in Loop: Header=BB54_7 Depth=1
	ds_read_b32 v35, v30 offset:96
	v_lshl_add_u64 v[36:37], v[22:23], 0, s[48:49]
	v_lshl_add_u64 v[38:39], v[10:11], 2, v[20:21]
	v_cndmask_b32_e64 v37, v39, v37, s[0:1]
	v_cndmask_b32_e64 v36, v38, v36, s[0:1]
	s_waitcnt lgkmcnt(0)
	global_store_dword v[36:37], v35, off
	s_or_b64 exec, exec, s[16:17]
	s_and_saveexec_b64 s[16:17], s[40:41]
	s_cbranch_execz .LBB54_21
.LBB54_44:                              ;   in Loop: Header=BB54_7 Depth=1
	ds_read_b32 v35, v30 offset:128
	v_lshl_add_u64 v[36:37], v[22:23], 0, s[50:51]
	v_lshl_add_u64 v[38:39], v[12:13], 2, v[20:21]
	v_cndmask_b32_e64 v37, v39, v37, s[0:1]
	v_cndmask_b32_e64 v36, v38, v36, s[0:1]
	s_waitcnt lgkmcnt(0)
	global_store_dword v[36:37], v35, off
	s_or_b64 exec, exec, s[16:17]
	s_and_saveexec_b64 s[16:17], s[42:43]
	s_cbranch_execz .LBB54_22
.LBB54_45:                              ;   in Loop: Header=BB54_7 Depth=1
	ds_read_b32 v35, v30 offset:160
	v_lshl_add_u64 v[36:37], v[22:23], 0, s[52:53]
	v_lshl_add_u64 v[38:39], v[14:15], 2, v[20:21]
	v_cndmask_b32_e64 v37, v39, v37, s[0:1]
	v_cndmask_b32_e64 v36, v38, v36, s[0:1]
	s_waitcnt lgkmcnt(0)
	global_store_dword v[36:37], v35, off
	s_or_b64 exec, exec, s[16:17]
	s_and_saveexec_b64 s[16:17], s[44:45]
	s_cbranch_execz .LBB54_23
.LBB54_46:                              ;   in Loop: Header=BB54_7 Depth=1
	ds_read_b32 v35, v30 offset:192
	v_lshl_add_u64 v[36:37], v[22:23], 0, s[54:55]
	v_lshl_add_u64 v[38:39], v[16:17], 2, v[20:21]
	v_cndmask_b32_e64 v37, v39, v37, s[0:1]
	v_cndmask_b32_e64 v36, v38, v36, s[0:1]
	s_waitcnt lgkmcnt(0)
	global_store_dword v[36:37], v35, off
	s_or_b64 exec, exec, s[16:17]
	s_and_saveexec_b64 s[16:17], s[46:47]
	s_cbranch_execnz .LBB54_24
	s_branch .LBB54_25
.LBB54_47:
	s_endpgm
	.section	.rodata,"a",@progbits
	.p2align	6, 0x0
	.amdhsa_kernel _ZN9rocsparseL40csr2gebsr_block_per_row_multipass_kernelILj128ELj16ELj64EfEEv20rocsparse_direction_iiiiii21rocsparse_index_base_PKT2_PKiS7_S2_PS3_PiS9_
		.amdhsa_group_segment_fixed_size 4100
		.amdhsa_private_segment_fixed_size 0
		.amdhsa_kernarg_size 88
		.amdhsa_user_sgpr_count 2
		.amdhsa_user_sgpr_dispatch_ptr 0
		.amdhsa_user_sgpr_queue_ptr 0
		.amdhsa_user_sgpr_kernarg_segment_ptr 1
		.amdhsa_user_sgpr_dispatch_id 0
		.amdhsa_user_sgpr_kernarg_preload_length 0
		.amdhsa_user_sgpr_kernarg_preload_offset 0
		.amdhsa_user_sgpr_private_segment_size 0
		.amdhsa_uses_dynamic_stack 0
		.amdhsa_enable_private_segment 0
		.amdhsa_system_sgpr_workgroup_id_x 1
		.amdhsa_system_sgpr_workgroup_id_y 0
		.amdhsa_system_sgpr_workgroup_id_z 0
		.amdhsa_system_sgpr_workgroup_info 0
		.amdhsa_system_vgpr_workitem_id 0
		.amdhsa_next_free_vgpr 41
		.amdhsa_next_free_sgpr 68
		.amdhsa_accum_offset 44
		.amdhsa_reserve_vcc 1
		.amdhsa_float_round_mode_32 0
		.amdhsa_float_round_mode_16_64 0
		.amdhsa_float_denorm_mode_32 3
		.amdhsa_float_denorm_mode_16_64 3
		.amdhsa_dx10_clamp 1
		.amdhsa_ieee_mode 1
		.amdhsa_fp16_overflow 0
		.amdhsa_tg_split 0
		.amdhsa_exception_fp_ieee_invalid_op 0
		.amdhsa_exception_fp_denorm_src 0
		.amdhsa_exception_fp_ieee_div_zero 0
		.amdhsa_exception_fp_ieee_overflow 0
		.amdhsa_exception_fp_ieee_underflow 0
		.amdhsa_exception_fp_ieee_inexact 0
		.amdhsa_exception_int_div_zero 0
	.end_amdhsa_kernel
	.section	.text._ZN9rocsparseL40csr2gebsr_block_per_row_multipass_kernelILj128ELj16ELj64EfEEv20rocsparse_direction_iiiiii21rocsparse_index_base_PKT2_PKiS7_S2_PS3_PiS9_,"axG",@progbits,_ZN9rocsparseL40csr2gebsr_block_per_row_multipass_kernelILj128ELj16ELj64EfEEv20rocsparse_direction_iiiiii21rocsparse_index_base_PKT2_PKiS7_S2_PS3_PiS9_,comdat
.Lfunc_end54:
	.size	_ZN9rocsparseL40csr2gebsr_block_per_row_multipass_kernelILj128ELj16ELj64EfEEv20rocsparse_direction_iiiiii21rocsparse_index_base_PKT2_PKiS7_S2_PS3_PiS9_, .Lfunc_end54-_ZN9rocsparseL40csr2gebsr_block_per_row_multipass_kernelILj128ELj16ELj64EfEEv20rocsparse_direction_iiiiii21rocsparse_index_base_PKT2_PKiS7_S2_PS3_PiS9_
                                        ; -- End function
	.section	.AMDGPU.csdata,"",@progbits
; Kernel info:
; codeLenInByte = 2196
; NumSgprs: 74
; NumVgprs: 41
; NumAgprs: 0
; TotalNumVgprs: 41
; ScratchSize: 0
; MemoryBound: 0
; FloatMode: 240
; IeeeMode: 1
; LDSByteSize: 4100 bytes/workgroup (compile time only)
; SGPRBlocks: 9
; VGPRBlocks: 5
; NumSGPRsForWavesPerEU: 74
; NumVGPRsForWavesPerEU: 41
; AccumOffset: 44
; Occupancy: 8
; WaveLimiterHint : 0
; COMPUTE_PGM_RSRC2:SCRATCH_EN: 0
; COMPUTE_PGM_RSRC2:USER_SGPR: 2
; COMPUTE_PGM_RSRC2:TRAP_HANDLER: 0
; COMPUTE_PGM_RSRC2:TGID_X_EN: 1
; COMPUTE_PGM_RSRC2:TGID_Y_EN: 0
; COMPUTE_PGM_RSRC2:TGID_Z_EN: 0
; COMPUTE_PGM_RSRC2:TIDIG_COMP_CNT: 0
; COMPUTE_PGM_RSRC3_GFX90A:ACCUM_OFFSET: 10
; COMPUTE_PGM_RSRC3_GFX90A:TG_SPLIT: 0
	.section	.text._ZN9rocsparseL44csr2gebsr_wavefront_per_row_multipass_kernelILi256ELi32ELi2ELi64EfEEv20rocsparse_direction_iiiiii21rocsparse_index_base_PKT3_PKiS7_S2_PS3_PiS9_,"axG",@progbits,_ZN9rocsparseL44csr2gebsr_wavefront_per_row_multipass_kernelILi256ELi32ELi2ELi64EfEEv20rocsparse_direction_iiiiii21rocsparse_index_base_PKT3_PKiS7_S2_PS3_PiS9_,comdat
	.globl	_ZN9rocsparseL44csr2gebsr_wavefront_per_row_multipass_kernelILi256ELi32ELi2ELi64EfEEv20rocsparse_direction_iiiiii21rocsparse_index_base_PKT3_PKiS7_S2_PS3_PiS9_ ; -- Begin function _ZN9rocsparseL44csr2gebsr_wavefront_per_row_multipass_kernelILi256ELi32ELi2ELi64EfEEv20rocsparse_direction_iiiiii21rocsparse_index_base_PKT3_PKiS7_S2_PS3_PiS9_
	.p2align	8
	.type	_ZN9rocsparseL44csr2gebsr_wavefront_per_row_multipass_kernelILi256ELi32ELi2ELi64EfEEv20rocsparse_direction_iiiiii21rocsparse_index_base_PKT3_PKiS7_S2_PS3_PiS9_,@function
_ZN9rocsparseL44csr2gebsr_wavefront_per_row_multipass_kernelILi256ELi32ELi2ELi64EfEEv20rocsparse_direction_iiiiii21rocsparse_index_base_PKT3_PKiS7_S2_PS3_PiS9_: ; @_ZN9rocsparseL44csr2gebsr_wavefront_per_row_multipass_kernelILi256ELi32ELi2ELi64EfEEv20rocsparse_direction_iiiiii21rocsparse_index_base_PKT3_PKiS7_S2_PS3_PiS9_
; %bb.0:
	s_load_dwordx2 s[14:15], s[0:1], 0x0
	s_load_dwordx4 s[4:7], s[0:1], 0xc
	s_load_dword s20, s[0:1], 0x1c
	s_load_dwordx2 s[8:9], s[0:1], 0x28
	v_lshrrev_b32_e32 v10, 6, v0
	v_bfe_u32 v8, v0, 1, 5
	v_lshl_or_b32 v4, s2, 2, v10
	s_waitcnt lgkmcnt(0)
	v_mad_u64_u32 v[2:3], s[2:3], v4, s6, v[8:9]
	v_cmp_gt_i32_e64 s[2:3], s15, v2
	v_cmp_gt_i32_e32 vcc, s6, v8
	s_and_b64 s[2:3], vcc, s[2:3]
	v_mov_b32_e32 v11, 0
	v_mov_b32_e32 v6, 0
	s_and_saveexec_b64 s[10:11], s[2:3]
	s_cbranch_execz .LBB55_2
; %bb.1:
	v_ashrrev_i32_e32 v3, 31, v2
	v_lshl_add_u64 v[6:7], v[2:3], 2, s[8:9]
	global_load_dword v1, v[6:7], off
	s_waitcnt vmcnt(0)
	v_subrev_u32_e32 v6, s20, v1
.LBB55_2:
	s_or_b64 exec, exec, s[10:11]
	s_and_saveexec_b64 s[10:11], s[2:3]
	s_cbranch_execz .LBB55_4
; %bb.3:
	v_ashrrev_i32_e32 v3, 31, v2
	v_lshl_add_u64 v[2:3], v[2:3], 2, s[8:9]
	global_load_dword v1, v[2:3], off offset:4
	s_waitcnt vmcnt(0)
	v_subrev_u32_e32 v11, s20, v1
.LBB55_4:
	s_or_b64 exec, exec, s[10:11]
	s_load_dword s21, s[0:1], 0x38
	v_cmp_gt_i32_e64 s[2:3], s4, v4
	v_mov_b32_e32 v2, 0
	s_and_saveexec_b64 s[8:9], s[2:3]
	s_cbranch_execz .LBB55_6
; %bb.5:
	s_load_dwordx2 s[2:3], s[0:1], 0x48
	v_ashrrev_i32_e32 v5, 31, v4
	s_waitcnt lgkmcnt(0)
	v_lshl_add_u64 v[2:3], v[4:5], 2, s[2:3]
	global_load_dword v1, v[2:3], off
	s_waitcnt vmcnt(0)
	v_subrev_u32_e32 v2, s21, v1
.LBB55_6:
	s_or_b64 exec, exec, s[8:9]
	s_cmp_lt_i32 s5, 1
	s_cbranch_scc1 .LBB55_21
; %bb.7:
	v_and_b32_e32 v4, 1, v0
	s_load_dwordx2 s[2:3], s[0:1], 0x20
	s_load_dwordx2 s[8:9], s[0:1], 0x50
	;; [unrolled: 1-line block ×4, first 2 shown]
	v_cmp_gt_u32_e64 s[0:1], s7, v4
	s_and_b64 s[12:13], vcc, s[0:1]
	s_cmp_eq_u32 s14, 0
	s_cselect_b64 vcc, -1, 0
	s_abs_i32 s4, s7
	v_cvt_f32_u32_e32 v7, s4
	v_and_b32_e32 v0, 0xc0, v0
	v_lshl_or_b32 v12, v8, 1, v0
	v_mbcnt_lo_u32_b32 v0, -1, 0
	v_mbcnt_hi_u32_b32 v0, -1, v0
	v_lshlrev_b32_e32 v3, 2, v0
	v_or_b32_e32 v0, v12, v4
	v_mov_b32_e32 v5, 0
	v_rcp_iflag_f32_e32 v7, v7
	v_lshlrev_b32_e32 v15, 2, v0
	v_mul_lo_u32 v0, v4, s6
	v_mov_b32_e32 v1, v5
	v_lshlrev_b32_e32 v16, 2, v8
	v_mul_lo_u32 v8, v8, s7
	s_waitcnt lgkmcnt(0)
	v_lshl_add_u64 v[0:1], v[0:1], 2, s[16:17]
	v_mov_b32_e32 v17, v5
	v_ashrrev_i32_e32 v9, 31, v8
	v_lshl_add_u64 v[0:1], v[0:1], 0, v[16:17]
	v_lshl_add_u64 v[8:9], v[8:9], 2, s[16:17]
	v_lshlrev_b32_e32 v16, 2, v4
	v_or_b32_e32 v14, 4, v3
	v_lshl_add_u64 v[8:9], v[8:9], 0, v[16:17]
	v_or_b32_e32 v16, 0xfc, v3
	v_mul_f32_e32 v3, 0x4f7ffffe, v7
	v_cvt_u32_f32_e32 v3, v3
	s_ashr_i32 s22, s7, 31
	s_mul_hi_u32 s0, s7, s6
	s_mul_i32 s1, s22, s6
	s_add_i32 s23, s0, s1
	s_sub_i32 s0, 0, s4
	v_mul_lo_u32 v7, s0, v3
	v_mul_hi_u32 v7, v3, v7
	v_mov_b32_e32 v13, 0
	s_mul_i32 s6, s7, s6
	v_cndmask_b32_e32 v1, v1, v9, vcc
	v_cndmask_b32_e32 v0, v0, v8, vcc
	v_add_u32_e32 v17, v3, v7
	s_mov_b64 s[14:15], 0
	v_mov_b32_e32 v18, 1
	v_mov_b32_e32 v3, 0
	s_branch .LBB55_10
.LBB55_8:                               ;   in Loop: Header=BB55_10 Depth=1
	s_or_b64 exec, exec, s[16:17]
	v_mov_b32_e32 v7, 1
.LBB55_9:                               ;   in Loop: Header=BB55_10 Depth=1
	s_or_b64 exec, exec, s[0:1]
	v_mov_b32_dpp v3, v19 row_shr:1 row_mask:0xf bank_mask:0xf
	v_min_i32_e32 v3, v3, v19
	v_add_u32_e32 v2, v7, v2
	s_waitcnt lgkmcnt(0)
	v_mov_b32_dpp v8, v3 row_shr:2 row_mask:0xf bank_mask:0xf
	v_min_i32_e32 v3, v8, v3
	s_nop 1
	v_mov_b32_dpp v8, v3 row_shr:4 row_mask:0xf bank_mask:0xe
	v_min_i32_e32 v3, v8, v3
	s_nop 1
	;; [unrolled: 3-line block ×3, first 2 shown]
	v_mov_b32_dpp v8, v3 row_bcast:15 row_mask:0xa bank_mask:0xf
	v_min_i32_e32 v3, v8, v3
	s_nop 1
	v_mov_b32_dpp v8, v3 row_bcast:31 row_mask:0xc bank_mask:0xf
	v_min_i32_e32 v3, v8, v3
	ds_bpermute_b32 v3, v16, v3
	s_waitcnt lgkmcnt(0)
	v_cmp_le_i32_e32 vcc, s5, v3
	s_or_b64 s[14:15], vcc, s[14:15]
	s_andn2_b64 exec, exec, s[14:15]
	s_cbranch_execz .LBB55_21
.LBB55_10:                              ; =>This Loop Header: Depth=1
                                        ;     Child Loop BB55_13 Depth 2
	v_add_u32_e32 v20, v6, v4
	v_cmp_lt_i32_e32 vcc, v20, v11
	v_mov_b32_e32 v19, s5
	v_mov_b32_e32 v22, v11
	ds_write_b8 v10, v13 offset:1024
	ds_write_b32 v15, v5
	s_waitcnt lgkmcnt(0)
	s_and_saveexec_b64 s[16:17], vcc
	s_cbranch_execz .LBB55_18
; %bb.11:                               ;   in Loop: Header=BB55_10 Depth=1
	v_ashrrev_i32_e32 v7, 31, v6
	v_lshl_add_u64 v[6:7], v[4:5], 0, v[6:7]
	v_lshlrev_b64 v[8:9], 2, v[6:7]
	v_mul_lo_u32 v21, v3, s7
	v_lshl_add_u64 v[6:7], s[10:11], 0, v[8:9]
	v_lshl_add_u64 v[8:9], s[2:3], 0, v[8:9]
	s_mov_b64 s[18:19], 0
	v_mov_b32_e32 v19, s5
	v_mov_b32_e32 v22, v11
	s_branch .LBB55_13
.LBB55_12:                              ;   in Loop: Header=BB55_13 Depth=2
	s_or_b64 exec, exec, s[0:1]
	v_add_u32_e32 v20, 2, v20
	v_cmp_ge_i32_e64 s[0:1], v20, v11
	s_xor_b64 s[24:25], vcc, -1
	s_or_b64 s[0:1], s[24:25], s[0:1]
	s_and_b64 s[0:1], exec, s[0:1]
	v_lshl_add_u64 v[6:7], v[6:7], 0, 8
	s_or_b64 s[18:19], s[0:1], s[18:19]
	v_lshl_add_u64 v[8:9], v[8:9], 0, 8
	s_andn2_b64 exec, exec, s[18:19]
	s_cbranch_execz .LBB55_17
.LBB55_13:                              ;   Parent Loop BB55_10 Depth=1
                                        ; =>  This Inner Loop Header: Depth=2
	global_load_dword v23, v[6:7], off
	s_waitcnt vmcnt(0)
	v_subrev_u32_e32 v23, s20, v23
	v_sub_u32_e32 v25, 0, v23
	v_max_i32_e32 v25, v23, v25
	v_mul_hi_u32 v26, v25, v17
	v_mul_lo_u32 v27, v26, s4
	v_sub_u32_e32 v25, v25, v27
	v_add_u32_e32 v28, 1, v26
	v_cmp_le_u32_e32 vcc, s4, v25
	v_subrev_u32_e32 v27, s4, v25
	v_ashrrev_i32_e32 v24, 31, v23
	v_cndmask_b32_e32 v26, v26, v28, vcc
	v_cndmask_b32_e32 v25, v25, v27, vcc
	v_add_u32_e32 v27, 1, v26
	v_cmp_le_u32_e32 vcc, s4, v25
	v_xor_b32_e32 v24, s22, v24
	s_nop 0
	v_cndmask_b32_e32 v25, v26, v27, vcc
	v_xor_b32_e32 v25, v25, v24
	v_sub_u32_e32 v25, v25, v24
	v_cmp_eq_u32_e32 vcc, v25, v3
	v_cmp_ne_u32_e64 s[0:1], v25, v3
	v_mov_b32_e32 v24, v22
	s_and_saveexec_b64 s[24:25], s[0:1]
	s_xor_b64 s[0:1], exec, s[24:25]
; %bb.14:                               ;   in Loop: Header=BB55_13 Depth=2
	v_min_i32_e32 v19, v25, v19
                                        ; implicit-def: $vgpr23
                                        ; implicit-def: $vgpr24
; %bb.15:                               ;   in Loop: Header=BB55_13 Depth=2
	s_or_saveexec_b64 s[0:1], s[0:1]
	v_mov_b32_e32 v22, v20
	s_xor_b64 exec, exec, s[0:1]
	s_cbranch_execz .LBB55_12
; %bb.16:                               ;   in Loop: Header=BB55_13 Depth=2
	global_load_dword v22, v[8:9], off
	v_sub_u32_e32 v23, v23, v21
	v_add_lshl_u32 v23, v12, v23, 2
	ds_write_b8 v10, v18 offset:1024
	s_waitcnt vmcnt(0)
	ds_write_b32 v23, v22
	v_mov_b32_e32 v22, v24
	s_branch .LBB55_12
.LBB55_17:                              ;   in Loop: Header=BB55_10 Depth=1
	s_or_b64 exec, exec, s[18:19]
.LBB55_18:                              ;   in Loop: Header=BB55_10 Depth=1
	s_or_b64 exec, exec, s[16:17]
	s_waitcnt lgkmcnt(0)
	ds_read_u8 v7, v10 offset:1024
	v_mov_b32_dpp v6, v22 row_shr:1 row_mask:0xf bank_mask:0xf
	v_min_i32_e32 v6, v6, v22
	ds_bpermute_b32 v6, v14, v6
	s_waitcnt lgkmcnt(1)
	v_and_b32_e32 v7, 1, v7
	v_cmp_eq_u32_e32 vcc, 1, v7
	v_mov_b32_e32 v7, 0
	s_and_saveexec_b64 s[0:1], vcc
	s_cbranch_execz .LBB55_9
; %bb.19:                               ;   in Loop: Header=BB55_10 Depth=1
	v_add_u32_e32 v7, s21, v3
	v_ashrrev_i32_e32 v3, 31, v2
	v_lshl_add_u64 v[8:9], v[2:3], 2, s[8:9]
	global_store_dword v[8:9], v7, off
	s_and_saveexec_b64 s[16:17], s[12:13]
	s_cbranch_execz .LBB55_8
; %bb.20:                               ;   in Loop: Header=BB55_10 Depth=1
	ds_read_b32 v7, v15
	v_mul_lo_u32 v20, s23, v2
	v_mul_lo_u32 v3, s6, v3
	v_mad_u64_u32 v[8:9], s[18:19], s6, v2, 0
	v_add3_u32 v9, v9, v3, v20
	v_lshl_add_u64 v[8:9], v[8:9], 2, v[0:1]
	s_waitcnt lgkmcnt(0)
	global_store_dword v[8:9], v7, off
	s_branch .LBB55_8
.LBB55_21:
	s_endpgm
	.section	.rodata,"a",@progbits
	.p2align	6, 0x0
	.amdhsa_kernel _ZN9rocsparseL44csr2gebsr_wavefront_per_row_multipass_kernelILi256ELi32ELi2ELi64EfEEv20rocsparse_direction_iiiiii21rocsparse_index_base_PKT3_PKiS7_S2_PS3_PiS9_
		.amdhsa_group_segment_fixed_size 1028
		.amdhsa_private_segment_fixed_size 0
		.amdhsa_kernarg_size 88
		.amdhsa_user_sgpr_count 2
		.amdhsa_user_sgpr_dispatch_ptr 0
		.amdhsa_user_sgpr_queue_ptr 0
		.amdhsa_user_sgpr_kernarg_segment_ptr 1
		.amdhsa_user_sgpr_dispatch_id 0
		.amdhsa_user_sgpr_kernarg_preload_length 0
		.amdhsa_user_sgpr_kernarg_preload_offset 0
		.amdhsa_user_sgpr_private_segment_size 0
		.amdhsa_uses_dynamic_stack 0
		.amdhsa_enable_private_segment 0
		.amdhsa_system_sgpr_workgroup_id_x 1
		.amdhsa_system_sgpr_workgroup_id_y 0
		.amdhsa_system_sgpr_workgroup_id_z 0
		.amdhsa_system_sgpr_workgroup_info 0
		.amdhsa_system_vgpr_workitem_id 0
		.amdhsa_next_free_vgpr 29
		.amdhsa_next_free_sgpr 26
		.amdhsa_accum_offset 32
		.amdhsa_reserve_vcc 1
		.amdhsa_float_round_mode_32 0
		.amdhsa_float_round_mode_16_64 0
		.amdhsa_float_denorm_mode_32 3
		.amdhsa_float_denorm_mode_16_64 3
		.amdhsa_dx10_clamp 1
		.amdhsa_ieee_mode 1
		.amdhsa_fp16_overflow 0
		.amdhsa_tg_split 0
		.amdhsa_exception_fp_ieee_invalid_op 0
		.amdhsa_exception_fp_denorm_src 0
		.amdhsa_exception_fp_ieee_div_zero 0
		.amdhsa_exception_fp_ieee_overflow 0
		.amdhsa_exception_fp_ieee_underflow 0
		.amdhsa_exception_fp_ieee_inexact 0
		.amdhsa_exception_int_div_zero 0
	.end_amdhsa_kernel
	.section	.text._ZN9rocsparseL44csr2gebsr_wavefront_per_row_multipass_kernelILi256ELi32ELi2ELi64EfEEv20rocsparse_direction_iiiiii21rocsparse_index_base_PKT3_PKiS7_S2_PS3_PiS9_,"axG",@progbits,_ZN9rocsparseL44csr2gebsr_wavefront_per_row_multipass_kernelILi256ELi32ELi2ELi64EfEEv20rocsparse_direction_iiiiii21rocsparse_index_base_PKT3_PKiS7_S2_PS3_PiS9_,comdat
.Lfunc_end55:
	.size	_ZN9rocsparseL44csr2gebsr_wavefront_per_row_multipass_kernelILi256ELi32ELi2ELi64EfEEv20rocsparse_direction_iiiiii21rocsparse_index_base_PKT3_PKiS7_S2_PS3_PiS9_, .Lfunc_end55-_ZN9rocsparseL44csr2gebsr_wavefront_per_row_multipass_kernelILi256ELi32ELi2ELi64EfEEv20rocsparse_direction_iiiiii21rocsparse_index_base_PKT3_PKiS7_S2_PS3_PiS9_
                                        ; -- End function
	.section	.AMDGPU.csdata,"",@progbits
; Kernel info:
; codeLenInByte = 1180
; NumSgprs: 32
; NumVgprs: 29
; NumAgprs: 0
; TotalNumVgprs: 29
; ScratchSize: 0
; MemoryBound: 0
; FloatMode: 240
; IeeeMode: 1
; LDSByteSize: 1028 bytes/workgroup (compile time only)
; SGPRBlocks: 3
; VGPRBlocks: 3
; NumSGPRsForWavesPerEU: 32
; NumVGPRsForWavesPerEU: 29
; AccumOffset: 32
; Occupancy: 8
; WaveLimiterHint : 0
; COMPUTE_PGM_RSRC2:SCRATCH_EN: 0
; COMPUTE_PGM_RSRC2:USER_SGPR: 2
; COMPUTE_PGM_RSRC2:TRAP_HANDLER: 0
; COMPUTE_PGM_RSRC2:TGID_X_EN: 1
; COMPUTE_PGM_RSRC2:TGID_Y_EN: 0
; COMPUTE_PGM_RSRC2:TGID_Z_EN: 0
; COMPUTE_PGM_RSRC2:TIDIG_COMP_CNT: 0
; COMPUTE_PGM_RSRC3_GFX90A:ACCUM_OFFSET: 7
; COMPUTE_PGM_RSRC3_GFX90A:TG_SPLIT: 0
	.section	.text._ZN9rocsparseL44csr2gebsr_wavefront_per_row_multipass_kernelILi256ELi32ELi2ELi32EfEEv20rocsparse_direction_iiiiii21rocsparse_index_base_PKT3_PKiS7_S2_PS3_PiS9_,"axG",@progbits,_ZN9rocsparseL44csr2gebsr_wavefront_per_row_multipass_kernelILi256ELi32ELi2ELi32EfEEv20rocsparse_direction_iiiiii21rocsparse_index_base_PKT3_PKiS7_S2_PS3_PiS9_,comdat
	.globl	_ZN9rocsparseL44csr2gebsr_wavefront_per_row_multipass_kernelILi256ELi32ELi2ELi32EfEEv20rocsparse_direction_iiiiii21rocsparse_index_base_PKT3_PKiS7_S2_PS3_PiS9_ ; -- Begin function _ZN9rocsparseL44csr2gebsr_wavefront_per_row_multipass_kernelILi256ELi32ELi2ELi32EfEEv20rocsparse_direction_iiiiii21rocsparse_index_base_PKT3_PKiS7_S2_PS3_PiS9_
	.p2align	8
	.type	_ZN9rocsparseL44csr2gebsr_wavefront_per_row_multipass_kernelILi256ELi32ELi2ELi32EfEEv20rocsparse_direction_iiiiii21rocsparse_index_base_PKT3_PKiS7_S2_PS3_PiS9_,@function
_ZN9rocsparseL44csr2gebsr_wavefront_per_row_multipass_kernelILi256ELi32ELi2ELi32EfEEv20rocsparse_direction_iiiiii21rocsparse_index_base_PKT3_PKiS7_S2_PS3_PiS9_: ; @_ZN9rocsparseL44csr2gebsr_wavefront_per_row_multipass_kernelILi256ELi32ELi2ELi32EfEEv20rocsparse_direction_iiiiii21rocsparse_index_base_PKT3_PKiS7_S2_PS3_PiS9_
; %bb.0:
	s_load_dwordx2 s[14:15], s[0:1], 0x0
	s_load_dwordx4 s[4:7], s[0:1], 0xc
	s_load_dword s26, s[0:1], 0x1c
	s_load_dwordx2 s[8:9], s[0:1], 0x28
	v_lshrrev_b32_e32 v14, 5, v0
	v_and_b32_e32 v10, 31, v0
	v_lshl_or_b32 v6, s2, 3, v14
	s_waitcnt lgkmcnt(0)
	v_mad_u64_u32 v[4:5], s[2:3], v6, s6, v[10:11]
	v_cmp_gt_i32_e32 vcc, s15, v4
	v_cmp_gt_i32_e64 s[2:3], s6, v10
	s_and_b64 s[10:11], s[2:3], vcc
	v_mov_b32_e32 v15, 0
	v_mov_b32_e32 v2, 0
	s_and_saveexec_b64 s[12:13], s[10:11]
	s_cbranch_execz .LBB56_2
; %bb.1:
	v_ashrrev_i32_e32 v5, 31, v4
	v_lshl_add_u64 v[2:3], v[4:5], 2, s[8:9]
	global_load_dword v1, v[2:3], off
	s_waitcnt vmcnt(0)
	v_subrev_u32_e32 v2, s26, v1
.LBB56_2:
	s_or_b64 exec, exec, s[12:13]
	s_and_saveexec_b64 s[12:13], s[10:11]
	s_cbranch_execz .LBB56_4
; %bb.3:
	v_ashrrev_i32_e32 v5, 31, v4
	v_lshl_add_u64 v[4:5], v[4:5], 2, s[8:9]
	global_load_dword v1, v[4:5], off offset:4
	s_waitcnt vmcnt(0)
	v_subrev_u32_e32 v15, s26, v1
.LBB56_4:
	s_or_b64 exec, exec, s[12:13]
	s_load_dword s27, s[0:1], 0x38
	v_cmp_gt_i32_e32 vcc, s4, v6
	v_mov_b32_e32 v4, 0
	s_and_saveexec_b64 s[8:9], vcc
	s_cbranch_execz .LBB56_6
; %bb.5:
	s_load_dwordx2 s[10:11], s[0:1], 0x48
	v_ashrrev_i32_e32 v7, 31, v6
	s_waitcnt lgkmcnt(0)
	v_lshl_add_u64 v[4:5], v[6:7], 2, s[10:11]
	global_load_dword v1, v[4:5], off
	s_waitcnt vmcnt(0)
	v_subrev_u32_e32 v4, s27, v1
.LBB56_6:
	s_or_b64 exec, exec, s[8:9]
	s_cmp_lt_i32 s5, 1
	s_cbranch_scc1 .LBB56_23
; %bb.7:
	s_cmp_eq_u32 s14, 0
	s_cselect_b64 vcc, -1, 0
	s_ashr_i32 s4, s7, 31
	s_load_dwordx2 s[8:9], s[0:1], 0x20
	s_load_dwordx2 s[10:11], s[0:1], 0x50
	;; [unrolled: 1-line block ×4, first 2 shown]
	s_mul_hi_u32 s0, s7, s6
	s_mul_i32 s1, s4, s6
	s_add_i32 s28, s0, s1
	s_cmp_lg_u32 s7, 0
	s_cselect_b64 s[0:1], -1, 0
	s_and_b64 s[16:17], s[2:3], s[0:1]
	v_mbcnt_lo_u32_b32 v1, -1, 0
	s_cmp_gt_u32 s7, 1
	v_mbcnt_hi_u32_b32 v1, -1, v1
	s_cselect_b64 s[0:1], -1, 0
	s_abs_i32 s29, s7
	v_lshlrev_b32_e32 v16, 2, v1
	v_cvt_f32_u32_e32 v1, s29
	v_mov_b32_e32 v6, 0
	v_lshlrev_b32_e32 v8, 2, v10
	v_mul_lo_u32 v10, v10, s7
	v_rcp_iflag_f32_e32 v1, v1
	v_mov_b32_e32 v9, v6
	v_ashrrev_i32_e32 v11, 31, v10
	s_waitcnt lgkmcnt(0)
	v_lshl_add_u64 v[8:9], s[18:19], 0, v[8:9]
	v_mul_f32_e32 v1, 0x4f7ffffe, v1
	v_cvt_u32_f32_e32 v1, v1
	v_lshl_add_u64 v[10:11], v[10:11], 2, s[18:19]
	s_and_b64 s[18:19], s[2:3], s[0:1]
	s_sub_i32 s0, 0, s29
	v_lshlrev_b32_e32 v18, 3, v0
	v_mul_lo_u32 v0, s0, v1
	v_mul_hi_u32 v0, v1, v0
	s_mov_b32 s15, 0
	s_mov_b32 s14, s6
	s_mul_i32 s6, s7, s6
	v_or_b32_e32 v17, 0x7c, v16
	v_add_u32_e32 v19, v1, v0
	s_mov_b64 s[20:21], 0
	v_mov_b32_e32 v7, v6
	v_mov_b32_e32 v20, 1
	;; [unrolled: 1-line block ×3, first 2 shown]
	s_branch .LBB56_10
.LBB56_8:                               ;   in Loop: Header=BB56_10 Depth=1
	s_or_b64 exec, exec, s[0:1]
	v_mov_b32_e32 v0, 1
.LBB56_9:                               ;   in Loop: Header=BB56_10 Depth=1
	s_or_b64 exec, exec, s[2:3]
	v_mov_b32_dpp v1, v3 row_shr:1 row_mask:0xf bank_mask:0xf
	v_min_i32_e32 v1, v1, v3
	v_add_u32_e32 v4, v0, v4
	s_waitcnt lgkmcnt(0)
	v_mov_b32_dpp v3, v1 row_shr:2 row_mask:0xf bank_mask:0xf
	v_min_i32_e32 v1, v3, v1
	s_nop 1
	v_mov_b32_dpp v3, v1 row_shr:4 row_mask:0xf bank_mask:0xe
	v_min_i32_e32 v1, v3, v1
	s_nop 1
	;; [unrolled: 3-line block ×3, first 2 shown]
	v_mov_b32_dpp v3, v1 row_bcast:15 row_mask:0xa bank_mask:0xf
	v_min_i32_e32 v1, v3, v1
	ds_bpermute_b32 v5, v17, v1
	s_waitcnt lgkmcnt(0)
	v_cmp_le_i32_e64 s[0:1], s5, v5
	s_or_b64 s[20:21], s[0:1], s[20:21]
	s_andn2_b64 exec, exec, s[20:21]
	s_cbranch_execz .LBB56_23
.LBB56_10:                              ; =>This Loop Header: Depth=1
                                        ;     Child Loop BB56_13 Depth 2
	v_cmp_lt_i32_e64 s[0:1], v2, v15
	v_mov_b32_e32 v3, s5
	v_mov_b32_e32 v22, v15
	ds_write_b8 v14, v6 offset:2048
	ds_write_b64 v18, v[6:7]
	s_waitcnt lgkmcnt(0)
	s_and_saveexec_b64 s[22:23], s[0:1]
	s_cbranch_execz .LBB56_18
; %bb.11:                               ;   in Loop: Header=BB56_10 Depth=1
	v_ashrrev_i32_e32 v3, 31, v2
	v_lshlrev_b64 v[12:13], 2, v[2:3]
	v_mul_lo_u32 v21, v5, s7
	v_lshl_add_u64 v[0:1], s[12:13], 0, v[12:13]
	v_lshl_add_u64 v[12:13], s[8:9], 0, v[12:13]
	s_mov_b64 s[24:25], 0
	v_mov_b32_e32 v3, s5
	v_mov_b32_e32 v22, v15
	s_branch .LBB56_13
.LBB56_12:                              ;   in Loop: Header=BB56_13 Depth=2
	s_or_b64 exec, exec, s[2:3]
	v_add_u32_e32 v2, 1, v2
	v_cmp_ge_i32_e64 s[2:3], v2, v15
	s_xor_b64 s[0:1], s[0:1], -1
	s_or_b64 s[0:1], s[0:1], s[2:3]
	s_and_b64 s[0:1], exec, s[0:1]
	v_lshl_add_u64 v[0:1], v[0:1], 0, 4
	s_or_b64 s[24:25], s[0:1], s[24:25]
	v_lshl_add_u64 v[12:13], v[12:13], 0, 4
	s_andn2_b64 exec, exec, s[24:25]
	s_cbranch_execz .LBB56_17
.LBB56_13:                              ;   Parent Loop BB56_10 Depth=1
                                        ; =>  This Inner Loop Header: Depth=2
	global_load_dword v23, v[0:1], off
	s_waitcnt vmcnt(0)
	v_subrev_u32_e32 v23, s26, v23
	v_sub_u32_e32 v25, 0, v23
	v_max_i32_e32 v25, v23, v25
	v_mul_hi_u32 v26, v25, v19
	v_mul_lo_u32 v27, v26, s29
	v_sub_u32_e32 v25, v25, v27
	v_add_u32_e32 v28, 1, v26
	v_cmp_le_u32_e64 s[0:1], s29, v25
	v_subrev_u32_e32 v27, s29, v25
	v_ashrrev_i32_e32 v24, 31, v23
	v_cndmask_b32_e64 v26, v26, v28, s[0:1]
	v_cndmask_b32_e64 v25, v25, v27, s[0:1]
	v_add_u32_e32 v27, 1, v26
	v_cmp_le_u32_e64 s[0:1], s29, v25
	v_xor_b32_e32 v24, s4, v24
	s_nop 0
	v_cndmask_b32_e64 v25, v26, v27, s[0:1]
	v_xor_b32_e32 v25, v25, v24
	v_sub_u32_e32 v25, v25, v24
	v_cmp_eq_u32_e64 s[0:1], v25, v5
	v_cmp_ne_u32_e64 s[2:3], v25, v5
	v_mov_b32_e32 v24, v22
	s_and_saveexec_b64 s[30:31], s[2:3]
	s_xor_b64 s[2:3], exec, s[30:31]
; %bb.14:                               ;   in Loop: Header=BB56_13 Depth=2
	v_min_i32_e32 v3, v25, v3
                                        ; implicit-def: $vgpr23
                                        ; implicit-def: $vgpr24
; %bb.15:                               ;   in Loop: Header=BB56_13 Depth=2
	s_or_saveexec_b64 s[2:3], s[2:3]
	v_mov_b32_e32 v22, v2
	s_xor_b64 exec, exec, s[2:3]
	s_cbranch_execz .LBB56_12
; %bb.16:                               ;   in Loop: Header=BB56_13 Depth=2
	global_load_dword v22, v[12:13], off
	v_sub_u32_e32 v23, v23, v21
	v_lshl_add_u32 v23, v23, 2, v18
	ds_write_b8 v14, v20 offset:2048
	s_waitcnt vmcnt(0)
	ds_write_b32 v23, v22
	v_mov_b32_e32 v22, v24
	s_branch .LBB56_12
.LBB56_17:                              ;   in Loop: Header=BB56_10 Depth=1
	s_or_b64 exec, exec, s[24:25]
.LBB56_18:                              ;   in Loop: Header=BB56_10 Depth=1
	s_or_b64 exec, exec, s[22:23]
	s_waitcnt lgkmcnt(0)
	ds_read_u8 v0, v14 offset:2048
	ds_bpermute_b32 v2, v16, v22
	s_waitcnt lgkmcnt(1)
	v_and_b32_e32 v0, 1, v0
	v_cmp_eq_u32_e64 s[0:1], 1, v0
	v_mov_b32_e32 v0, 0
	s_and_saveexec_b64 s[2:3], s[0:1]
	s_cbranch_execz .LBB56_9
; %bb.19:                               ;   in Loop: Header=BB56_10 Depth=1
	v_add_u32_e32 v12, s27, v5
	v_ashrrev_i32_e32 v5, 31, v4
	v_lshl_add_u64 v[0:1], v[4:5], 2, s[10:11]
	global_store_dword v[0:1], v12, off
	v_mul_lo_u32 v12, s28, v4
	v_mul_lo_u32 v5, s6, v5
	v_mad_u64_u32 v[0:1], s[0:1], s6, v4, 0
	v_add3_u32 v1, v1, v5, v12
	v_lshlrev_b64 v[12:13], 2, v[0:1]
	v_lshl_add_u64 v[0:1], v[8:9], 0, v[12:13]
	v_lshl_add_u64 v[12:13], v[10:11], 0, v[12:13]
	s_and_saveexec_b64 s[0:1], s[16:17]
	s_cbranch_execz .LBB56_21
; %bb.20:                               ;   in Loop: Header=BB56_10 Depth=1
	ds_read_b32 v5, v18
	v_cndmask_b32_e32 v23, v1, v13, vcc
	v_cndmask_b32_e32 v22, v0, v12, vcc
	s_waitcnt lgkmcnt(0)
	global_store_dword v[22:23], v5, off
.LBB56_21:                              ;   in Loop: Header=BB56_10 Depth=1
	s_or_b64 exec, exec, s[0:1]
	s_and_saveexec_b64 s[0:1], s[18:19]
	s_cbranch_execz .LBB56_8
; %bb.22:                               ;   in Loop: Header=BB56_10 Depth=1
	ds_read_b32 v5, v18 offset:4
	v_lshl_add_u64 v[12:13], v[12:13], 0, 4
	v_lshl_add_u64 v[0:1], s[14:15], 2, v[0:1]
	v_cndmask_b32_e32 v1, v1, v13, vcc
	v_cndmask_b32_e32 v0, v0, v12, vcc
	s_waitcnt lgkmcnt(0)
	global_store_dword v[0:1], v5, off
	s_branch .LBB56_8
.LBB56_23:
	s_endpgm
	.section	.rodata,"a",@progbits
	.p2align	6, 0x0
	.amdhsa_kernel _ZN9rocsparseL44csr2gebsr_wavefront_per_row_multipass_kernelILi256ELi32ELi2ELi32EfEEv20rocsparse_direction_iiiiii21rocsparse_index_base_PKT3_PKiS7_S2_PS3_PiS9_
		.amdhsa_group_segment_fixed_size 2056
		.amdhsa_private_segment_fixed_size 0
		.amdhsa_kernarg_size 88
		.amdhsa_user_sgpr_count 2
		.amdhsa_user_sgpr_dispatch_ptr 0
		.amdhsa_user_sgpr_queue_ptr 0
		.amdhsa_user_sgpr_kernarg_segment_ptr 1
		.amdhsa_user_sgpr_dispatch_id 0
		.amdhsa_user_sgpr_kernarg_preload_length 0
		.amdhsa_user_sgpr_kernarg_preload_offset 0
		.amdhsa_user_sgpr_private_segment_size 0
		.amdhsa_uses_dynamic_stack 0
		.amdhsa_enable_private_segment 0
		.amdhsa_system_sgpr_workgroup_id_x 1
		.amdhsa_system_sgpr_workgroup_id_y 0
		.amdhsa_system_sgpr_workgroup_id_z 0
		.amdhsa_system_sgpr_workgroup_info 0
		.amdhsa_system_vgpr_workitem_id 0
		.amdhsa_next_free_vgpr 29
		.amdhsa_next_free_sgpr 32
		.amdhsa_accum_offset 32
		.amdhsa_reserve_vcc 1
		.amdhsa_float_round_mode_32 0
		.amdhsa_float_round_mode_16_64 0
		.amdhsa_float_denorm_mode_32 3
		.amdhsa_float_denorm_mode_16_64 3
		.amdhsa_dx10_clamp 1
		.amdhsa_ieee_mode 1
		.amdhsa_fp16_overflow 0
		.amdhsa_tg_split 0
		.amdhsa_exception_fp_ieee_invalid_op 0
		.amdhsa_exception_fp_denorm_src 0
		.amdhsa_exception_fp_ieee_div_zero 0
		.amdhsa_exception_fp_ieee_overflow 0
		.amdhsa_exception_fp_ieee_underflow 0
		.amdhsa_exception_fp_ieee_inexact 0
		.amdhsa_exception_int_div_zero 0
	.end_amdhsa_kernel
	.section	.text._ZN9rocsparseL44csr2gebsr_wavefront_per_row_multipass_kernelILi256ELi32ELi2ELi32EfEEv20rocsparse_direction_iiiiii21rocsparse_index_base_PKT3_PKiS7_S2_PS3_PiS9_,"axG",@progbits,_ZN9rocsparseL44csr2gebsr_wavefront_per_row_multipass_kernelILi256ELi32ELi2ELi32EfEEv20rocsparse_direction_iiiiii21rocsparse_index_base_PKT3_PKiS7_S2_PS3_PiS9_,comdat
.Lfunc_end56:
	.size	_ZN9rocsparseL44csr2gebsr_wavefront_per_row_multipass_kernelILi256ELi32ELi2ELi32EfEEv20rocsparse_direction_iiiiii21rocsparse_index_base_PKT3_PKiS7_S2_PS3_PiS9_, .Lfunc_end56-_ZN9rocsparseL44csr2gebsr_wavefront_per_row_multipass_kernelILi256ELi32ELi2ELi32EfEEv20rocsparse_direction_iiiiii21rocsparse_index_base_PKT3_PKiS7_S2_PS3_PiS9_
                                        ; -- End function
	.section	.AMDGPU.csdata,"",@progbits
; Kernel info:
; codeLenInByte = 1200
; NumSgprs: 38
; NumVgprs: 29
; NumAgprs: 0
; TotalNumVgprs: 29
; ScratchSize: 0
; MemoryBound: 0
; FloatMode: 240
; IeeeMode: 1
; LDSByteSize: 2056 bytes/workgroup (compile time only)
; SGPRBlocks: 4
; VGPRBlocks: 3
; NumSGPRsForWavesPerEU: 38
; NumVGPRsForWavesPerEU: 29
; AccumOffset: 32
; Occupancy: 8
; WaveLimiterHint : 0
; COMPUTE_PGM_RSRC2:SCRATCH_EN: 0
; COMPUTE_PGM_RSRC2:USER_SGPR: 2
; COMPUTE_PGM_RSRC2:TRAP_HANDLER: 0
; COMPUTE_PGM_RSRC2:TGID_X_EN: 1
; COMPUTE_PGM_RSRC2:TGID_Y_EN: 0
; COMPUTE_PGM_RSRC2:TGID_Z_EN: 0
; COMPUTE_PGM_RSRC2:TIDIG_COMP_CNT: 0
; COMPUTE_PGM_RSRC3_GFX90A:ACCUM_OFFSET: 7
; COMPUTE_PGM_RSRC3_GFX90A:TG_SPLIT: 0
	.section	.text._ZN9rocsparseL44csr2gebsr_wavefront_per_row_multipass_kernelILi256ELi32ELi4ELi64EfEEv20rocsparse_direction_iiiiii21rocsparse_index_base_PKT3_PKiS7_S2_PS3_PiS9_,"axG",@progbits,_ZN9rocsparseL44csr2gebsr_wavefront_per_row_multipass_kernelILi256ELi32ELi4ELi64EfEEv20rocsparse_direction_iiiiii21rocsparse_index_base_PKT3_PKiS7_S2_PS3_PiS9_,comdat
	.globl	_ZN9rocsparseL44csr2gebsr_wavefront_per_row_multipass_kernelILi256ELi32ELi4ELi64EfEEv20rocsparse_direction_iiiiii21rocsparse_index_base_PKT3_PKiS7_S2_PS3_PiS9_ ; -- Begin function _ZN9rocsparseL44csr2gebsr_wavefront_per_row_multipass_kernelILi256ELi32ELi4ELi64EfEEv20rocsparse_direction_iiiiii21rocsparse_index_base_PKT3_PKiS7_S2_PS3_PiS9_
	.p2align	8
	.type	_ZN9rocsparseL44csr2gebsr_wavefront_per_row_multipass_kernelILi256ELi32ELi4ELi64EfEEv20rocsparse_direction_iiiiii21rocsparse_index_base_PKT3_PKiS7_S2_PS3_PiS9_,@function
_ZN9rocsparseL44csr2gebsr_wavefront_per_row_multipass_kernelILi256ELi32ELi4ELi64EfEEv20rocsparse_direction_iiiiii21rocsparse_index_base_PKT3_PKiS7_S2_PS3_PiS9_: ; @_ZN9rocsparseL44csr2gebsr_wavefront_per_row_multipass_kernelILi256ELi32ELi4ELi64EfEEv20rocsparse_direction_iiiiii21rocsparse_index_base_PKT3_PKiS7_S2_PS3_PiS9_
; %bb.0:
	s_load_dwordx2 s[14:15], s[0:1], 0x0
	s_load_dwordx4 s[4:7], s[0:1], 0xc
	s_load_dword s24, s[0:1], 0x1c
	s_load_dwordx2 s[8:9], s[0:1], 0x28
	v_lshrrev_b32_e32 v18, 6, v0
	v_bfe_u32 v6, v0, 1, 5
	v_lshl_or_b32 v4, s2, 2, v18
	s_waitcnt lgkmcnt(0)
	v_mad_u64_u32 v[2:3], s[2:3], v4, s6, v[6:7]
	v_cmp_gt_i32_e64 s[2:3], s15, v2
	v_cmp_gt_i32_e32 vcc, s6, v6
	s_and_b64 s[2:3], vcc, s[2:3]
	v_mov_b32_e32 v19, 0
	v_mov_b32_e32 v12, 0
	s_and_saveexec_b64 s[10:11], s[2:3]
	s_cbranch_execz .LBB57_2
; %bb.1:
	v_ashrrev_i32_e32 v3, 31, v2
	v_lshl_add_u64 v[8:9], v[2:3], 2, s[8:9]
	global_load_dword v1, v[8:9], off
	s_waitcnt vmcnt(0)
	v_subrev_u32_e32 v12, s24, v1
.LBB57_2:
	s_or_b64 exec, exec, s[10:11]
	s_and_saveexec_b64 s[10:11], s[2:3]
	s_cbranch_execz .LBB57_4
; %bb.3:
	v_ashrrev_i32_e32 v3, 31, v2
	v_lshl_add_u64 v[2:3], v[2:3], 2, s[8:9]
	global_load_dword v1, v[2:3], off offset:4
	s_waitcnt vmcnt(0)
	v_subrev_u32_e32 v19, s24, v1
.LBB57_4:
	s_or_b64 exec, exec, s[10:11]
	s_load_dword s25, s[0:1], 0x38
	v_cmp_gt_i32_e64 s[2:3], s4, v4
	v_mov_b32_e32 v2, 0
	s_and_saveexec_b64 s[8:9], s[2:3]
	s_cbranch_execz .LBB57_6
; %bb.5:
	s_load_dwordx2 s[2:3], s[0:1], 0x48
	v_ashrrev_i32_e32 v5, 31, v4
	s_waitcnt lgkmcnt(0)
	v_lshl_add_u64 v[2:3], v[4:5], 2, s[2:3]
	global_load_dword v1, v[2:3], off
	s_waitcnt vmcnt(0)
	v_subrev_u32_e32 v2, s25, v1
.LBB57_6:
	s_or_b64 exec, exec, s[8:9]
	s_cmp_lt_i32 s5, 1
	s_cbranch_scc1 .LBB57_30
; %bb.7:
	v_mbcnt_lo_u32_b32 v1, -1, 0
	v_mbcnt_hi_u32_b32 v1, -1, v1
	s_cmp_lg_u32 s14, 0
	v_lshlrev_b32_e32 v3, 2, v1
	s_cselect_b64 s[14:15], -1, 0
	s_abs_i32 s28, s7
	v_or_b32_e32 v22, 4, v3
	v_or_b32_e32 v23, 0xfc, v3
	v_cvt_f32_u32_e32 v3, s28
	s_load_dwordx2 s[8:9], s[0:1], 0x20
	s_load_dwordx2 s[10:11], s[0:1], 0x50
	;; [unrolled: 1-line block ×4, first 2 shown]
	s_ashr_i32 s4, s7, 31
	v_and_b32_e32 v0, 1, v0
	v_rcp_iflag_f32_e32 v3, v3
	v_lshlrev_b32_e32 v4, 2, v6
	s_mul_hi_u32 s0, s7, s6
	s_mul_i32 s1, s4, s6
	v_mul_f32_e32 v3, 0x4f7ffffe, v3
	v_cvt_u32_f32_e32 v3, v3
	v_lshl_or_b32 v20, v18, 7, v4
	s_add_i32 s26, s0, s1
	v_mul_lo_u32 v6, v6, s7
	v_cmp_gt_u32_e64 s[0:1], s7, v0
	v_or_b32_e32 v10, v20, v0
	v_mov_b32_e32 v1, 0
	v_ashrrev_i32_e32 v7, 31, v6
	s_and_b64 s[16:17], s[0:1], vcc
	s_sub_i32 s0, 0, s28
	v_mov_b32_e32 v5, v1
	s_waitcnt lgkmcnt(0)
	v_lshl_add_u64 v[6:7], v[6:7], 2, s[2:3]
	v_lshlrev_b32_e32 v8, 2, v0
	v_mov_b32_e32 v9, v1
	v_lshlrev_b32_e32 v24, 2, v10
	v_or_b32_e32 v10, 2, v0
	v_mul_lo_u32 v13, s0, v3
	v_lshl_add_u64 v[4:5], s[2:3], 0, v[4:5]
	v_lshl_add_u64 v[6:7], v[6:7], 0, v[8:9]
	v_mul_lo_u32 v8, v0, s6
	v_cmp_gt_u32_e64 s[2:3], s7, v10
	v_mul_hi_u32 v13, v3, v13
	v_mov_b32_e32 v21, 0
	s_mul_i32 s27, s7, s6
	v_lshl_add_u32 v10, s6, 1, v8
	v_mov_b32_e32 v11, v1
	v_or_b32_e32 v25, 8, v24
	s_and_b64 s[2:3], vcc, s[2:3]
	v_add_u32_e32 v26, v3, v13
	s_mov_b64 s[18:19], 0
	v_mov_b32_e32 v27, 1
	v_mov_b32_e32 v3, 0
	s_branch .LBB57_11
.LBB57_8:                               ;   in Loop: Header=BB57_11 Depth=1
	v_mov_b32_e32 v13, s6
.LBB57_9:                               ;   in Loop: Header=BB57_11 Depth=1
	s_or_b64 exec, exec, s[20:21]
.LBB57_10:                              ;   in Loop: Header=BB57_11 Depth=1
	s_or_b64 exec, exec, s[0:1]
	v_mov_b32_dpp v3, v28 row_shr:1 row_mask:0xf bank_mask:0xf
	v_min_i32_e32 v3, v3, v28
	v_add_u32_e32 v2, v13, v2
	s_waitcnt lgkmcnt(0)
	v_mov_b32_dpp v14, v3 row_shr:2 row_mask:0xf bank_mask:0xf
	v_min_i32_e32 v3, v14, v3
	s_nop 1
	v_mov_b32_dpp v14, v3 row_shr:4 row_mask:0xf bank_mask:0xe
	v_min_i32_e32 v3, v14, v3
	s_nop 1
	;; [unrolled: 3-line block ×3, first 2 shown]
	v_mov_b32_dpp v14, v3 row_bcast:15 row_mask:0xa bank_mask:0xf
	v_min_i32_e32 v3, v14, v3
	s_nop 1
	v_mov_b32_dpp v14, v3 row_bcast:31 row_mask:0xc bank_mask:0xf
	v_min_i32_e32 v3, v14, v3
	ds_bpermute_b32 v3, v23, v3
	s_waitcnt lgkmcnt(0)
	v_cmp_le_i32_e32 vcc, s5, v3
	s_or_b64 s[18:19], vcc, s[18:19]
	s_andn2_b64 exec, exec, s[18:19]
	s_cbranch_execz .LBB57_30
.LBB57_11:                              ; =>This Loop Header: Depth=1
                                        ;     Child Loop BB57_14 Depth 2
	v_add_u32_e32 v16, v12, v0
	v_cmp_lt_i32_e32 vcc, v16, v19
	v_mov_b32_e32 v28, s5
	v_mov_b32_e32 v29, v19
	ds_write_b8 v18, v21 offset:2048
	ds_write_b32 v24, v1
	ds_write_b32 v25, v1
	s_waitcnt lgkmcnt(0)
	s_and_saveexec_b64 s[20:21], vcc
	s_cbranch_execz .LBB57_19
; %bb.12:                               ;   in Loop: Header=BB57_11 Depth=1
	v_ashrrev_i32_e32 v13, 31, v12
	v_lshl_add_u64 v[12:13], v[0:1], 0, v[12:13]
	v_lshlrev_b64 v[14:15], 2, v[12:13]
	v_mul_lo_u32 v17, v3, s7
	v_lshl_add_u64 v[12:13], s[12:13], 0, v[14:15]
	v_lshl_add_u64 v[14:15], s[8:9], 0, v[14:15]
	s_mov_b64 s[22:23], 0
	v_mov_b32_e32 v28, s5
	v_mov_b32_e32 v29, v19
	s_branch .LBB57_14
.LBB57_13:                              ;   in Loop: Header=BB57_14 Depth=2
	s_or_b64 exec, exec, s[0:1]
	v_add_u32_e32 v16, 2, v16
	v_cmp_ge_i32_e64 s[0:1], v16, v19
	s_xor_b64 s[30:31], vcc, -1
	s_or_b64 s[0:1], s[30:31], s[0:1]
	s_and_b64 s[0:1], exec, s[0:1]
	v_lshl_add_u64 v[12:13], v[12:13], 0, 8
	s_or_b64 s[22:23], s[0:1], s[22:23]
	v_lshl_add_u64 v[14:15], v[14:15], 0, 8
	s_andn2_b64 exec, exec, s[22:23]
	s_cbranch_execz .LBB57_18
.LBB57_14:                              ;   Parent Loop BB57_11 Depth=1
                                        ; =>  This Inner Loop Header: Depth=2
	global_load_dword v30, v[12:13], off
	s_waitcnt vmcnt(0)
	v_subrev_u32_e32 v30, s24, v30
	v_sub_u32_e32 v32, 0, v30
	v_max_i32_e32 v32, v30, v32
	v_mul_hi_u32 v33, v32, v26
	v_mul_lo_u32 v34, v33, s28
	v_sub_u32_e32 v32, v32, v34
	v_add_u32_e32 v35, 1, v33
	v_cmp_le_u32_e32 vcc, s28, v32
	v_subrev_u32_e32 v34, s28, v32
	v_ashrrev_i32_e32 v31, 31, v30
	v_cndmask_b32_e32 v33, v33, v35, vcc
	v_cndmask_b32_e32 v32, v32, v34, vcc
	v_add_u32_e32 v34, 1, v33
	v_cmp_le_u32_e32 vcc, s28, v32
	v_xor_b32_e32 v31, s4, v31
	s_nop 0
	v_cndmask_b32_e32 v32, v33, v34, vcc
	v_xor_b32_e32 v32, v32, v31
	v_sub_u32_e32 v32, v32, v31
	v_cmp_eq_u32_e32 vcc, v32, v3
	v_cmp_ne_u32_e64 s[0:1], v32, v3
	v_mov_b32_e32 v31, v29
	s_and_saveexec_b64 s[30:31], s[0:1]
	s_xor_b64 s[0:1], exec, s[30:31]
; %bb.15:                               ;   in Loop: Header=BB57_14 Depth=2
	v_min_i32_e32 v28, v32, v28
                                        ; implicit-def: $vgpr30
                                        ; implicit-def: $vgpr31
; %bb.16:                               ;   in Loop: Header=BB57_14 Depth=2
	s_or_saveexec_b64 s[0:1], s[0:1]
	v_mov_b32_e32 v29, v16
	s_xor_b64 exec, exec, s[0:1]
	s_cbranch_execz .LBB57_13
; %bb.17:                               ;   in Loop: Header=BB57_14 Depth=2
	global_load_dword v29, v[14:15], off
	v_sub_u32_e32 v30, v30, v17
	v_add_lshl_u32 v30, v20, v30, 2
	ds_write_b8 v18, v27 offset:2048
	s_waitcnt vmcnt(0)
	ds_write_b32 v30, v29
	v_mov_b32_e32 v29, v31
	s_branch .LBB57_13
.LBB57_18:                              ;   in Loop: Header=BB57_11 Depth=1
	s_or_b64 exec, exec, s[22:23]
.LBB57_19:                              ;   in Loop: Header=BB57_11 Depth=1
	s_or_b64 exec, exec, s[20:21]
	s_waitcnt lgkmcnt(0)
	ds_read_u8 v13, v18 offset:2048
	v_mov_b32_dpp v12, v29 row_shr:1 row_mask:0xf bank_mask:0xf
	v_min_i32_e32 v12, v12, v29
	ds_bpermute_b32 v12, v22, v12
	s_waitcnt lgkmcnt(1)
	v_and_b32_e32 v13, 1, v13
	v_cmp_eq_u32_e32 vcc, 1, v13
	v_mov_b32_e32 v13, 0
	s_and_saveexec_b64 s[0:1], vcc
	s_cbranch_execz .LBB57_10
; %bb.20:                               ;   in Loop: Header=BB57_11 Depth=1
	v_add_u32_e32 v13, s25, v3
	v_ashrrev_i32_e32 v3, 31, v2
	v_lshl_add_u64 v[14:15], v[2:3], 2, s[10:11]
	global_store_dword v[14:15], v13, off
	v_mul_lo_u32 v13, s26, v2
	v_mul_lo_u32 v3, s27, v3
	v_mad_u64_u32 v[14:15], s[20:21], s27, v2, 0
	v_add3_u32 v15, v15, v3, v13
	v_lshlrev_b64 v[14:15], 2, v[14:15]
	v_lshl_add_u64 v[16:17], v[4:5], 0, v[14:15]
	v_lshl_add_u64 v[14:15], v[6:7], 0, v[14:15]
	s_and_saveexec_b64 s[20:21], s[16:17]
	s_cbranch_execz .LBB57_24
; %bb.21:                               ;   in Loop: Header=BB57_11 Depth=1
	s_and_b64 vcc, exec, s[14:15]
	s_cbranch_vccz .LBB57_27
; %bb.22:                               ;   in Loop: Header=BB57_11 Depth=1
	ds_read_b32 v3, v24
	v_lshl_add_u64 v[30:31], v[8:9], 2, v[16:17]
	s_waitcnt lgkmcnt(0)
	global_store_dword v[30:31], v3, off
	s_cbranch_execnz .LBB57_24
.LBB57_23:                              ;   in Loop: Header=BB57_11 Depth=1
	ds_read_b32 v3, v24
	s_waitcnt lgkmcnt(0)
	global_store_dword v[14:15], v3, off
.LBB57_24:                              ;   in Loop: Header=BB57_11 Depth=1
	s_or_b64 exec, exec, s[20:21]
	v_mov_b32_e32 v13, 1
	s_and_saveexec_b64 s[20:21], s[2:3]
	s_cbranch_execz .LBB57_9
; %bb.25:                               ;   in Loop: Header=BB57_11 Depth=1
	s_andn2_b64 vcc, exec, s[14:15]
	s_cbranch_vccnz .LBB57_28
; %bb.26:                               ;   in Loop: Header=BB57_11 Depth=1
	ds_read_b32 v3, v24 offset:8
	v_lshl_add_u64 v[16:17], v[10:11], 2, v[16:17]
	s_mov_b32 s6, 1
	s_waitcnt lgkmcnt(0)
	global_store_dword v[16:17], v3, off
	s_cbranch_execnz .LBB57_8
	s_branch .LBB57_29
.LBB57_27:                              ;   in Loop: Header=BB57_11 Depth=1
	s_branch .LBB57_23
.LBB57_28:                              ;   in Loop: Header=BB57_11 Depth=1
                                        ; implicit-def: $sgpr6
.LBB57_29:                              ;   in Loop: Header=BB57_11 Depth=1
	ds_read_b32 v3, v24 offset:8
	s_mov_b32 s6, 1
	s_waitcnt lgkmcnt(0)
	global_store_dword v[14:15], v3, off offset:8
	s_branch .LBB57_8
.LBB57_30:
	s_endpgm
	.section	.rodata,"a",@progbits
	.p2align	6, 0x0
	.amdhsa_kernel _ZN9rocsparseL44csr2gebsr_wavefront_per_row_multipass_kernelILi256ELi32ELi4ELi64EfEEv20rocsparse_direction_iiiiii21rocsparse_index_base_PKT3_PKiS7_S2_PS3_PiS9_
		.amdhsa_group_segment_fixed_size 2052
		.amdhsa_private_segment_fixed_size 0
		.amdhsa_kernarg_size 88
		.amdhsa_user_sgpr_count 2
		.amdhsa_user_sgpr_dispatch_ptr 0
		.amdhsa_user_sgpr_queue_ptr 0
		.amdhsa_user_sgpr_kernarg_segment_ptr 1
		.amdhsa_user_sgpr_dispatch_id 0
		.amdhsa_user_sgpr_kernarg_preload_length 0
		.amdhsa_user_sgpr_kernarg_preload_offset 0
		.amdhsa_user_sgpr_private_segment_size 0
		.amdhsa_uses_dynamic_stack 0
		.amdhsa_enable_private_segment 0
		.amdhsa_system_sgpr_workgroup_id_x 1
		.amdhsa_system_sgpr_workgroup_id_y 0
		.amdhsa_system_sgpr_workgroup_id_z 0
		.amdhsa_system_sgpr_workgroup_info 0
		.amdhsa_system_vgpr_workitem_id 0
		.amdhsa_next_free_vgpr 36
		.amdhsa_next_free_sgpr 32
		.amdhsa_accum_offset 36
		.amdhsa_reserve_vcc 1
		.amdhsa_float_round_mode_32 0
		.amdhsa_float_round_mode_16_64 0
		.amdhsa_float_denorm_mode_32 3
		.amdhsa_float_denorm_mode_16_64 3
		.amdhsa_dx10_clamp 1
		.amdhsa_ieee_mode 1
		.amdhsa_fp16_overflow 0
		.amdhsa_tg_split 0
		.amdhsa_exception_fp_ieee_invalid_op 0
		.amdhsa_exception_fp_denorm_src 0
		.amdhsa_exception_fp_ieee_div_zero 0
		.amdhsa_exception_fp_ieee_overflow 0
		.amdhsa_exception_fp_ieee_underflow 0
		.amdhsa_exception_fp_ieee_inexact 0
		.amdhsa_exception_int_div_zero 0
	.end_amdhsa_kernel
	.section	.text._ZN9rocsparseL44csr2gebsr_wavefront_per_row_multipass_kernelILi256ELi32ELi4ELi64EfEEv20rocsparse_direction_iiiiii21rocsparse_index_base_PKT3_PKiS7_S2_PS3_PiS9_,"axG",@progbits,_ZN9rocsparseL44csr2gebsr_wavefront_per_row_multipass_kernelILi256ELi32ELi4ELi64EfEEv20rocsparse_direction_iiiiii21rocsparse_index_base_PKT3_PKiS7_S2_PS3_PiS9_,comdat
.Lfunc_end57:
	.size	_ZN9rocsparseL44csr2gebsr_wavefront_per_row_multipass_kernelILi256ELi32ELi4ELi64EfEEv20rocsparse_direction_iiiiii21rocsparse_index_base_PKT3_PKiS7_S2_PS3_PiS9_, .Lfunc_end57-_ZN9rocsparseL44csr2gebsr_wavefront_per_row_multipass_kernelILi256ELi32ELi4ELi64EfEEv20rocsparse_direction_iiiiii21rocsparse_index_base_PKT3_PKiS7_S2_PS3_PiS9_
                                        ; -- End function
	.section	.AMDGPU.csdata,"",@progbits
; Kernel info:
; codeLenInByte = 1344
; NumSgprs: 38
; NumVgprs: 36
; NumAgprs: 0
; TotalNumVgprs: 36
; ScratchSize: 0
; MemoryBound: 0
; FloatMode: 240
; IeeeMode: 1
; LDSByteSize: 2052 bytes/workgroup (compile time only)
; SGPRBlocks: 4
; VGPRBlocks: 4
; NumSGPRsForWavesPerEU: 38
; NumVGPRsForWavesPerEU: 36
; AccumOffset: 36
; Occupancy: 8
; WaveLimiterHint : 0
; COMPUTE_PGM_RSRC2:SCRATCH_EN: 0
; COMPUTE_PGM_RSRC2:USER_SGPR: 2
; COMPUTE_PGM_RSRC2:TRAP_HANDLER: 0
; COMPUTE_PGM_RSRC2:TGID_X_EN: 1
; COMPUTE_PGM_RSRC2:TGID_Y_EN: 0
; COMPUTE_PGM_RSRC2:TGID_Z_EN: 0
; COMPUTE_PGM_RSRC2:TIDIG_COMP_CNT: 0
; COMPUTE_PGM_RSRC3_GFX90A:ACCUM_OFFSET: 8
; COMPUTE_PGM_RSRC3_GFX90A:TG_SPLIT: 0
	.section	.text._ZN9rocsparseL44csr2gebsr_wavefront_per_row_multipass_kernelILi256ELi32ELi4ELi32EfEEv20rocsparse_direction_iiiiii21rocsparse_index_base_PKT3_PKiS7_S2_PS3_PiS9_,"axG",@progbits,_ZN9rocsparseL44csr2gebsr_wavefront_per_row_multipass_kernelILi256ELi32ELi4ELi32EfEEv20rocsparse_direction_iiiiii21rocsparse_index_base_PKT3_PKiS7_S2_PS3_PiS9_,comdat
	.globl	_ZN9rocsparseL44csr2gebsr_wavefront_per_row_multipass_kernelILi256ELi32ELi4ELi32EfEEv20rocsparse_direction_iiiiii21rocsparse_index_base_PKT3_PKiS7_S2_PS3_PiS9_ ; -- Begin function _ZN9rocsparseL44csr2gebsr_wavefront_per_row_multipass_kernelILi256ELi32ELi4ELi32EfEEv20rocsparse_direction_iiiiii21rocsparse_index_base_PKT3_PKiS7_S2_PS3_PiS9_
	.p2align	8
	.type	_ZN9rocsparseL44csr2gebsr_wavefront_per_row_multipass_kernelILi256ELi32ELi4ELi32EfEEv20rocsparse_direction_iiiiii21rocsparse_index_base_PKT3_PKiS7_S2_PS3_PiS9_,@function
_ZN9rocsparseL44csr2gebsr_wavefront_per_row_multipass_kernelILi256ELi32ELi4ELi32EfEEv20rocsparse_direction_iiiiii21rocsparse_index_base_PKT3_PKiS7_S2_PS3_PiS9_: ; @_ZN9rocsparseL44csr2gebsr_wavefront_per_row_multipass_kernelILi256ELi32ELi4ELi32EfEEv20rocsparse_direction_iiiiii21rocsparse_index_base_PKT3_PKiS7_S2_PS3_PiS9_
; %bb.0:
	s_load_dwordx2 s[14:15], s[0:1], 0x0
	s_load_dwordx4 s[4:7], s[0:1], 0xc
	s_load_dword s33, s[0:1], 0x1c
	s_load_dwordx2 s[8:9], s[0:1], 0x28
	v_lshrrev_b32_e32 v16, 5, v0
	v_and_b32_e32 v4, 31, v0
	v_lshl_or_b32 v2, s2, 3, v16
	s_waitcnt lgkmcnt(0)
	v_mad_u64_u32 v[8:9], s[2:3], v2, s6, v[4:5]
	v_cmp_gt_i32_e32 vcc, s15, v8
	v_cmp_gt_i32_e64 s[2:3], s6, v4
	s_and_b64 s[10:11], s[2:3], vcc
	v_mov_b32_e32 v17, 0
	v_mov_b32_e32 v6, 0
	s_and_saveexec_b64 s[12:13], s[10:11]
	s_cbranch_execz .LBB58_2
; %bb.1:
	v_ashrrev_i32_e32 v9, 31, v8
	v_lshl_add_u64 v[6:7], v[8:9], 2, s[8:9]
	global_load_dword v1, v[6:7], off
	s_waitcnt vmcnt(0)
	v_subrev_u32_e32 v6, s33, v1
.LBB58_2:
	s_or_b64 exec, exec, s[12:13]
	s_and_saveexec_b64 s[12:13], s[10:11]
	s_cbranch_execz .LBB58_4
; %bb.3:
	v_ashrrev_i32_e32 v9, 31, v8
	v_lshl_add_u64 v[8:9], v[8:9], 2, s[8:9]
	global_load_dword v1, v[8:9], off offset:4
	s_waitcnt vmcnt(0)
	v_subrev_u32_e32 v17, s33, v1
.LBB58_4:
	s_or_b64 exec, exec, s[12:13]
	s_load_dword s36, s[0:1], 0x38
	v_cmp_gt_i32_e32 vcc, s4, v2
	v_mov_b32_e32 v8, 0
	s_and_saveexec_b64 s[8:9], vcc
	s_cbranch_execz .LBB58_6
; %bb.5:
	s_load_dwordx2 s[10:11], s[0:1], 0x48
	v_ashrrev_i32_e32 v3, 31, v2
	s_waitcnt lgkmcnt(0)
	v_lshl_add_u64 v[2:3], v[2:3], 2, s[10:11]
	global_load_dword v1, v[2:3], off
	s_waitcnt vmcnt(0)
	v_subrev_u32_e32 v8, s36, v1
.LBB58_6:
	s_or_b64 exec, exec, s[8:9]
	s_cmp_lt_i32 s5, 1
	s_cbranch_scc1 .LBB58_27
; %bb.7:
	s_cmp_eq_u32 s14, 0
	s_cselect_b64 vcc, -1, 0
	s_ashr_i32 s4, s7, 31
	s_load_dwordx2 s[8:9], s[0:1], 0x20
	s_load_dwordx2 s[10:11], s[0:1], 0x50
	s_load_dwordx2 s[24:25], s[0:1], 0x40
	s_load_dwordx2 s[12:13], s[0:1], 0x30
	s_mul_hi_u32 s0, s7, s6
	s_mul_i32 s1, s4, s6
	s_add_i32 s37, s0, s1
	s_cmp_lg_u32 s7, 0
	s_cselect_b64 s[0:1], -1, 0
	s_and_b64 s[16:17], s[2:3], s[0:1]
	s_cmp_gt_u32 s7, 1
	s_cselect_b64 s[0:1], -1, 0
	s_and_b64 s[18:19], s[2:3], s[0:1]
	s_cmp_gt_u32 s7, 2
	s_cselect_b64 s[0:1], -1, 0
	s_and_b64 s[20:21], s[2:3], s[0:1]
	s_lshl_b32 s22, s6, 1
	v_mbcnt_lo_u32_b32 v1, -1, 0
	s_cmp_gt_u32 s7, 3
	v_mbcnt_hi_u32_b32 v1, -1, v1
	s_cselect_b64 s[0:1], -1, 0
	s_abs_i32 s39, s7
	v_lshlrev_b32_e32 v18, 2, v1
	v_cvt_f32_u32_e32 v1, s39
	v_lshlrev_b32_e32 v20, 4, v0
	v_mov_b32_e32 v2, 0
	v_lshlrev_b32_e32 v10, 2, v4
	v_rcp_iflag_f32_e32 v1, v1
	v_mul_lo_u32 v4, v4, s7
	v_mov_b32_e32 v11, v2
	v_ashrrev_i32_e32 v5, 31, v4
	v_mul_f32_e32 v0, 0x4f7ffffe, v1
	v_cvt_u32_f32_e32 v0, v0
	s_waitcnt lgkmcnt(0)
	v_lshl_add_u64 v[10:11], s[24:25], 0, v[10:11]
	v_lshl_add_u64 v[12:13], v[4:5], 2, s[24:25]
	s_and_b64 s[24:25], s[2:3], s[0:1]
	s_sub_i32 s0, 0, s39
	v_mul_lo_u32 v1, s0, v0
	s_mov_b32 s15, 0
	v_mul_hi_u32 v1, v0, v1
	s_mov_b32 s14, s6
	s_mul_i32 s38, s7, s6
	v_or_b32_e32 v19, 0x7c, v18
	s_mov_b32 s23, s15
	s_mul_i32 s26, s6, 3
	s_mov_b32 s27, s15
	v_add_u32_e32 v21, v0, v1
	s_mov_b64 s[28:29], 0
	v_mov_b32_e32 v3, v2
	v_mov_b32_e32 v4, v2
	;; [unrolled: 1-line block ×5, first 2 shown]
	s_branch .LBB58_10
.LBB58_8:                               ;   in Loop: Header=BB58_10 Depth=1
	s_or_b64 exec, exec, s[0:1]
	v_mov_b32_e32 v0, 1
.LBB58_9:                               ;   in Loop: Header=BB58_10 Depth=1
	s_or_b64 exec, exec, s[2:3]
	v_mov_b32_dpp v1, v7 row_shr:1 row_mask:0xf bank_mask:0xf
	v_min_i32_e32 v1, v1, v7
	v_add_u32_e32 v8, v0, v8
	s_waitcnt lgkmcnt(0)
	v_mov_b32_dpp v7, v1 row_shr:2 row_mask:0xf bank_mask:0xf
	v_min_i32_e32 v1, v7, v1
	s_nop 1
	v_mov_b32_dpp v7, v1 row_shr:4 row_mask:0xf bank_mask:0xe
	v_min_i32_e32 v1, v7, v1
	s_nop 1
	;; [unrolled: 3-line block ×3, first 2 shown]
	v_mov_b32_dpp v7, v1 row_bcast:15 row_mask:0xa bank_mask:0xf
	v_min_i32_e32 v1, v7, v1
	ds_bpermute_b32 v9, v19, v1
	s_waitcnt lgkmcnt(0)
	v_cmp_le_i32_e64 s[0:1], s5, v9
	s_or_b64 s[28:29], s[0:1], s[28:29]
	s_andn2_b64 exec, exec, s[28:29]
	s_cbranch_execz .LBB58_27
.LBB58_10:                              ; =>This Loop Header: Depth=1
                                        ;     Child Loop BB58_13 Depth 2
	v_cmp_lt_i32_e64 s[0:1], v6, v17
	v_mov_b32_e32 v7, s5
	v_mov_b32_e32 v24, v17
	ds_write_b8 v16, v2 offset:4096
	ds_write_b128 v20, v[2:5]
	s_waitcnt lgkmcnt(0)
	s_and_saveexec_b64 s[30:31], s[0:1]
	s_cbranch_execz .LBB58_18
; %bb.11:                               ;   in Loop: Header=BB58_10 Depth=1
	v_ashrrev_i32_e32 v7, 31, v6
	v_lshlrev_b64 v[14:15], 2, v[6:7]
	v_mul_lo_u32 v23, v9, s7
	v_lshl_add_u64 v[0:1], s[12:13], 0, v[14:15]
	v_lshl_add_u64 v[14:15], s[8:9], 0, v[14:15]
	s_mov_b64 s[34:35], 0
	v_mov_b32_e32 v7, s5
	v_mov_b32_e32 v24, v17
	s_branch .LBB58_13
.LBB58_12:                              ;   in Loop: Header=BB58_13 Depth=2
	s_or_b64 exec, exec, s[2:3]
	v_add_u32_e32 v6, 1, v6
	v_cmp_ge_i32_e64 s[2:3], v6, v17
	s_xor_b64 s[0:1], s[0:1], -1
	s_or_b64 s[0:1], s[0:1], s[2:3]
	s_and_b64 s[0:1], exec, s[0:1]
	v_lshl_add_u64 v[0:1], v[0:1], 0, 4
	s_or_b64 s[34:35], s[0:1], s[34:35]
	v_lshl_add_u64 v[14:15], v[14:15], 0, 4
	s_andn2_b64 exec, exec, s[34:35]
	s_cbranch_execz .LBB58_17
.LBB58_13:                              ;   Parent Loop BB58_10 Depth=1
                                        ; =>  This Inner Loop Header: Depth=2
	global_load_dword v25, v[0:1], off
	s_waitcnt vmcnt(0)
	v_subrev_u32_e32 v25, s33, v25
	v_sub_u32_e32 v27, 0, v25
	v_max_i32_e32 v27, v25, v27
	v_mul_hi_u32 v28, v27, v21
	v_mul_lo_u32 v29, v28, s39
	v_sub_u32_e32 v27, v27, v29
	v_add_u32_e32 v30, 1, v28
	v_cmp_le_u32_e64 s[0:1], s39, v27
	v_subrev_u32_e32 v29, s39, v27
	v_ashrrev_i32_e32 v26, 31, v25
	v_cndmask_b32_e64 v28, v28, v30, s[0:1]
	v_cndmask_b32_e64 v27, v27, v29, s[0:1]
	v_add_u32_e32 v29, 1, v28
	v_cmp_le_u32_e64 s[0:1], s39, v27
	v_xor_b32_e32 v26, s4, v26
	s_nop 0
	v_cndmask_b32_e64 v27, v28, v29, s[0:1]
	v_xor_b32_e32 v27, v27, v26
	v_sub_u32_e32 v27, v27, v26
	v_cmp_eq_u32_e64 s[0:1], v27, v9
	v_cmp_ne_u32_e64 s[2:3], v27, v9
	v_mov_b32_e32 v26, v24
	s_and_saveexec_b64 s[40:41], s[2:3]
	s_xor_b64 s[2:3], exec, s[40:41]
; %bb.14:                               ;   in Loop: Header=BB58_13 Depth=2
	v_min_i32_e32 v7, v27, v7
                                        ; implicit-def: $vgpr25
                                        ; implicit-def: $vgpr26
; %bb.15:                               ;   in Loop: Header=BB58_13 Depth=2
	s_or_saveexec_b64 s[2:3], s[2:3]
	v_mov_b32_e32 v24, v6
	s_xor_b64 exec, exec, s[2:3]
	s_cbranch_execz .LBB58_12
; %bb.16:                               ;   in Loop: Header=BB58_13 Depth=2
	global_load_dword v24, v[14:15], off
	v_sub_u32_e32 v25, v25, v23
	v_lshl_add_u32 v25, v25, 2, v20
	ds_write_b8 v16, v22 offset:4096
	s_waitcnt vmcnt(0)
	ds_write_b32 v25, v24
	v_mov_b32_e32 v24, v26
	s_branch .LBB58_12
.LBB58_17:                              ;   in Loop: Header=BB58_10 Depth=1
	s_or_b64 exec, exec, s[34:35]
.LBB58_18:                              ;   in Loop: Header=BB58_10 Depth=1
	s_or_b64 exec, exec, s[30:31]
	s_waitcnt lgkmcnt(0)
	ds_read_u8 v0, v16 offset:4096
	ds_bpermute_b32 v6, v18, v24
	s_waitcnt lgkmcnt(1)
	v_and_b32_e32 v0, 1, v0
	v_cmp_eq_u32_e64 s[0:1], 1, v0
	v_mov_b32_e32 v0, 0
	s_and_saveexec_b64 s[2:3], s[0:1]
	s_cbranch_execz .LBB58_9
; %bb.19:                               ;   in Loop: Header=BB58_10 Depth=1
	v_add_u32_e32 v14, s36, v9
	v_ashrrev_i32_e32 v9, 31, v8
	v_lshl_add_u64 v[0:1], v[8:9], 2, s[10:11]
	global_store_dword v[0:1], v14, off
	v_mul_lo_u32 v14, s37, v8
	v_mul_lo_u32 v9, s38, v9
	v_mad_u64_u32 v[0:1], s[0:1], s38, v8, 0
	v_add3_u32 v1, v1, v9, v14
	v_lshlrev_b64 v[14:15], 2, v[0:1]
	v_lshl_add_u64 v[0:1], v[10:11], 0, v[14:15]
	v_lshl_add_u64 v[14:15], v[12:13], 0, v[14:15]
	s_and_saveexec_b64 s[0:1], s[16:17]
	s_cbranch_execnz .LBB58_23
; %bb.20:                               ;   in Loop: Header=BB58_10 Depth=1
	s_or_b64 exec, exec, s[0:1]
	s_and_saveexec_b64 s[0:1], s[18:19]
	s_cbranch_execnz .LBB58_24
.LBB58_21:                              ;   in Loop: Header=BB58_10 Depth=1
	s_or_b64 exec, exec, s[0:1]
	s_and_saveexec_b64 s[0:1], s[20:21]
	s_cbranch_execnz .LBB58_25
.LBB58_22:                              ;   in Loop: Header=BB58_10 Depth=1
	s_or_b64 exec, exec, s[0:1]
	s_and_saveexec_b64 s[0:1], s[24:25]
	s_cbranch_execz .LBB58_8
	s_branch .LBB58_26
.LBB58_23:                              ;   in Loop: Header=BB58_10 Depth=1
	ds_read_b32 v9, v20
	v_cndmask_b32_e32 v25, v1, v15, vcc
	v_cndmask_b32_e32 v24, v0, v14, vcc
	s_waitcnt lgkmcnt(0)
	global_store_dword v[24:25], v9, off
	s_or_b64 exec, exec, s[0:1]
	s_and_saveexec_b64 s[0:1], s[18:19]
	s_cbranch_execz .LBB58_21
.LBB58_24:                              ;   in Loop: Header=BB58_10 Depth=1
	ds_read_b32 v9, v20 offset:4
	v_lshl_add_u64 v[24:25], v[14:15], 0, 4
	v_lshl_add_u64 v[26:27], s[14:15], 2, v[0:1]
	v_cndmask_b32_e32 v25, v27, v25, vcc
	v_cndmask_b32_e32 v24, v26, v24, vcc
	s_waitcnt lgkmcnt(0)
	global_store_dword v[24:25], v9, off
	s_or_b64 exec, exec, s[0:1]
	s_and_saveexec_b64 s[0:1], s[20:21]
	s_cbranch_execz .LBB58_22
.LBB58_25:                              ;   in Loop: Header=BB58_10 Depth=1
	ds_read_b32 v9, v20 offset:8
	v_lshl_add_u64 v[24:25], v[14:15], 0, 8
	v_lshl_add_u64 v[26:27], s[22:23], 2, v[0:1]
	v_cndmask_b32_e32 v25, v27, v25, vcc
	v_cndmask_b32_e32 v24, v26, v24, vcc
	s_waitcnt lgkmcnt(0)
	global_store_dword v[24:25], v9, off
	s_or_b64 exec, exec, s[0:1]
	s_and_saveexec_b64 s[0:1], s[24:25]
	s_cbranch_execz .LBB58_8
.LBB58_26:                              ;   in Loop: Header=BB58_10 Depth=1
	ds_read_b32 v9, v20 offset:12
	v_lshl_add_u64 v[14:15], v[14:15], 0, 12
	v_lshl_add_u64 v[0:1], s[26:27], 2, v[0:1]
	v_cndmask_b32_e32 v1, v1, v15, vcc
	v_cndmask_b32_e32 v0, v0, v14, vcc
	s_waitcnt lgkmcnt(0)
	global_store_dword v[0:1], v9, off
	s_branch .LBB58_8
.LBB58_27:
	s_endpgm
	.section	.rodata,"a",@progbits
	.p2align	6, 0x0
	.amdhsa_kernel _ZN9rocsparseL44csr2gebsr_wavefront_per_row_multipass_kernelILi256ELi32ELi4ELi32EfEEv20rocsparse_direction_iiiiii21rocsparse_index_base_PKT3_PKiS7_S2_PS3_PiS9_
		.amdhsa_group_segment_fixed_size 4104
		.amdhsa_private_segment_fixed_size 0
		.amdhsa_kernarg_size 88
		.amdhsa_user_sgpr_count 2
		.amdhsa_user_sgpr_dispatch_ptr 0
		.amdhsa_user_sgpr_queue_ptr 0
		.amdhsa_user_sgpr_kernarg_segment_ptr 1
		.amdhsa_user_sgpr_dispatch_id 0
		.amdhsa_user_sgpr_kernarg_preload_length 0
		.amdhsa_user_sgpr_kernarg_preload_offset 0
		.amdhsa_user_sgpr_private_segment_size 0
		.amdhsa_uses_dynamic_stack 0
		.amdhsa_enable_private_segment 0
		.amdhsa_system_sgpr_workgroup_id_x 1
		.amdhsa_system_sgpr_workgroup_id_y 0
		.amdhsa_system_sgpr_workgroup_id_z 0
		.amdhsa_system_sgpr_workgroup_info 0
		.amdhsa_system_vgpr_workitem_id 0
		.amdhsa_next_free_vgpr 31
		.amdhsa_next_free_sgpr 42
		.amdhsa_accum_offset 32
		.amdhsa_reserve_vcc 1
		.amdhsa_float_round_mode_32 0
		.amdhsa_float_round_mode_16_64 0
		.amdhsa_float_denorm_mode_32 3
		.amdhsa_float_denorm_mode_16_64 3
		.amdhsa_dx10_clamp 1
		.amdhsa_ieee_mode 1
		.amdhsa_fp16_overflow 0
		.amdhsa_tg_split 0
		.amdhsa_exception_fp_ieee_invalid_op 0
		.amdhsa_exception_fp_denorm_src 0
		.amdhsa_exception_fp_ieee_div_zero 0
		.amdhsa_exception_fp_ieee_overflow 0
		.amdhsa_exception_fp_ieee_underflow 0
		.amdhsa_exception_fp_ieee_inexact 0
		.amdhsa_exception_int_div_zero 0
	.end_amdhsa_kernel
	.section	.text._ZN9rocsparseL44csr2gebsr_wavefront_per_row_multipass_kernelILi256ELi32ELi4ELi32EfEEv20rocsparse_direction_iiiiii21rocsparse_index_base_PKT3_PKiS7_S2_PS3_PiS9_,"axG",@progbits,_ZN9rocsparseL44csr2gebsr_wavefront_per_row_multipass_kernelILi256ELi32ELi4ELi32EfEEv20rocsparse_direction_iiiiii21rocsparse_index_base_PKT3_PKiS7_S2_PS3_PiS9_,comdat
.Lfunc_end58:
	.size	_ZN9rocsparseL44csr2gebsr_wavefront_per_row_multipass_kernelILi256ELi32ELi4ELi32EfEEv20rocsparse_direction_iiiiii21rocsparse_index_base_PKT3_PKiS7_S2_PS3_PiS9_, .Lfunc_end58-_ZN9rocsparseL44csr2gebsr_wavefront_per_row_multipass_kernelILi256ELi32ELi4ELi32EfEEv20rocsparse_direction_iiiiii21rocsparse_index_base_PKT3_PKiS7_S2_PS3_PiS9_
                                        ; -- End function
	.section	.AMDGPU.csdata,"",@progbits
; Kernel info:
; codeLenInByte = 1400
; NumSgprs: 48
; NumVgprs: 31
; NumAgprs: 0
; TotalNumVgprs: 31
; ScratchSize: 0
; MemoryBound: 0
; FloatMode: 240
; IeeeMode: 1
; LDSByteSize: 4104 bytes/workgroup (compile time only)
; SGPRBlocks: 5
; VGPRBlocks: 3
; NumSGPRsForWavesPerEU: 48
; NumVGPRsForWavesPerEU: 31
; AccumOffset: 32
; Occupancy: 8
; WaveLimiterHint : 0
; COMPUTE_PGM_RSRC2:SCRATCH_EN: 0
; COMPUTE_PGM_RSRC2:USER_SGPR: 2
; COMPUTE_PGM_RSRC2:TRAP_HANDLER: 0
; COMPUTE_PGM_RSRC2:TGID_X_EN: 1
; COMPUTE_PGM_RSRC2:TGID_Y_EN: 0
; COMPUTE_PGM_RSRC2:TGID_Z_EN: 0
; COMPUTE_PGM_RSRC2:TIDIG_COMP_CNT: 0
; COMPUTE_PGM_RSRC3_GFX90A:ACCUM_OFFSET: 7
; COMPUTE_PGM_RSRC3_GFX90A:TG_SPLIT: 0
	.section	.text._ZN9rocsparseL44csr2gebsr_wavefront_per_row_multipass_kernelILi256ELi32ELi8ELi64EfEEv20rocsparse_direction_iiiiii21rocsparse_index_base_PKT3_PKiS7_S2_PS3_PiS9_,"axG",@progbits,_ZN9rocsparseL44csr2gebsr_wavefront_per_row_multipass_kernelILi256ELi32ELi8ELi64EfEEv20rocsparse_direction_iiiiii21rocsparse_index_base_PKT3_PKiS7_S2_PS3_PiS9_,comdat
	.globl	_ZN9rocsparseL44csr2gebsr_wavefront_per_row_multipass_kernelILi256ELi32ELi8ELi64EfEEv20rocsparse_direction_iiiiii21rocsparse_index_base_PKT3_PKiS7_S2_PS3_PiS9_ ; -- Begin function _ZN9rocsparseL44csr2gebsr_wavefront_per_row_multipass_kernelILi256ELi32ELi8ELi64EfEEv20rocsparse_direction_iiiiii21rocsparse_index_base_PKT3_PKiS7_S2_PS3_PiS9_
	.p2align	8
	.type	_ZN9rocsparseL44csr2gebsr_wavefront_per_row_multipass_kernelILi256ELi32ELi8ELi64EfEEv20rocsparse_direction_iiiiii21rocsparse_index_base_PKT3_PKiS7_S2_PS3_PiS9_,@function
_ZN9rocsparseL44csr2gebsr_wavefront_per_row_multipass_kernelILi256ELi32ELi8ELi64EfEEv20rocsparse_direction_iiiiii21rocsparse_index_base_PKT3_PKiS7_S2_PS3_PiS9_: ; @_ZN9rocsparseL44csr2gebsr_wavefront_per_row_multipass_kernelILi256ELi32ELi8ELi64EfEEv20rocsparse_direction_iiiiii21rocsparse_index_base_PKT3_PKiS7_S2_PS3_PiS9_
; %bb.0:
	s_load_dwordx2 s[4:5], s[0:1], 0x0
	s_load_dwordx4 s[8:11], s[0:1], 0xc
	s_load_dword s30, s[0:1], 0x1c
	s_load_dwordx2 s[6:7], s[0:1], 0x28
	v_lshrrev_b32_e32 v22, 6, v0
	v_bfe_u32 v6, v0, 1, 5
	v_lshl_or_b32 v4, s2, 2, v22
	s_waitcnt lgkmcnt(0)
	v_mad_u64_u32 v[2:3], s[2:3], v4, s10, v[6:7]
	v_cmp_gt_i32_e64 s[2:3], s5, v2
	v_cmp_gt_i32_e32 vcc, s10, v6
	s_and_b64 s[2:3], vcc, s[2:3]
	v_mov_b32_e32 v23, 0
	v_mov_b32_e32 v16, 0
	s_and_saveexec_b64 s[12:13], s[2:3]
	s_cbranch_execz .LBB59_2
; %bb.1:
	v_ashrrev_i32_e32 v3, 31, v2
	v_lshl_add_u64 v[8:9], v[2:3], 2, s[6:7]
	global_load_dword v1, v[8:9], off
	s_waitcnt vmcnt(0)
	v_subrev_u32_e32 v16, s30, v1
.LBB59_2:
	s_or_b64 exec, exec, s[12:13]
	s_and_saveexec_b64 s[12:13], s[2:3]
	s_cbranch_execz .LBB59_4
; %bb.3:
	v_ashrrev_i32_e32 v3, 31, v2
	v_lshl_add_u64 v[2:3], v[2:3], 2, s[6:7]
	global_load_dword v1, v[2:3], off offset:4
	s_waitcnt vmcnt(0)
	v_subrev_u32_e32 v23, s30, v1
.LBB59_4:
	s_or_b64 exec, exec, s[12:13]
	s_load_dword s31, s[0:1], 0x38
	v_cmp_gt_i32_e64 s[2:3], s8, v4
	v_mov_b32_e32 v2, 0
	s_and_saveexec_b64 s[6:7], s[2:3]
	s_cbranch_execz .LBB59_6
; %bb.5:
	s_load_dwordx2 s[2:3], s[0:1], 0x48
	v_ashrrev_i32_e32 v5, 31, v4
	s_waitcnt lgkmcnt(0)
	v_lshl_add_u64 v[2:3], v[4:5], 2, s[2:3]
	global_load_dword v1, v[2:3], off
	s_waitcnt vmcnt(0)
	v_subrev_u32_e32 v2, s31, v1
.LBB59_6:
	s_or_b64 exec, exec, s[6:7]
	s_cmp_lt_i32 s9, 1
	s_cbranch_scc1 .LBB59_40
; %bb.7:
	s_load_dwordx2 s[12:13], s[0:1], 0x20
	s_load_dwordx2 s[14:15], s[0:1], 0x50
	;; [unrolled: 1-line block ×4, first 2 shown]
	v_lshlrev_b32_e32 v1, 8, v22
	v_lshl_or_b32 v24, v6, 3, v1
	v_mbcnt_lo_u32_b32 v1, -1, 0
	v_mbcnt_hi_u32_b32 v1, -1, v1
	v_lshlrev_b32_e32 v4, 2, v6
	v_mul_lo_u32 v6, v6, s11
	v_and_b32_e32 v0, 1, v0
	v_lshlrev_b32_e32 v3, 2, v1
	s_cmp_lg_u32 s4, 0
	v_mov_b32_e32 v1, 0
	v_ashrrev_i32_e32 v7, 31, v6
	s_cselect_b64 s[18:19], -1, 0
	s_ashr_i32 s8, s11, 31
	s_waitcnt lgkmcnt(0)
	v_lshl_add_u64 v[6:7], v[6:7], 2, s[2:3]
	v_lshlrev_b32_e32 v8, 2, v0
	v_mov_b32_e32 v9, v1
	v_or_b32_e32 v10, v24, v0
	s_mul_hi_u32 s0, s11, s10
	s_mul_i32 s1, s8, s10
	s_mul_i32 s34, s11, s10
	v_lshl_add_u64 v[6:7], v[6:7], 0, v[8:9]
	v_mul_lo_u32 v8, v0, s10
	s_lshl_b32 s10, s10, 1
	v_or_b32_e32 v26, 4, v3
	v_mov_b32_e32 v5, v1
	v_or_b32_e32 v27, 0xfc, v3
	v_lshlrev_b32_e32 v28, 2, v10
	v_or_b32_e32 v3, 2, v0
	v_add_u32_e32 v10, s10, v8
	v_lshl_add_u64 v[4:5], s[2:3], 0, v[4:5]
	v_cmp_gt_u32_e64 s[2:3], s11, v3
	v_or_b32_e32 v3, 4, v0
	v_add_u32_e32 v12, s10, v10
	v_cmp_gt_u32_e64 s[4:5], s11, v3
	v_or_b32_e32 v3, 6, v0
	v_add_u32_e32 v14, s10, v12
	s_abs_i32 s10, s11
	v_cmp_gt_u32_e64 s[6:7], s11, v3
	v_cvt_f32_u32_e32 v3, s10
	s_add_i32 s33, s0, s1
	v_cmp_gt_u32_e64 s[0:1], s11, v0
	s_and_b64 s[20:21], s[0:1], vcc
	v_rcp_iflag_f32_e32 v3, v3
	s_sub_i32 s0, 0, s10
	v_mov_b32_e32 v25, 0
	v_mov_b32_e32 v11, v1
	v_mul_f32_e32 v3, 0x4f7ffffe, v3
	v_cvt_u32_f32_e32 v3, v3
	v_mov_b32_e32 v13, v1
	v_mov_b32_e32 v15, v1
	v_or_b32_e32 v29, 8, v28
	v_mul_lo_u32 v17, s0, v3
	v_mul_hi_u32 v17, v3, v17
	v_or_b32_e32 v30, 16, v28
	v_or_b32_e32 v31, 24, v28
	s_and_b64 s[2:3], vcc, s[2:3]
	s_and_b64 s[4:5], vcc, s[4:5]
	;; [unrolled: 1-line block ×3, first 2 shown]
	v_add_u32_e32 v32, v3, v17
	s_mov_b64 s[22:23], 0
	v_mov_b32_e32 v33, 1
	v_mov_b32_e32 v3, 0
	s_branch .LBB59_11
.LBB59_8:                               ;   in Loop: Header=BB59_11 Depth=1
	v_mov_b32_e32 v17, s28
.LBB59_9:                               ;   in Loop: Header=BB59_11 Depth=1
	s_or_b64 exec, exec, s[26:27]
.LBB59_10:                              ;   in Loop: Header=BB59_11 Depth=1
	s_or_b64 exec, exec, s[24:25]
	v_mov_b32_dpp v3, v34 row_shr:1 row_mask:0xf bank_mask:0xf
	v_min_i32_e32 v3, v3, v34
	v_add_u32_e32 v2, v17, v2
	s_waitcnt lgkmcnt(0)
	v_mov_b32_dpp v18, v3 row_shr:2 row_mask:0xf bank_mask:0xf
	v_min_i32_e32 v3, v18, v3
	s_nop 1
	v_mov_b32_dpp v18, v3 row_shr:4 row_mask:0xf bank_mask:0xe
	v_min_i32_e32 v3, v18, v3
	s_nop 1
	;; [unrolled: 3-line block ×3, first 2 shown]
	v_mov_b32_dpp v18, v3 row_bcast:15 row_mask:0xa bank_mask:0xf
	v_min_i32_e32 v3, v18, v3
	s_nop 1
	v_mov_b32_dpp v18, v3 row_bcast:31 row_mask:0xc bank_mask:0xf
	v_min_i32_e32 v3, v18, v3
	ds_bpermute_b32 v3, v27, v3
	s_waitcnt lgkmcnt(0)
	v_cmp_le_i32_e32 vcc, s9, v3
	s_or_b64 s[22:23], vcc, s[22:23]
	s_andn2_b64 exec, exec, s[22:23]
	s_cbranch_execz .LBB59_40
.LBB59_11:                              ; =>This Loop Header: Depth=1
                                        ;     Child Loop BB59_14 Depth 2
	v_add_u32_e32 v20, v16, v0
	v_cmp_lt_i32_e32 vcc, v20, v23
	v_mov_b32_e32 v34, s9
	v_mov_b32_e32 v35, v23
	ds_write_b8 v22, v25 offset:4096
	ds_write_b32 v28, v1
	ds_write_b32 v29, v1
	;; [unrolled: 1-line block ×4, first 2 shown]
	s_waitcnt lgkmcnt(0)
	s_and_saveexec_b64 s[24:25], vcc
	s_cbranch_execz .LBB59_19
; %bb.12:                               ;   in Loop: Header=BB59_11 Depth=1
	v_ashrrev_i32_e32 v17, 31, v16
	v_lshl_add_u64 v[16:17], v[0:1], 0, v[16:17]
	v_lshlrev_b64 v[18:19], 2, v[16:17]
	v_mul_lo_u32 v21, v3, s11
	v_lshl_add_u64 v[16:17], s[16:17], 0, v[18:19]
	v_lshl_add_u64 v[18:19], s[12:13], 0, v[18:19]
	s_mov_b64 s[26:27], 0
	v_mov_b32_e32 v34, s9
	v_mov_b32_e32 v35, v23
	s_branch .LBB59_14
.LBB59_13:                              ;   in Loop: Header=BB59_14 Depth=2
	s_or_b64 exec, exec, s[0:1]
	v_add_u32_e32 v20, 2, v20
	v_cmp_ge_i32_e64 s[0:1], v20, v23
	s_xor_b64 s[28:29], vcc, -1
	s_or_b64 s[0:1], s[28:29], s[0:1]
	s_and_b64 s[0:1], exec, s[0:1]
	v_lshl_add_u64 v[16:17], v[16:17], 0, 8
	s_or_b64 s[26:27], s[0:1], s[26:27]
	v_lshl_add_u64 v[18:19], v[18:19], 0, 8
	s_andn2_b64 exec, exec, s[26:27]
	s_cbranch_execz .LBB59_18
.LBB59_14:                              ;   Parent Loop BB59_11 Depth=1
                                        ; =>  This Inner Loop Header: Depth=2
	global_load_dword v36, v[16:17], off
	s_waitcnt vmcnt(0)
	v_subrev_u32_e32 v36, s30, v36
	v_sub_u32_e32 v38, 0, v36
	v_max_i32_e32 v38, v36, v38
	v_mul_hi_u32 v39, v38, v32
	v_mul_lo_u32 v40, v39, s10
	v_sub_u32_e32 v38, v38, v40
	v_add_u32_e32 v41, 1, v39
	v_cmp_le_u32_e32 vcc, s10, v38
	v_subrev_u32_e32 v40, s10, v38
	v_ashrrev_i32_e32 v37, 31, v36
	v_cndmask_b32_e32 v39, v39, v41, vcc
	v_cndmask_b32_e32 v38, v38, v40, vcc
	v_add_u32_e32 v40, 1, v39
	v_cmp_le_u32_e32 vcc, s10, v38
	v_xor_b32_e32 v37, s8, v37
	s_nop 0
	v_cndmask_b32_e32 v38, v39, v40, vcc
	v_xor_b32_e32 v38, v38, v37
	v_sub_u32_e32 v38, v38, v37
	v_cmp_eq_u32_e32 vcc, v38, v3
	v_cmp_ne_u32_e64 s[0:1], v38, v3
	v_mov_b32_e32 v37, v35
	s_and_saveexec_b64 s[28:29], s[0:1]
	s_xor_b64 s[0:1], exec, s[28:29]
; %bb.15:                               ;   in Loop: Header=BB59_14 Depth=2
	v_min_i32_e32 v34, v38, v34
                                        ; implicit-def: $vgpr36
                                        ; implicit-def: $vgpr37
; %bb.16:                               ;   in Loop: Header=BB59_14 Depth=2
	s_or_saveexec_b64 s[0:1], s[0:1]
	v_mov_b32_e32 v35, v20
	s_xor_b64 exec, exec, s[0:1]
	s_cbranch_execz .LBB59_13
; %bb.17:                               ;   in Loop: Header=BB59_14 Depth=2
	global_load_dword v35, v[18:19], off
	v_sub_u32_e32 v36, v36, v21
	v_add_lshl_u32 v36, v24, v36, 2
	ds_write_b8 v22, v33 offset:4096
	s_waitcnt vmcnt(0)
	ds_write_b32 v36, v35
	v_mov_b32_e32 v35, v37
	s_branch .LBB59_13
.LBB59_18:                              ;   in Loop: Header=BB59_11 Depth=1
	s_or_b64 exec, exec, s[26:27]
.LBB59_19:                              ;   in Loop: Header=BB59_11 Depth=1
	s_or_b64 exec, exec, s[24:25]
	s_waitcnt lgkmcnt(0)
	ds_read_u8 v17, v22 offset:4096
	v_mov_b32_dpp v16, v35 row_shr:1 row_mask:0xf bank_mask:0xf
	v_min_i32_e32 v16, v16, v35
	ds_bpermute_b32 v16, v26, v16
	s_waitcnt lgkmcnt(1)
	v_and_b32_e32 v17, 1, v17
	v_cmp_eq_u32_e32 vcc, 1, v17
	v_mov_b32_e32 v17, 0
	s_and_saveexec_b64 s[24:25], vcc
	s_cbranch_execz .LBB59_10
; %bb.20:                               ;   in Loop: Header=BB59_11 Depth=1
	v_add_u32_e32 v17, s31, v3
	v_ashrrev_i32_e32 v3, 31, v2
	v_lshl_add_u64 v[18:19], v[2:3], 2, s[14:15]
	global_store_dword v[18:19], v17, off
	v_mul_lo_u32 v17, s33, v2
	v_mul_lo_u32 v3, s34, v3
	v_mad_u64_u32 v[18:19], s[0:1], s34, v2, 0
	v_add3_u32 v19, v19, v3, v17
	v_lshlrev_b64 v[18:19], 2, v[18:19]
	v_lshl_add_u64 v[20:21], v[4:5], 0, v[18:19]
	v_lshl_add_u64 v[18:19], v[6:7], 0, v[18:19]
	s_and_saveexec_b64 s[0:1], s[20:21]
	s_cbranch_execz .LBB59_24
; %bb.21:                               ;   in Loop: Header=BB59_11 Depth=1
	s_and_b64 vcc, exec, s[18:19]
	s_cbranch_vccz .LBB59_35
; %bb.22:                               ;   in Loop: Header=BB59_11 Depth=1
	ds_read_b32 v3, v28
	v_lshl_add_u64 v[36:37], v[8:9], 2, v[20:21]
	s_waitcnt lgkmcnt(0)
	global_store_dword v[36:37], v3, off
	s_cbranch_execnz .LBB59_24
.LBB59_23:                              ;   in Loop: Header=BB59_11 Depth=1
	ds_read_b32 v3, v28
	s_waitcnt lgkmcnt(0)
	global_store_dword v[18:19], v3, off
.LBB59_24:                              ;   in Loop: Header=BB59_11 Depth=1
	s_or_b64 exec, exec, s[0:1]
	v_cndmask_b32_e64 v3, 0, 1, s[18:19]
	v_cmp_ne_u32_e64 s[0:1], 1, v3
	s_and_saveexec_b64 s[26:27], s[2:3]
	s_cbranch_execz .LBB59_28
; %bb.25:                               ;   in Loop: Header=BB59_11 Depth=1
	s_and_b64 vcc, exec, s[0:1]
	s_cbranch_vccnz .LBB59_36
; %bb.26:                               ;   in Loop: Header=BB59_11 Depth=1
	ds_read_b32 v3, v28 offset:8
	v_lshl_add_u64 v[36:37], v[10:11], 2, v[20:21]
	s_waitcnt lgkmcnt(0)
	global_store_dword v[36:37], v3, off
	s_cbranch_execnz .LBB59_28
.LBB59_27:                              ;   in Loop: Header=BB59_11 Depth=1
	ds_read_b32 v3, v28 offset:8
	s_waitcnt lgkmcnt(0)
	global_store_dword v[18:19], v3, off offset:8
.LBB59_28:                              ;   in Loop: Header=BB59_11 Depth=1
	s_or_b64 exec, exec, s[26:27]
	s_and_saveexec_b64 s[26:27], s[4:5]
	s_cbranch_execz .LBB59_32
; %bb.29:                               ;   in Loop: Header=BB59_11 Depth=1
	s_and_b64 vcc, exec, s[0:1]
	s_cbranch_vccnz .LBB59_37
; %bb.30:                               ;   in Loop: Header=BB59_11 Depth=1
	ds_read_b32 v3, v28 offset:16
	v_lshl_add_u64 v[36:37], v[12:13], 2, v[20:21]
	s_waitcnt lgkmcnt(0)
	global_store_dword v[36:37], v3, off
	s_cbranch_execnz .LBB59_32
.LBB59_31:                              ;   in Loop: Header=BB59_11 Depth=1
	ds_read_b32 v3, v28 offset:16
	s_waitcnt lgkmcnt(0)
	global_store_dword v[18:19], v3, off offset:16
.LBB59_32:                              ;   in Loop: Header=BB59_11 Depth=1
	s_or_b64 exec, exec, s[26:27]
	v_mov_b32_e32 v17, 1
	s_and_saveexec_b64 s[26:27], s[6:7]
	s_cbranch_execz .LBB59_9
; %bb.33:                               ;   in Loop: Header=BB59_11 Depth=1
	s_and_b64 vcc, exec, s[0:1]
	s_cbranch_vccnz .LBB59_38
; %bb.34:                               ;   in Loop: Header=BB59_11 Depth=1
	ds_read_b32 v3, v28 offset:24
	v_lshl_add_u64 v[20:21], v[14:15], 2, v[20:21]
	s_mov_b32 s28, 1
	s_waitcnt lgkmcnt(0)
	global_store_dword v[20:21], v3, off
	s_cbranch_execnz .LBB59_8
	s_branch .LBB59_39
.LBB59_35:                              ;   in Loop: Header=BB59_11 Depth=1
	s_branch .LBB59_23
.LBB59_36:                              ;   in Loop: Header=BB59_11 Depth=1
	s_branch .LBB59_27
.LBB59_37:                              ;   in Loop: Header=BB59_11 Depth=1
	s_branch .LBB59_31
.LBB59_38:                              ;   in Loop: Header=BB59_11 Depth=1
                                        ; implicit-def: $sgpr28
.LBB59_39:                              ;   in Loop: Header=BB59_11 Depth=1
	ds_read_b32 v3, v28 offset:24
	s_mov_b32 s28, 1
	s_waitcnt lgkmcnt(0)
	global_store_dword v[18:19], v3, off offset:24
	s_branch .LBB59_8
.LBB59_40:
	s_endpgm
	.section	.rodata,"a",@progbits
	.p2align	6, 0x0
	.amdhsa_kernel _ZN9rocsparseL44csr2gebsr_wavefront_per_row_multipass_kernelILi256ELi32ELi8ELi64EfEEv20rocsparse_direction_iiiiii21rocsparse_index_base_PKT3_PKiS7_S2_PS3_PiS9_
		.amdhsa_group_segment_fixed_size 4100
		.amdhsa_private_segment_fixed_size 0
		.amdhsa_kernarg_size 88
		.amdhsa_user_sgpr_count 2
		.amdhsa_user_sgpr_dispatch_ptr 0
		.amdhsa_user_sgpr_queue_ptr 0
		.amdhsa_user_sgpr_kernarg_segment_ptr 1
		.amdhsa_user_sgpr_dispatch_id 0
		.amdhsa_user_sgpr_kernarg_preload_length 0
		.amdhsa_user_sgpr_kernarg_preload_offset 0
		.amdhsa_user_sgpr_private_segment_size 0
		.amdhsa_uses_dynamic_stack 0
		.amdhsa_enable_private_segment 0
		.amdhsa_system_sgpr_workgroup_id_x 1
		.amdhsa_system_sgpr_workgroup_id_y 0
		.amdhsa_system_sgpr_workgroup_id_z 0
		.amdhsa_system_sgpr_workgroup_info 0
		.amdhsa_system_vgpr_workitem_id 0
		.amdhsa_next_free_vgpr 42
		.amdhsa_next_free_sgpr 35
		.amdhsa_accum_offset 44
		.amdhsa_reserve_vcc 1
		.amdhsa_float_round_mode_32 0
		.amdhsa_float_round_mode_16_64 0
		.amdhsa_float_denorm_mode_32 3
		.amdhsa_float_denorm_mode_16_64 3
		.amdhsa_dx10_clamp 1
		.amdhsa_ieee_mode 1
		.amdhsa_fp16_overflow 0
		.amdhsa_tg_split 0
		.amdhsa_exception_fp_ieee_invalid_op 0
		.amdhsa_exception_fp_denorm_src 0
		.amdhsa_exception_fp_ieee_div_zero 0
		.amdhsa_exception_fp_ieee_overflow 0
		.amdhsa_exception_fp_ieee_underflow 0
		.amdhsa_exception_fp_ieee_inexact 0
		.amdhsa_exception_int_div_zero 0
	.end_amdhsa_kernel
	.section	.text._ZN9rocsparseL44csr2gebsr_wavefront_per_row_multipass_kernelILi256ELi32ELi8ELi64EfEEv20rocsparse_direction_iiiiii21rocsparse_index_base_PKT3_PKiS7_S2_PS3_PiS9_,"axG",@progbits,_ZN9rocsparseL44csr2gebsr_wavefront_per_row_multipass_kernelILi256ELi32ELi8ELi64EfEEv20rocsparse_direction_iiiiii21rocsparse_index_base_PKT3_PKiS7_S2_PS3_PiS9_,comdat
.Lfunc_end59:
	.size	_ZN9rocsparseL44csr2gebsr_wavefront_per_row_multipass_kernelILi256ELi32ELi8ELi64EfEEv20rocsparse_direction_iiiiii21rocsparse_index_base_PKT3_PKiS7_S2_PS3_PiS9_, .Lfunc_end59-_ZN9rocsparseL44csr2gebsr_wavefront_per_row_multipass_kernelILi256ELi32ELi8ELi64EfEEv20rocsparse_direction_iiiiii21rocsparse_index_base_PKT3_PKiS7_S2_PS3_PiS9_
                                        ; -- End function
	.section	.AMDGPU.csdata,"",@progbits
; Kernel info:
; codeLenInByte = 1588
; NumSgprs: 41
; NumVgprs: 42
; NumAgprs: 0
; TotalNumVgprs: 42
; ScratchSize: 0
; MemoryBound: 0
; FloatMode: 240
; IeeeMode: 1
; LDSByteSize: 4100 bytes/workgroup (compile time only)
; SGPRBlocks: 5
; VGPRBlocks: 5
; NumSGPRsForWavesPerEU: 41
; NumVGPRsForWavesPerEU: 42
; AccumOffset: 44
; Occupancy: 8
; WaveLimiterHint : 0
; COMPUTE_PGM_RSRC2:SCRATCH_EN: 0
; COMPUTE_PGM_RSRC2:USER_SGPR: 2
; COMPUTE_PGM_RSRC2:TRAP_HANDLER: 0
; COMPUTE_PGM_RSRC2:TGID_X_EN: 1
; COMPUTE_PGM_RSRC2:TGID_Y_EN: 0
; COMPUTE_PGM_RSRC2:TGID_Z_EN: 0
; COMPUTE_PGM_RSRC2:TIDIG_COMP_CNT: 0
; COMPUTE_PGM_RSRC3_GFX90A:ACCUM_OFFSET: 10
; COMPUTE_PGM_RSRC3_GFX90A:TG_SPLIT: 0
	.section	.text._ZN9rocsparseL44csr2gebsr_wavefront_per_row_multipass_kernelILi256ELi32ELi8ELi32EfEEv20rocsparse_direction_iiiiii21rocsparse_index_base_PKT3_PKiS7_S2_PS3_PiS9_,"axG",@progbits,_ZN9rocsparseL44csr2gebsr_wavefront_per_row_multipass_kernelILi256ELi32ELi8ELi32EfEEv20rocsparse_direction_iiiiii21rocsparse_index_base_PKT3_PKiS7_S2_PS3_PiS9_,comdat
	.globl	_ZN9rocsparseL44csr2gebsr_wavefront_per_row_multipass_kernelILi256ELi32ELi8ELi32EfEEv20rocsparse_direction_iiiiii21rocsparse_index_base_PKT3_PKiS7_S2_PS3_PiS9_ ; -- Begin function _ZN9rocsparseL44csr2gebsr_wavefront_per_row_multipass_kernelILi256ELi32ELi8ELi32EfEEv20rocsparse_direction_iiiiii21rocsparse_index_base_PKT3_PKiS7_S2_PS3_PiS9_
	.p2align	8
	.type	_ZN9rocsparseL44csr2gebsr_wavefront_per_row_multipass_kernelILi256ELi32ELi8ELi32EfEEv20rocsparse_direction_iiiiii21rocsparse_index_base_PKT3_PKiS7_S2_PS3_PiS9_,@function
_ZN9rocsparseL44csr2gebsr_wavefront_per_row_multipass_kernelILi256ELi32ELi8ELi32EfEEv20rocsparse_direction_iiiiii21rocsparse_index_base_PKT3_PKiS7_S2_PS3_PiS9_: ; @_ZN9rocsparseL44csr2gebsr_wavefront_per_row_multipass_kernelILi256ELi32ELi8ELi32EfEEv20rocsparse_direction_iiiiii21rocsparse_index_base_PKT3_PKiS7_S2_PS3_PiS9_
; %bb.0:
	s_load_dwordx2 s[14:15], s[0:1], 0x0
	s_load_dwordx4 s[4:7], s[0:1], 0xc
	s_load_dword s33, s[0:1], 0x1c
	s_load_dwordx2 s[8:9], s[0:1], 0x28
	v_lshrrev_b32_e32 v18, 5, v0
	v_and_b32_e32 v2, 31, v0
	v_lshl_or_b32 v8, s2, 3, v18
	s_waitcnt lgkmcnt(0)
	v_mad_u64_u32 v[6:7], s[2:3], v8, s6, v[2:3]
	v_cmp_gt_i32_e32 vcc, s15, v6
	v_cmp_gt_i32_e64 s[2:3], s6, v2
	s_and_b64 s[10:11], s[2:3], vcc
	v_mov_b32_e32 v19, 0
	v_mov_b32_e32 v4, 0
	s_and_saveexec_b64 s[12:13], s[10:11]
	s_cbranch_execz .LBB60_2
; %bb.1:
	v_ashrrev_i32_e32 v7, 31, v6
	v_lshl_add_u64 v[4:5], v[6:7], 2, s[8:9]
	global_load_dword v1, v[4:5], off
	s_waitcnt vmcnt(0)
	v_subrev_u32_e32 v4, s33, v1
.LBB60_2:
	s_or_b64 exec, exec, s[12:13]
	s_and_saveexec_b64 s[12:13], s[10:11]
	s_cbranch_execz .LBB60_4
; %bb.3:
	v_ashrrev_i32_e32 v7, 31, v6
	v_lshl_add_u64 v[6:7], v[6:7], 2, s[8:9]
	global_load_dword v1, v[6:7], off offset:4
	s_waitcnt vmcnt(0)
	v_subrev_u32_e32 v19, s33, v1
.LBB60_4:
	s_or_b64 exec, exec, s[12:13]
	s_load_dword s52, s[0:1], 0x38
	v_cmp_gt_i32_e32 vcc, s4, v8
	v_mov_b32_e32 v6, 0
	s_and_saveexec_b64 s[8:9], vcc
	s_cbranch_execz .LBB60_6
; %bb.5:
	s_load_dwordx2 s[10:11], s[0:1], 0x48
	v_ashrrev_i32_e32 v9, 31, v8
	s_waitcnt lgkmcnt(0)
	v_lshl_add_u64 v[6:7], v[8:9], 2, s[10:11]
	global_load_dword v1, v[6:7], off
	s_waitcnt vmcnt(0)
	v_subrev_u32_e32 v6, s52, v1
.LBB60_6:
	s_or_b64 exec, exec, s[8:9]
	s_cmp_lt_i32 s5, 1
	s_cbranch_scc1 .LBB60_35
; %bb.7:
	s_cmp_eq_u32 s14, 0
	s_cselect_b64 vcc, -1, 0
	s_ashr_i32 s4, s7, 31
	s_load_dwordx2 s[8:9], s[0:1], 0x20
	s_load_dwordx2 s[10:11], s[0:1], 0x50
	;; [unrolled: 1-line block ×4, first 2 shown]
	s_mul_hi_u32 s0, s7, s6
	s_mul_i32 s1, s4, s6
	s_add_i32 s53, s0, s1
	v_lshlrev_b32_e32 v8, 2, v2
	v_mul_lo_u32 v2, v2, s7
	s_cmp_lg_u32 s7, 0
	v_mov_b32_e32 v9, 0
	v_ashrrev_i32_e32 v3, 31, v2
	s_cselect_b64 s[0:1], -1, 0
	s_waitcnt lgkmcnt(0)
	v_lshl_add_u64 v[10:11], s[16:17], 0, v[8:9]
	v_lshl_add_u64 v[12:13], v[2:3], 2, s[16:17]
	s_and_b64 s[16:17], s[2:3], s[0:1]
	s_cmp_gt_u32 s7, 1
	s_cselect_b64 s[0:1], -1, 0
	s_and_b64 s[18:19], s[2:3], s[0:1]
	s_cmp_gt_u32 s7, 2
	s_cselect_b64 s[0:1], -1, 0
	s_and_b64 s[20:21], s[2:3], s[0:1]
	s_lshl_b32 s22, s6, 1
	s_cmp_gt_u32 s7, 3
	s_cselect_b64 s[0:1], -1, 0
	s_and_b64 s[24:25], s[2:3], s[0:1]
	s_cmp_gt_u32 s7, 4
	s_cselect_b64 s[0:1], -1, 0
	s_and_b64 s[28:29], s[2:3], s[0:1]
	s_lshl_b32 s30, s6, 2
	s_cmp_gt_u32 s7, 5
	s_cselect_b64 s[0:1], -1, 0
	s_and_b64 s[34:35], s[2:3], s[0:1]
	s_cmp_gt_u32 s7, 6
	s_cselect_b64 s[0:1], -1, 0
	s_and_b64 s[36:37], s[2:3], s[0:1]
	s_cmp_gt_u32 s7, 7
	s_cselect_b64 s[0:1], -1, 0
	s_abs_i32 s55, s7
	v_lshlrev_b32_e32 v21, 5, v0
	v_cvt_f32_u32_e32 v0, s55
	v_mbcnt_lo_u32_b32 v1, -1, 0
	v_mbcnt_hi_u32_b32 v1, -1, v1
	s_and_b64 s[42:43], s[2:3], s[0:1]
	v_rcp_iflag_f32_e32 v0, v0
	s_sub_i32 s0, 0, s55
	s_mov_b32 s15, 0
	v_lshlrev_b32_e32 v20, 2, v1
	v_mul_f32_e32 v0, 0x4f7ffffe, v0
	v_cvt_u32_f32_e32 v0, v0
	s_mov_b32 s1, s15
	s_mov_b32 s2, s15
	;; [unrolled: 1-line block ×3, first 2 shown]
	v_mul_lo_u32 v1, s0, v0
	v_mul_hi_u32 v1, v0, v1
	s_mov_b32 s0, s15
	v_add_u32_e32 v22, v0, v1
	v_mov_b64_e32 v[0:1], s[0:1]
	s_mov_b32 s14, s6
	s_mul_i32 s54, s7, s6
	v_or_b32_e32 v8, 0x7c, v20
	s_mov_b32 s23, s15
	s_mul_i32 s26, s6, 3
	s_mov_b32 s27, s15
	s_mov_b32 s31, s15
	s_mul_i32 s38, s6, 5
	s_mov_b32 s39, s15
	s_mul_i32 s40, s6, 6
	;; [unrolled: 2-line block ×3, first 2 shown]
	s_mov_b32 s45, s15
	s_mov_b64 s[46:47], 0
	v_mov_b64_e32 v[2:3], s[2:3]
	v_mov_b32_e32 v23, 1
	v_mov_b32_e32 v7, 0
	s_branch .LBB60_10
.LBB60_8:                               ;   in Loop: Header=BB60_10 Depth=1
	s_or_b64 exec, exec, s[0:1]
	v_mov_b32_e32 v14, 1
.LBB60_9:                               ;   in Loop: Header=BB60_10 Depth=1
	s_or_b64 exec, exec, s[2:3]
	v_mov_b32_dpp v7, v5 row_shr:1 row_mask:0xf bank_mask:0xf
	v_min_i32_e32 v5, v7, v5
	v_add_u32_e32 v6, v14, v6
	s_waitcnt lgkmcnt(0)
	v_mov_b32_dpp v7, v5 row_shr:2 row_mask:0xf bank_mask:0xf
	v_min_i32_e32 v5, v7, v5
	s_nop 1
	v_mov_b32_dpp v7, v5 row_shr:4 row_mask:0xf bank_mask:0xe
	v_min_i32_e32 v5, v7, v5
	s_nop 1
	;; [unrolled: 3-line block ×3, first 2 shown]
	v_mov_b32_dpp v7, v5 row_bcast:15 row_mask:0xa bank_mask:0xf
	v_min_i32_e32 v5, v7, v5
	ds_bpermute_b32 v7, v8, v5
	s_waitcnt lgkmcnt(0)
	v_cmp_le_i32_e64 s[0:1], s5, v7
	s_or_b64 s[46:47], s[0:1], s[46:47]
	s_andn2_b64 exec, exec, s[46:47]
	s_cbranch_execz .LBB60_35
.LBB60_10:                              ; =>This Loop Header: Depth=1
                                        ;     Child Loop BB60_13 Depth 2
	v_cmp_lt_i32_e64 s[0:1], v4, v19
	v_mov_b32_e32 v5, s5
	v_mov_b32_e32 v25, v19
	ds_write_b8 v18, v9 offset:8192
	ds_write_b128 v21, v[0:3]
	ds_write_b128 v21, v[0:3] offset:16
	s_waitcnt lgkmcnt(0)
	s_and_saveexec_b64 s[48:49], s[0:1]
	s_cbranch_execz .LBB60_18
; %bb.11:                               ;   in Loop: Header=BB60_10 Depth=1
	v_ashrrev_i32_e32 v5, 31, v4
	v_lshlrev_b64 v[16:17], 2, v[4:5]
	v_mul_lo_u32 v24, v7, s7
	v_lshl_add_u64 v[14:15], s[12:13], 0, v[16:17]
	v_lshl_add_u64 v[16:17], s[8:9], 0, v[16:17]
	s_mov_b64 s[50:51], 0
	v_mov_b32_e32 v5, s5
	v_mov_b32_e32 v25, v19
	s_branch .LBB60_13
.LBB60_12:                              ;   in Loop: Header=BB60_13 Depth=2
	s_or_b64 exec, exec, s[2:3]
	v_add_u32_e32 v4, 1, v4
	v_cmp_ge_i32_e64 s[2:3], v4, v19
	s_xor_b64 s[0:1], s[0:1], -1
	s_or_b64 s[0:1], s[0:1], s[2:3]
	s_and_b64 s[0:1], exec, s[0:1]
	v_lshl_add_u64 v[14:15], v[14:15], 0, 4
	s_or_b64 s[50:51], s[0:1], s[50:51]
	v_lshl_add_u64 v[16:17], v[16:17], 0, 4
	s_andn2_b64 exec, exec, s[50:51]
	s_cbranch_execz .LBB60_17
.LBB60_13:                              ;   Parent Loop BB60_10 Depth=1
                                        ; =>  This Inner Loop Header: Depth=2
	global_load_dword v26, v[14:15], off
	s_waitcnt vmcnt(0)
	v_subrev_u32_e32 v26, s33, v26
	v_sub_u32_e32 v28, 0, v26
	v_max_i32_e32 v28, v26, v28
	v_mul_hi_u32 v29, v28, v22
	v_mul_lo_u32 v30, v29, s55
	v_sub_u32_e32 v28, v28, v30
	v_add_u32_e32 v31, 1, v29
	v_cmp_le_u32_e64 s[0:1], s55, v28
	v_subrev_u32_e32 v30, s55, v28
	v_ashrrev_i32_e32 v27, 31, v26
	v_cndmask_b32_e64 v29, v29, v31, s[0:1]
	v_cndmask_b32_e64 v28, v28, v30, s[0:1]
	v_add_u32_e32 v30, 1, v29
	v_cmp_le_u32_e64 s[0:1], s55, v28
	v_xor_b32_e32 v27, s4, v27
	s_nop 0
	v_cndmask_b32_e64 v28, v29, v30, s[0:1]
	v_xor_b32_e32 v28, v28, v27
	v_sub_u32_e32 v28, v28, v27
	v_cmp_eq_u32_e64 s[0:1], v28, v7
	v_cmp_ne_u32_e64 s[2:3], v28, v7
	v_mov_b32_e32 v27, v25
	s_and_saveexec_b64 s[56:57], s[2:3]
	s_xor_b64 s[2:3], exec, s[56:57]
; %bb.14:                               ;   in Loop: Header=BB60_13 Depth=2
	v_min_i32_e32 v5, v28, v5
                                        ; implicit-def: $vgpr26
                                        ; implicit-def: $vgpr27
; %bb.15:                               ;   in Loop: Header=BB60_13 Depth=2
	s_or_saveexec_b64 s[2:3], s[2:3]
	v_mov_b32_e32 v25, v4
	s_xor_b64 exec, exec, s[2:3]
	s_cbranch_execz .LBB60_12
; %bb.16:                               ;   in Loop: Header=BB60_13 Depth=2
	global_load_dword v25, v[16:17], off
	v_sub_u32_e32 v26, v26, v24
	v_lshl_add_u32 v26, v26, 2, v21
	ds_write_b8 v18, v23 offset:8192
	s_waitcnt vmcnt(0)
	ds_write_b32 v26, v25
	v_mov_b32_e32 v25, v27
	s_branch .LBB60_12
.LBB60_17:                              ;   in Loop: Header=BB60_10 Depth=1
	s_or_b64 exec, exec, s[50:51]
.LBB60_18:                              ;   in Loop: Header=BB60_10 Depth=1
	s_or_b64 exec, exec, s[48:49]
	s_waitcnt lgkmcnt(0)
	ds_read_u8 v14, v18 offset:8192
	ds_bpermute_b32 v4, v20, v25
	s_waitcnt lgkmcnt(1)
	v_and_b32_e32 v14, 1, v14
	v_cmp_eq_u32_e64 s[0:1], 1, v14
	v_mov_b32_e32 v14, 0
	s_and_saveexec_b64 s[2:3], s[0:1]
	s_cbranch_execz .LBB60_9
; %bb.19:                               ;   in Loop: Header=BB60_10 Depth=1
	v_add_u32_e32 v16, s52, v7
	v_ashrrev_i32_e32 v7, 31, v6
	v_lshl_add_u64 v[14:15], v[6:7], 2, s[10:11]
	global_store_dword v[14:15], v16, off
	v_mul_lo_u32 v16, s53, v6
	v_mul_lo_u32 v7, s54, v7
	v_mad_u64_u32 v[14:15], s[0:1], s54, v6, 0
	v_add3_u32 v15, v15, v7, v16
	v_lshlrev_b64 v[16:17], 2, v[14:15]
	v_lshl_add_u64 v[14:15], v[10:11], 0, v[16:17]
	v_lshl_add_u64 v[16:17], v[12:13], 0, v[16:17]
	s_and_saveexec_b64 s[0:1], s[16:17]
	s_cbranch_execnz .LBB60_27
; %bb.20:                               ;   in Loop: Header=BB60_10 Depth=1
	s_or_b64 exec, exec, s[0:1]
	s_and_saveexec_b64 s[0:1], s[18:19]
	s_cbranch_execnz .LBB60_28
.LBB60_21:                              ;   in Loop: Header=BB60_10 Depth=1
	s_or_b64 exec, exec, s[0:1]
	s_and_saveexec_b64 s[0:1], s[20:21]
	s_cbranch_execnz .LBB60_29
.LBB60_22:                              ;   in Loop: Header=BB60_10 Depth=1
	s_or_b64 exec, exec, s[0:1]
	s_and_saveexec_b64 s[0:1], s[24:25]
	s_cbranch_execnz .LBB60_30
.LBB60_23:                              ;   in Loop: Header=BB60_10 Depth=1
	s_or_b64 exec, exec, s[0:1]
	s_and_saveexec_b64 s[0:1], s[28:29]
	s_cbranch_execnz .LBB60_31
.LBB60_24:                              ;   in Loop: Header=BB60_10 Depth=1
	s_or_b64 exec, exec, s[0:1]
	s_and_saveexec_b64 s[0:1], s[34:35]
	s_cbranch_execnz .LBB60_32
.LBB60_25:                              ;   in Loop: Header=BB60_10 Depth=1
	s_or_b64 exec, exec, s[0:1]
	s_and_saveexec_b64 s[0:1], s[36:37]
	s_cbranch_execnz .LBB60_33
.LBB60_26:                              ;   in Loop: Header=BB60_10 Depth=1
	s_or_b64 exec, exec, s[0:1]
	s_and_saveexec_b64 s[0:1], s[42:43]
	s_cbranch_execz .LBB60_8
	s_branch .LBB60_34
.LBB60_27:                              ;   in Loop: Header=BB60_10 Depth=1
	ds_read_b32 v7, v21
	v_cndmask_b32_e32 v25, v15, v17, vcc
	v_cndmask_b32_e32 v24, v14, v16, vcc
	s_waitcnt lgkmcnt(0)
	global_store_dword v[24:25], v7, off
	s_or_b64 exec, exec, s[0:1]
	s_and_saveexec_b64 s[0:1], s[18:19]
	s_cbranch_execz .LBB60_21
.LBB60_28:                              ;   in Loop: Header=BB60_10 Depth=1
	ds_read_b32 v7, v21 offset:4
	v_lshl_add_u64 v[24:25], v[16:17], 0, 4
	v_lshl_add_u64 v[26:27], s[14:15], 2, v[14:15]
	v_cndmask_b32_e32 v25, v27, v25, vcc
	v_cndmask_b32_e32 v24, v26, v24, vcc
	s_waitcnt lgkmcnt(0)
	global_store_dword v[24:25], v7, off
	s_or_b64 exec, exec, s[0:1]
	s_and_saveexec_b64 s[0:1], s[20:21]
	s_cbranch_execz .LBB60_22
.LBB60_29:                              ;   in Loop: Header=BB60_10 Depth=1
	ds_read_b32 v7, v21 offset:8
	v_lshl_add_u64 v[24:25], v[16:17], 0, 8
	v_lshl_add_u64 v[26:27], s[22:23], 2, v[14:15]
	v_cndmask_b32_e32 v25, v27, v25, vcc
	v_cndmask_b32_e32 v24, v26, v24, vcc
	s_waitcnt lgkmcnt(0)
	global_store_dword v[24:25], v7, off
	s_or_b64 exec, exec, s[0:1]
	s_and_saveexec_b64 s[0:1], s[24:25]
	s_cbranch_execz .LBB60_23
.LBB60_30:                              ;   in Loop: Header=BB60_10 Depth=1
	ds_read_b32 v7, v21 offset:12
	v_lshl_add_u64 v[24:25], v[16:17], 0, 12
	v_lshl_add_u64 v[26:27], s[26:27], 2, v[14:15]
	v_cndmask_b32_e32 v25, v27, v25, vcc
	v_cndmask_b32_e32 v24, v26, v24, vcc
	s_waitcnt lgkmcnt(0)
	global_store_dword v[24:25], v7, off
	s_or_b64 exec, exec, s[0:1]
	s_and_saveexec_b64 s[0:1], s[28:29]
	s_cbranch_execz .LBB60_24
.LBB60_31:                              ;   in Loop: Header=BB60_10 Depth=1
	ds_read_b32 v7, v21 offset:16
	v_lshl_add_u64 v[24:25], v[16:17], 0, 16
	v_lshl_add_u64 v[26:27], s[30:31], 2, v[14:15]
	v_cndmask_b32_e32 v25, v27, v25, vcc
	v_cndmask_b32_e32 v24, v26, v24, vcc
	s_waitcnt lgkmcnt(0)
	global_store_dword v[24:25], v7, off
	s_or_b64 exec, exec, s[0:1]
	s_and_saveexec_b64 s[0:1], s[34:35]
	s_cbranch_execz .LBB60_25
.LBB60_32:                              ;   in Loop: Header=BB60_10 Depth=1
	ds_read_b32 v7, v21 offset:20
	v_lshl_add_u64 v[24:25], v[16:17], 0, 20
	v_lshl_add_u64 v[26:27], s[38:39], 2, v[14:15]
	v_cndmask_b32_e32 v25, v27, v25, vcc
	v_cndmask_b32_e32 v24, v26, v24, vcc
	s_waitcnt lgkmcnt(0)
	global_store_dword v[24:25], v7, off
	s_or_b64 exec, exec, s[0:1]
	s_and_saveexec_b64 s[0:1], s[36:37]
	s_cbranch_execz .LBB60_26
.LBB60_33:                              ;   in Loop: Header=BB60_10 Depth=1
	ds_read_b32 v7, v21 offset:24
	v_lshl_add_u64 v[24:25], v[16:17], 0, 24
	v_lshl_add_u64 v[26:27], s[40:41], 2, v[14:15]
	v_cndmask_b32_e32 v25, v27, v25, vcc
	v_cndmask_b32_e32 v24, v26, v24, vcc
	s_waitcnt lgkmcnt(0)
	global_store_dword v[24:25], v7, off
	s_or_b64 exec, exec, s[0:1]
	s_and_saveexec_b64 s[0:1], s[42:43]
	s_cbranch_execz .LBB60_8
.LBB60_34:                              ;   in Loop: Header=BB60_10 Depth=1
	ds_read_b32 v7, v21 offset:28
	v_lshl_add_u64 v[16:17], v[16:17], 0, 28
	v_lshl_add_u64 v[14:15], s[44:45], 2, v[14:15]
	v_cndmask_b32_e32 v15, v15, v17, vcc
	v_cndmask_b32_e32 v14, v14, v16, vcc
	s_waitcnt lgkmcnt(0)
	global_store_dword v[14:15], v7, off
	s_branch .LBB60_8
.LBB60_35:
	s_endpgm
	.section	.rodata,"a",@progbits
	.p2align	6, 0x0
	.amdhsa_kernel _ZN9rocsparseL44csr2gebsr_wavefront_per_row_multipass_kernelILi256ELi32ELi8ELi32EfEEv20rocsparse_direction_iiiiii21rocsparse_index_base_PKT3_PKiS7_S2_PS3_PiS9_
		.amdhsa_group_segment_fixed_size 8200
		.amdhsa_private_segment_fixed_size 0
		.amdhsa_kernarg_size 88
		.amdhsa_user_sgpr_count 2
		.amdhsa_user_sgpr_dispatch_ptr 0
		.amdhsa_user_sgpr_queue_ptr 0
		.amdhsa_user_sgpr_kernarg_segment_ptr 1
		.amdhsa_user_sgpr_dispatch_id 0
		.amdhsa_user_sgpr_kernarg_preload_length 0
		.amdhsa_user_sgpr_kernarg_preload_offset 0
		.amdhsa_user_sgpr_private_segment_size 0
		.amdhsa_uses_dynamic_stack 0
		.amdhsa_enable_private_segment 0
		.amdhsa_system_sgpr_workgroup_id_x 1
		.amdhsa_system_sgpr_workgroup_id_y 0
		.amdhsa_system_sgpr_workgroup_id_z 0
		.amdhsa_system_sgpr_workgroup_info 0
		.amdhsa_system_vgpr_workitem_id 0
		.amdhsa_next_free_vgpr 32
		.amdhsa_next_free_sgpr 58
		.amdhsa_accum_offset 32
		.amdhsa_reserve_vcc 1
		.amdhsa_float_round_mode_32 0
		.amdhsa_float_round_mode_16_64 0
		.amdhsa_float_denorm_mode_32 3
		.amdhsa_float_denorm_mode_16_64 3
		.amdhsa_dx10_clamp 1
		.amdhsa_ieee_mode 1
		.amdhsa_fp16_overflow 0
		.amdhsa_tg_split 0
		.amdhsa_exception_fp_ieee_invalid_op 0
		.amdhsa_exception_fp_denorm_src 0
		.amdhsa_exception_fp_ieee_div_zero 0
		.amdhsa_exception_fp_ieee_overflow 0
		.amdhsa_exception_fp_ieee_underflow 0
		.amdhsa_exception_fp_ieee_inexact 0
		.amdhsa_exception_int_div_zero 0
	.end_amdhsa_kernel
	.section	.text._ZN9rocsparseL44csr2gebsr_wavefront_per_row_multipass_kernelILi256ELi32ELi8ELi32EfEEv20rocsparse_direction_iiiiii21rocsparse_index_base_PKT3_PKiS7_S2_PS3_PiS9_,"axG",@progbits,_ZN9rocsparseL44csr2gebsr_wavefront_per_row_multipass_kernelILi256ELi32ELi8ELi32EfEEv20rocsparse_direction_iiiiii21rocsparse_index_base_PKT3_PKiS7_S2_PS3_PiS9_,comdat
.Lfunc_end60:
	.size	_ZN9rocsparseL44csr2gebsr_wavefront_per_row_multipass_kernelILi256ELi32ELi8ELi32EfEEv20rocsparse_direction_iiiiii21rocsparse_index_base_PKT3_PKiS7_S2_PS3_PiS9_, .Lfunc_end60-_ZN9rocsparseL44csr2gebsr_wavefront_per_row_multipass_kernelILi256ELi32ELi8ELi32EfEEv20rocsparse_direction_iiiiii21rocsparse_index_base_PKT3_PKiS7_S2_PS3_PiS9_
                                        ; -- End function
	.section	.AMDGPU.csdata,"",@progbits
; Kernel info:
; codeLenInByte = 1768
; NumSgprs: 64
; NumVgprs: 32
; NumAgprs: 0
; TotalNumVgprs: 32
; ScratchSize: 0
; MemoryBound: 0
; FloatMode: 240
; IeeeMode: 1
; LDSByteSize: 8200 bytes/workgroup (compile time only)
; SGPRBlocks: 7
; VGPRBlocks: 3
; NumSGPRsForWavesPerEU: 64
; NumVGPRsForWavesPerEU: 32
; AccumOffset: 32
; Occupancy: 7
; WaveLimiterHint : 0
; COMPUTE_PGM_RSRC2:SCRATCH_EN: 0
; COMPUTE_PGM_RSRC2:USER_SGPR: 2
; COMPUTE_PGM_RSRC2:TRAP_HANDLER: 0
; COMPUTE_PGM_RSRC2:TGID_X_EN: 1
; COMPUTE_PGM_RSRC2:TGID_Y_EN: 0
; COMPUTE_PGM_RSRC2:TGID_Z_EN: 0
; COMPUTE_PGM_RSRC2:TIDIG_COMP_CNT: 0
; COMPUTE_PGM_RSRC3_GFX90A:ACCUM_OFFSET: 7
; COMPUTE_PGM_RSRC3_GFX90A:TG_SPLIT: 0
	.section	.text._ZN9rocsparseL40csr2gebsr_block_per_row_multipass_kernelILj256ELj32ELj16EfEEv20rocsparse_direction_iiiiii21rocsparse_index_base_PKT2_PKiS7_S2_PS3_PiS9_,"axG",@progbits,_ZN9rocsparseL40csr2gebsr_block_per_row_multipass_kernelILj256ELj32ELj16EfEEv20rocsparse_direction_iiiiii21rocsparse_index_base_PKT2_PKiS7_S2_PS3_PiS9_,comdat
	.globl	_ZN9rocsparseL40csr2gebsr_block_per_row_multipass_kernelILj256ELj32ELj16EfEEv20rocsparse_direction_iiiiii21rocsparse_index_base_PKT2_PKiS7_S2_PS3_PiS9_ ; -- Begin function _ZN9rocsparseL40csr2gebsr_block_per_row_multipass_kernelILj256ELj32ELj16EfEEv20rocsparse_direction_iiiiii21rocsparse_index_base_PKT2_PKiS7_S2_PS3_PiS9_
	.p2align	8
	.type	_ZN9rocsparseL40csr2gebsr_block_per_row_multipass_kernelILj256ELj32ELj16EfEEv20rocsparse_direction_iiiiii21rocsparse_index_base_PKT2_PKiS7_S2_PS3_PiS9_,@function
_ZN9rocsparseL40csr2gebsr_block_per_row_multipass_kernelILj256ELj32ELj16EfEEv20rocsparse_direction_iiiiii21rocsparse_index_base_PKT2_PKiS7_S2_PS3_PiS9_: ; @_ZN9rocsparseL40csr2gebsr_block_per_row_multipass_kernelILj256ELj32ELj16EfEEv20rocsparse_direction_iiiiii21rocsparse_index_base_PKT2_PKiS7_S2_PS3_PiS9_
; %bb.0:
	s_load_dwordx4 s[20:23], s[0:1], 0x10
	s_load_dwordx2 s[6:7], s[0:1], 0x0
	s_load_dwordx2 s[8:9], s[0:1], 0x28
	v_lshrrev_b32_e32 v1, 3, v0
	v_mov_b32_e32 v12, 0
	s_waitcnt lgkmcnt(0)
	s_mul_i32 s3, s2, s21
	v_add_u32_e32 v2, s3, v1
	v_cmp_gt_i32_e64 s[4:5], s7, v2
	v_cmp_gt_i32_e32 vcc, s21, v1
	s_and_b64 s[4:5], vcc, s[4:5]
	v_mov_b32_e32 v21, 0
	s_and_saveexec_b64 s[10:11], s[4:5]
	s_cbranch_execnz .LBB61_3
; %bb.1:
	s_or_b64 exec, exec, s[10:11]
	s_and_saveexec_b64 s[10:11], s[4:5]
	s_cbranch_execnz .LBB61_4
.LBB61_2:
	s_or_b64 exec, exec, s[10:11]
	s_cmp_lt_i32 s20, 1
	s_cbranch_scc0 .LBB61_5
	s_branch .LBB61_37
.LBB61_3:
	v_ashrrev_i32_e32 v3, 31, v2
	v_lshl_add_u64 v[4:5], v[2:3], 2, s[8:9]
	global_load_dword v3, v[4:5], off
	s_waitcnt vmcnt(0)
	v_subrev_u32_e32 v21, s23, v3
	s_or_b64 exec, exec, s[10:11]
	s_and_saveexec_b64 s[10:11], s[4:5]
	s_cbranch_execz .LBB61_2
.LBB61_4:
	v_ashrrev_i32_e32 v3, 31, v2
	v_lshl_add_u64 v[2:3], v[2:3], 2, s[8:9]
	global_load_dword v2, v[2:3], off offset:4
	s_waitcnt vmcnt(0)
	v_subrev_u32_e32 v12, s23, v2
	s_or_b64 exec, exec, s[10:11]
	s_cmp_lt_i32 s20, 1
	s_cbranch_scc1 .LBB61_37
.LBB61_5:
	s_load_dwordx4 s[8:11], s[0:1], 0x40
	s_load_dwordx2 s[24:25], s[0:1], 0x50
	s_load_dword s33, s[0:1], 0x38
	s_ashr_i32 s3, s2, 31
	s_lshl_b64 s[2:3], s[2:3], 2
	s_waitcnt lgkmcnt(0)
	s_add_u32 s2, s10, s2
	s_addc_u32 s3, s11, s3
	s_load_dword s4, s[2:3], 0x0
	s_load_dwordx2 s[26:27], s[0:1], 0x20
	s_load_dwordx2 s[28:29], s[0:1], 0x30
	v_mbcnt_lo_u32_b32 v2, -1, 0
	v_mbcnt_hi_u32_b32 v2, -1, v2
	s_waitcnt lgkmcnt(0)
	s_sub_i32 s30, s4, s33
	s_cmp_eq_u32 s6, 0
	s_cselect_b64 s[0:1], -1, 0
	s_ashr_i32 s42, s22, 31
	s_mul_hi_u32 s2, s22, s21
	s_mul_i32 s3, s42, s21
	v_mul_lo_u32 v6, v1, s22
	v_and_b32_e32 v13, 7, v0
	v_lshlrev_b32_e32 v14, 4, v1
	v_lshl_or_b32 v16, v2, 2, 28
	s_add_i32 s43, s2, s3
	v_lshlrev_b32_e32 v2, 2, v1
	v_mov_b32_e32 v3, 0
	v_ashrrev_i32_e32 v7, 31, v6
	s_movk_i32 s2, 0x80
	v_lshl_add_u64 v[4:5], s[8:9], 0, v[2:3]
	v_lshl_add_u64 v[6:7], v[6:7], 2, s[8:9]
	v_lshlrev_b32_e32 v17, 2, v0
	v_cmp_gt_u32_e64 s[2:3], s2, v0
	v_cmp_gt_u32_e64 s[4:5], 64, v0
	;; [unrolled: 1-line block ×7, first 2 shown]
	v_cmp_eq_u32_e64 s[16:17], 0, v0
	v_or_b32_e32 v0, v14, v13
	s_abs_i32 s45, s22
	v_lshlrev_b32_e32 v18, 2, v0
	v_cvt_f32_u32_e32 v0, s45
	v_cmp_gt_u32_e64 s[18:19], s22, v13
	v_or_b32_e32 v1, 8, v13
	s_and_b64 s[34:35], vcc, s[18:19]
	v_rcp_iflag_f32_e32 v0, v0
	v_cmp_gt_u32_e64 s[18:19], s22, v1
	s_and_b64 s[36:37], vcc, s[18:19]
	s_sub_i32 s18, 0, s45
	v_mul_f32_e32 v0, 0x4f7ffffe, v0
	v_cvt_u32_f32_e32 v8, v0
	v_lshlrev_b32_e32 v2, 2, v13
	v_lshl_add_u64 v[6:7], v[6:7], 0, v[2:3]
	v_mul_lo_u32 v2, v13, s21
	v_mul_lo_u32 v9, s18, v8
	v_mul_hi_u32 v9, v8, v9
	v_mov_b32_e32 v15, 0
	s_mul_i32 s44, s22, s21
	v_lshl_add_u32 v0, s21, 3, v2
	v_mov_b32_e32 v1, v3
	v_add_u32_e32 v19, v8, v9
	v_mov_b32_e32 v20, 1
	v_mov_b32_e32 v10, 0
	s_branch .LBB61_7
.LBB61_6:                               ;   in Loop: Header=BB61_7 Depth=1
	s_or_b64 exec, exec, s[18:19]
	s_waitcnt lgkmcnt(0)
	s_barrier
	ds_read_b32 v10, v3
	s_add_i32 s30, s21, s30
	s_waitcnt lgkmcnt(0)
	s_barrier
	v_cmp_gt_i32_e32 vcc, s20, v10
	s_cbranch_vccz .LBB61_37
.LBB61_7:                               ; =>This Loop Header: Depth=1
                                        ;     Child Loop BB61_10 Depth 2
	v_add_u32_e32 v8, v21, v13
	v_cmp_lt_i32_e32 vcc, v8, v12
	v_mov_b32_e32 v22, s20
	v_mov_b32_e32 v21, v12
	ds_write_b8 v3, v15 offset:2048
	ds_write2_b32 v18, v3, v3 offset1:8
	s_waitcnt lgkmcnt(0)
	s_barrier
	s_and_saveexec_b64 s[38:39], vcc
	s_cbranch_execz .LBB61_15
; %bb.8:                                ;   in Loop: Header=BB61_7 Depth=1
	v_mul_lo_u32 v11, v10, s22
	s_mov_b64 s[40:41], 0
	v_mov_b32_e32 v22, s20
	v_mov_b32_e32 v21, v12
	s_branch .LBB61_10
.LBB61_9:                               ;   in Loop: Header=BB61_10 Depth=2
	s_or_b64 exec, exec, s[18:19]
	v_add_u32_e32 v8, 8, v8
	v_cmp_ge_i32_e64 s[18:19], v8, v12
	s_xor_b64 s[46:47], vcc, -1
	s_or_b64 s[18:19], s[46:47], s[18:19]
	s_and_b64 s[18:19], exec, s[18:19]
	s_or_b64 s[40:41], s[18:19], s[40:41]
	s_andn2_b64 exec, exec, s[40:41]
	s_cbranch_execz .LBB61_14
.LBB61_10:                              ;   Parent Loop BB61_7 Depth=1
                                        ; =>  This Inner Loop Header: Depth=2
	v_ashrrev_i32_e32 v9, 31, v8
	v_lshl_add_u64 v[24:25], v[8:9], 2, s[28:29]
	global_load_dword v23, v[24:25], off
	s_waitcnt vmcnt(0)
	v_subrev_u32_e32 v23, s23, v23
	v_sub_u32_e32 v25, 0, v23
	v_max_i32_e32 v25, v23, v25
	v_mul_hi_u32 v26, v25, v19
	v_mul_lo_u32 v27, v26, s45
	v_sub_u32_e32 v25, v25, v27
	v_add_u32_e32 v28, 1, v26
	v_cmp_le_u32_e32 vcc, s45, v25
	v_subrev_u32_e32 v27, s45, v25
	v_ashrrev_i32_e32 v24, 31, v23
	v_cndmask_b32_e32 v26, v26, v28, vcc
	v_cndmask_b32_e32 v25, v25, v27, vcc
	v_add_u32_e32 v27, 1, v26
	v_cmp_le_u32_e32 vcc, s45, v25
	v_xor_b32_e32 v24, s42, v24
	s_nop 0
	v_cndmask_b32_e32 v25, v26, v27, vcc
	v_xor_b32_e32 v25, v25, v24
	v_sub_u32_e32 v25, v25, v24
	v_cmp_eq_u32_e32 vcc, v25, v10
	v_cmp_ne_u32_e64 s[18:19], v25, v10
	v_mov_b32_e32 v24, v21
	s_and_saveexec_b64 s[46:47], s[18:19]
	s_xor_b64 s[18:19], exec, s[46:47]
; %bb.11:                               ;   in Loop: Header=BB61_10 Depth=2
	v_min_i32_e32 v22, v25, v22
                                        ; implicit-def: $vgpr23
                                        ; implicit-def: $vgpr24
; %bb.12:                               ;   in Loop: Header=BB61_10 Depth=2
	s_or_saveexec_b64 s[18:19], s[18:19]
	v_mov_b32_e32 v21, v8
	s_xor_b64 exec, exec, s[18:19]
	s_cbranch_execz .LBB61_9
; %bb.13:                               ;   in Loop: Header=BB61_10 Depth=2
	v_lshl_add_u64 v[26:27], v[8:9], 2, s[26:27]
	global_load_dword v9, v[26:27], off
	v_sub_u32_e32 v21, v23, v11
	v_add_lshl_u32 v21, v21, v14, 2
	ds_write_b8 v3, v20 offset:2048
	s_waitcnt vmcnt(0)
	ds_write_b32 v21, v9
	v_mov_b32_e32 v21, v24
	s_branch .LBB61_9
.LBB61_14:                              ;   in Loop: Header=BB61_7 Depth=1
	s_or_b64 exec, exec, s[40:41]
.LBB61_15:                              ;   in Loop: Header=BB61_7 Depth=1
	s_or_b64 exec, exec, s[38:39]
	v_mov_b32_dpp v8, v21 row_shr:1 row_mask:0xf bank_mask:0xf
	v_min_i32_e32 v8, v8, v21
	s_waitcnt lgkmcnt(0)
	s_barrier
	v_mov_b32_dpp v9, v8 row_shr:2 row_mask:0xf bank_mask:0xf
	v_min_i32_e32 v8, v9, v8
	ds_read_u8 v9, v3 offset:2048
	s_nop 0
	v_mov_b32_dpp v11, v8 row_shr:4 row_mask:0xf bank_mask:0xe
	v_min_i32_e32 v8, v11, v8
	ds_bpermute_b32 v21, v16, v8
	s_mov_b32 s21, 0
	s_waitcnt lgkmcnt(1)
	v_cmp_eq_u32_e32 vcc, 0, v9
	s_cbranch_vccnz .LBB61_21
; %bb.16:                               ;   in Loop: Header=BB61_7 Depth=1
	s_ashr_i32 s31, s30, 31
	s_lshl_b64 s[18:19], s[30:31], 2
	s_add_u32 s18, s24, s18
	v_add_u32_e32 v8, s33, v10
	s_addc_u32 s19, s25, s19
	global_store_dword v3, v8, s[18:19]
	s_mul_hi_u32 s18, s44, s30
	s_mul_i32 s19, s44, s31
	s_add_i32 s18, s18, s19
	s_mul_i32 s19, s43, s30
	s_add_i32 s19, s18, s19
	s_mul_i32 s18, s44, s30
	s_lshl_b64 s[18:19], s[18:19], 2
	v_lshl_add_u64 v[8:9], v[4:5], 0, s[18:19]
	v_lshl_add_u64 v[10:11], v[6:7], 0, s[18:19]
	s_and_saveexec_b64 s[18:19], s[34:35]
	s_cbranch_execz .LBB61_18
; %bb.17:                               ;   in Loop: Header=BB61_7 Depth=1
	ds_read_b32 v23, v18
	v_lshl_add_u64 v[24:25], v[2:3], 2, v[8:9]
	v_cndmask_b32_e64 v25, v25, v11, s[0:1]
	v_cndmask_b32_e64 v24, v24, v10, s[0:1]
	s_waitcnt lgkmcnt(0)
	global_store_dword v[24:25], v23, off
.LBB61_18:                              ;   in Loop: Header=BB61_7 Depth=1
	s_or_b64 exec, exec, s[18:19]
	s_and_saveexec_b64 s[18:19], s[36:37]
	s_cbranch_execz .LBB61_20
; %bb.19:                               ;   in Loop: Header=BB61_7 Depth=1
	ds_read_b32 v23, v18 offset:32
	v_lshl_add_u64 v[10:11], v[10:11], 0, 32
	v_lshl_add_u64 v[8:9], v[0:1], 2, v[8:9]
	v_cndmask_b32_e64 v9, v9, v11, s[0:1]
	v_cndmask_b32_e64 v8, v8, v10, s[0:1]
	s_waitcnt lgkmcnt(0)
	global_store_dword v[8:9], v23, off
.LBB61_20:                              ;   in Loop: Header=BB61_7 Depth=1
	s_or_b64 exec, exec, s[18:19]
	s_mov_b32 s21, 1
.LBB61_21:                              ;   in Loop: Header=BB61_7 Depth=1
	s_waitcnt lgkmcnt(0)
	s_barrier
	ds_write_b32 v17, v22
	s_waitcnt lgkmcnt(0)
	s_barrier
	s_and_saveexec_b64 s[18:19], s[2:3]
	s_cbranch_execz .LBB61_23
; %bb.22:                               ;   in Loop: Header=BB61_7 Depth=1
	ds_read2st64_b32 v[8:9], v17 offset1:2
	s_waitcnt lgkmcnt(0)
	v_min_i32_e32 v8, v9, v8
	ds_write_b32 v17, v8
.LBB61_23:                              ;   in Loop: Header=BB61_7 Depth=1
	s_or_b64 exec, exec, s[18:19]
	s_waitcnt lgkmcnt(0)
	s_barrier
	s_and_saveexec_b64 s[18:19], s[4:5]
	s_cbranch_execz .LBB61_25
; %bb.24:                               ;   in Loop: Header=BB61_7 Depth=1
	ds_read2st64_b32 v[8:9], v17 offset1:1
	s_waitcnt lgkmcnt(0)
	v_min_i32_e32 v8, v9, v8
	ds_write_b32 v17, v8
.LBB61_25:                              ;   in Loop: Header=BB61_7 Depth=1
	s_or_b64 exec, exec, s[18:19]
	s_waitcnt lgkmcnt(0)
	s_barrier
	s_and_saveexec_b64 s[18:19], s[6:7]
	s_cbranch_execz .LBB61_27
; %bb.26:                               ;   in Loop: Header=BB61_7 Depth=1
	ds_read2_b32 v[8:9], v17 offset1:32
	s_waitcnt lgkmcnt(0)
	v_min_i32_e32 v8, v9, v8
	ds_write_b32 v17, v8
.LBB61_27:                              ;   in Loop: Header=BB61_7 Depth=1
	s_or_b64 exec, exec, s[18:19]
	s_waitcnt lgkmcnt(0)
	s_barrier
	s_and_saveexec_b64 s[18:19], s[8:9]
	s_cbranch_execz .LBB61_29
; %bb.28:                               ;   in Loop: Header=BB61_7 Depth=1
	ds_read2_b32 v[8:9], v17 offset1:16
	s_waitcnt lgkmcnt(0)
	v_min_i32_e32 v8, v9, v8
	ds_write_b32 v17, v8
.LBB61_29:                              ;   in Loop: Header=BB61_7 Depth=1
	;; [unrolled: 11-line block ×5, first 2 shown]
	s_or_b64 exec, exec, s[18:19]
	s_waitcnt lgkmcnt(0)
	s_barrier
	s_and_saveexec_b64 s[18:19], s[16:17]
	s_cbranch_execz .LBB61_6
; %bb.36:                               ;   in Loop: Header=BB61_7 Depth=1
	ds_read_b64 v[8:9], v3
	s_waitcnt lgkmcnt(0)
	v_min_i32_e32 v8, v9, v8
	ds_write_b32 v3, v8
	s_branch .LBB61_6
.LBB61_37:
	s_endpgm
	.section	.rodata,"a",@progbits
	.p2align	6, 0x0
	.amdhsa_kernel _ZN9rocsparseL40csr2gebsr_block_per_row_multipass_kernelILj256ELj32ELj16EfEEv20rocsparse_direction_iiiiii21rocsparse_index_base_PKT2_PKiS7_S2_PS3_PiS9_
		.amdhsa_group_segment_fixed_size 2052
		.amdhsa_private_segment_fixed_size 0
		.amdhsa_kernarg_size 88
		.amdhsa_user_sgpr_count 2
		.amdhsa_user_sgpr_dispatch_ptr 0
		.amdhsa_user_sgpr_queue_ptr 0
		.amdhsa_user_sgpr_kernarg_segment_ptr 1
		.amdhsa_user_sgpr_dispatch_id 0
		.amdhsa_user_sgpr_kernarg_preload_length 0
		.amdhsa_user_sgpr_kernarg_preload_offset 0
		.amdhsa_user_sgpr_private_segment_size 0
		.amdhsa_uses_dynamic_stack 0
		.amdhsa_enable_private_segment 0
		.amdhsa_system_sgpr_workgroup_id_x 1
		.amdhsa_system_sgpr_workgroup_id_y 0
		.amdhsa_system_sgpr_workgroup_id_z 0
		.amdhsa_system_sgpr_workgroup_info 0
		.amdhsa_system_vgpr_workitem_id 0
		.amdhsa_next_free_vgpr 29
		.amdhsa_next_free_sgpr 48
		.amdhsa_accum_offset 32
		.amdhsa_reserve_vcc 1
		.amdhsa_float_round_mode_32 0
		.amdhsa_float_round_mode_16_64 0
		.amdhsa_float_denorm_mode_32 3
		.amdhsa_float_denorm_mode_16_64 3
		.amdhsa_dx10_clamp 1
		.amdhsa_ieee_mode 1
		.amdhsa_fp16_overflow 0
		.amdhsa_tg_split 0
		.amdhsa_exception_fp_ieee_invalid_op 0
		.amdhsa_exception_fp_denorm_src 0
		.amdhsa_exception_fp_ieee_div_zero 0
		.amdhsa_exception_fp_ieee_overflow 0
		.amdhsa_exception_fp_ieee_underflow 0
		.amdhsa_exception_fp_ieee_inexact 0
		.amdhsa_exception_int_div_zero 0
	.end_amdhsa_kernel
	.section	.text._ZN9rocsparseL40csr2gebsr_block_per_row_multipass_kernelILj256ELj32ELj16EfEEv20rocsparse_direction_iiiiii21rocsparse_index_base_PKT2_PKiS7_S2_PS3_PiS9_,"axG",@progbits,_ZN9rocsparseL40csr2gebsr_block_per_row_multipass_kernelILj256ELj32ELj16EfEEv20rocsparse_direction_iiiiii21rocsparse_index_base_PKT2_PKiS7_S2_PS3_PiS9_,comdat
.Lfunc_end61:
	.size	_ZN9rocsparseL40csr2gebsr_block_per_row_multipass_kernelILj256ELj32ELj16EfEEv20rocsparse_direction_iiiiii21rocsparse_index_base_PKT2_PKiS7_S2_PS3_PiS9_, .Lfunc_end61-_ZN9rocsparseL40csr2gebsr_block_per_row_multipass_kernelILj256ELj32ELj16EfEEv20rocsparse_direction_iiiiii21rocsparse_index_base_PKT2_PKiS7_S2_PS3_PiS9_
                                        ; -- End function
	.section	.AMDGPU.csdata,"",@progbits
; Kernel info:
; codeLenInByte = 1572
; NumSgprs: 54
; NumVgprs: 29
; NumAgprs: 0
; TotalNumVgprs: 29
; ScratchSize: 0
; MemoryBound: 0
; FloatMode: 240
; IeeeMode: 1
; LDSByteSize: 2052 bytes/workgroup (compile time only)
; SGPRBlocks: 6
; VGPRBlocks: 3
; NumSGPRsForWavesPerEU: 54
; NumVGPRsForWavesPerEU: 29
; AccumOffset: 32
; Occupancy: 8
; WaveLimiterHint : 0
; COMPUTE_PGM_RSRC2:SCRATCH_EN: 0
; COMPUTE_PGM_RSRC2:USER_SGPR: 2
; COMPUTE_PGM_RSRC2:TRAP_HANDLER: 0
; COMPUTE_PGM_RSRC2:TGID_X_EN: 1
; COMPUTE_PGM_RSRC2:TGID_Y_EN: 0
; COMPUTE_PGM_RSRC2:TGID_Z_EN: 0
; COMPUTE_PGM_RSRC2:TIDIG_COMP_CNT: 0
; COMPUTE_PGM_RSRC3_GFX90A:ACCUM_OFFSET: 7
; COMPUTE_PGM_RSRC3_GFX90A:TG_SPLIT: 0
	.section	.text._ZN9rocsparseL40csr2gebsr_block_per_row_multipass_kernelILj256ELj32ELj32EfEEv20rocsparse_direction_iiiiii21rocsparse_index_base_PKT2_PKiS7_S2_PS3_PiS9_,"axG",@progbits,_ZN9rocsparseL40csr2gebsr_block_per_row_multipass_kernelILj256ELj32ELj32EfEEv20rocsparse_direction_iiiiii21rocsparse_index_base_PKT2_PKiS7_S2_PS3_PiS9_,comdat
	.globl	_ZN9rocsparseL40csr2gebsr_block_per_row_multipass_kernelILj256ELj32ELj32EfEEv20rocsparse_direction_iiiiii21rocsparse_index_base_PKT2_PKiS7_S2_PS3_PiS9_ ; -- Begin function _ZN9rocsparseL40csr2gebsr_block_per_row_multipass_kernelILj256ELj32ELj32EfEEv20rocsparse_direction_iiiiii21rocsparse_index_base_PKT2_PKiS7_S2_PS3_PiS9_
	.p2align	8
	.type	_ZN9rocsparseL40csr2gebsr_block_per_row_multipass_kernelILj256ELj32ELj32EfEEv20rocsparse_direction_iiiiii21rocsparse_index_base_PKT2_PKiS7_S2_PS3_PiS9_,@function
_ZN9rocsparseL40csr2gebsr_block_per_row_multipass_kernelILj256ELj32ELj32EfEEv20rocsparse_direction_iiiiii21rocsparse_index_base_PKT2_PKiS7_S2_PS3_PiS9_: ; @_ZN9rocsparseL40csr2gebsr_block_per_row_multipass_kernelILj256ELj32ELj32EfEEv20rocsparse_direction_iiiiii21rocsparse_index_base_PKT2_PKiS7_S2_PS3_PiS9_
; %bb.0:
	s_load_dwordx4 s[20:23], s[0:1], 0x10
	s_load_dwordx2 s[6:7], s[0:1], 0x0
	s_load_dwordx2 s[8:9], s[0:1], 0x28
	v_lshrrev_b32_e32 v1, 3, v0
	v_mov_b32_e32 v16, 0
	s_waitcnt lgkmcnt(0)
	s_mul_i32 s3, s2, s21
	v_add_u32_e32 v2, s3, v1
	v_cmp_gt_i32_e64 s[4:5], s7, v2
	v_cmp_gt_i32_e32 vcc, s21, v1
	s_and_b64 s[4:5], vcc, s[4:5]
	v_mov_b32_e32 v25, 0
	s_and_saveexec_b64 s[10:11], s[4:5]
	s_cbranch_execnz .LBB62_3
; %bb.1:
	s_or_b64 exec, exec, s[10:11]
	s_and_saveexec_b64 s[10:11], s[4:5]
	s_cbranch_execnz .LBB62_4
.LBB62_2:
	s_or_b64 exec, exec, s[10:11]
	s_cmp_lt_i32 s20, 1
	s_cbranch_scc0 .LBB62_5
	s_branch .LBB62_41
.LBB62_3:
	v_ashrrev_i32_e32 v3, 31, v2
	v_lshl_add_u64 v[4:5], v[2:3], 2, s[8:9]
	global_load_dword v3, v[4:5], off
	s_waitcnt vmcnt(0)
	v_subrev_u32_e32 v25, s23, v3
	s_or_b64 exec, exec, s[10:11]
	s_and_saveexec_b64 s[10:11], s[4:5]
	s_cbranch_execz .LBB62_2
.LBB62_4:
	v_ashrrev_i32_e32 v3, 31, v2
	v_lshl_add_u64 v[2:3], v[2:3], 2, s[8:9]
	global_load_dword v2, v[2:3], off offset:4
	s_waitcnt vmcnt(0)
	v_subrev_u32_e32 v16, s23, v2
	s_or_b64 exec, exec, s[10:11]
	s_cmp_lt_i32 s20, 1
	s_cbranch_scc1 .LBB62_41
.LBB62_5:
	s_load_dwordx4 s[8:11], s[0:1], 0x40
	s_load_dwordx2 s[24:25], s[0:1], 0x50
	s_load_dword s33, s[0:1], 0x38
	s_ashr_i32 s3, s2, 31
	s_lshl_b64 s[2:3], s[2:3], 2
	s_waitcnt lgkmcnt(0)
	s_add_u32 s2, s10, s2
	s_addc_u32 s3, s11, s3
	s_load_dword s4, s[2:3], 0x0
	s_load_dwordx2 s[26:27], s[0:1], 0x20
	s_load_dwordx2 s[28:29], s[0:1], 0x30
	v_mbcnt_lo_u32_b32 v2, -1, 0
	v_mbcnt_hi_u32_b32 v2, -1, v2
	s_waitcnt lgkmcnt(0)
	s_sub_i32 s30, s4, s33
	v_mul_lo_u32 v6, v1, s22
	v_and_b32_e32 v17, 7, v0
	v_lshl_or_b32 v20, v2, 2, 28
	s_cmp_eq_u32 s6, 0
	v_lshlrev_b32_e32 v2, 2, v1
	v_mov_b32_e32 v3, 0
	v_ashrrev_i32_e32 v7, 31, v6
	s_cselect_b64 s[0:1], -1, 0
	s_ashr_i32 s48, s22, 31
	v_lshl_add_u64 v[4:5], s[8:9], 0, v[2:3]
	v_lshl_add_u64 v[6:7], v[6:7], 2, s[8:9]
	v_lshlrev_b32_e32 v2, 2, v17
	s_mul_hi_u32 s2, s22, s21
	s_mul_i32 s3, s48, s21
	s_mul_i32 s50, s22, s21
	v_lshl_add_u64 v[6:7], v[6:7], 0, v[2:3]
	v_mul_lo_u32 v2, v17, s21
	s_lshl_b32 s31, s21, 3
	s_abs_i32 s21, s22
	v_cvt_f32_u32_e32 v10, s21
	v_lshlrev_b32_e32 v18, 5, v1
	s_add_i32 s49, s2, s3
	s_movk_i32 s2, 0x80
	v_rcp_iflag_f32_e32 v10, v10
	v_lshlrev_b32_e32 v21, 2, v0
	v_cmp_gt_u32_e64 s[2:3], s2, v0
	v_cmp_gt_u32_e64 s[4:5], 64, v0
	;; [unrolled: 1-line block ×7, first 2 shown]
	v_cmp_eq_u32_e64 s[16:17], 0, v0
	v_or_b32_e32 v0, v18, v17
	v_lshlrev_b32_e32 v22, 2, v0
	v_cmp_gt_u32_e64 s[18:19], s22, v17
	v_or_b32_e32 v0, 8, v17
	v_mul_f32_e32 v10, 0x4f7ffffe, v10
	s_and_b64 s[34:35], vcc, s[18:19]
	v_cmp_gt_u32_e64 s[18:19], s22, v0
	v_or_b32_e32 v8, 16, v17
	v_cvt_u32_f32_e32 v12, v10
	s_and_b64 s[36:37], vcc, s[18:19]
	v_cmp_gt_u32_e64 s[18:19], s22, v8
	v_or_b32_e32 v11, 24, v17
	s_and_b64 s[38:39], vcc, s[18:19]
	v_cmp_gt_u32_e64 s[18:19], s22, v11
	s_and_b64 s[40:41], vcc, s[18:19]
	s_sub_i32 s18, 0, s21
	v_add_u32_e32 v0, s31, v2
	v_mul_lo_u32 v13, s18, v12
	v_add_u32_e32 v8, s31, v0
	v_mul_hi_u32 v13, v12, v13
	v_mov_b32_e32 v19, 0
	v_mov_b32_e32 v1, v3
	;; [unrolled: 1-line block ×3, first 2 shown]
	v_add_u32_e32 v10, s31, v8
	v_mov_b32_e32 v11, v3
	v_add_u32_e32 v23, v12, v13
	s_mov_b64 s[42:43], 0x60
	v_mov_b32_e32 v24, 1
	v_mov_b32_e32 v14, 0
	s_branch .LBB62_7
.LBB62_6:                               ;   in Loop: Header=BB62_7 Depth=1
	s_or_b64 exec, exec, s[18:19]
	s_waitcnt lgkmcnt(0)
	s_barrier
	ds_read_b32 v14, v3
	s_add_i32 s30, s31, s30
	s_waitcnt lgkmcnt(0)
	s_barrier
	v_cmp_gt_i32_e32 vcc, s20, v14
	s_cbranch_vccz .LBB62_41
.LBB62_7:                               ; =>This Loop Header: Depth=1
                                        ;     Child Loop BB62_10 Depth 2
	v_add_u32_e32 v12, v25, v17
	v_cmp_lt_i32_e32 vcc, v12, v16
	v_mov_b32_e32 v26, s20
	v_mov_b32_e32 v25, v16
	ds_write_b8 v3, v19 offset:4096
	ds_write2_b32 v22, v3, v3 offset1:8
	ds_write2_b32 v22, v3, v3 offset0:16 offset1:24
	s_waitcnt lgkmcnt(0)
	s_barrier
	s_and_saveexec_b64 s[44:45], vcc
	s_cbranch_execz .LBB62_15
; %bb.8:                                ;   in Loop: Header=BB62_7 Depth=1
	v_mul_lo_u32 v15, v14, s22
	s_mov_b64 s[46:47], 0
	v_mov_b32_e32 v26, s20
	v_mov_b32_e32 v25, v16
	s_branch .LBB62_10
.LBB62_9:                               ;   in Loop: Header=BB62_10 Depth=2
	s_or_b64 exec, exec, s[18:19]
	v_add_u32_e32 v12, 8, v12
	v_cmp_ge_i32_e64 s[18:19], v12, v16
	s_xor_b64 s[52:53], vcc, -1
	s_or_b64 s[18:19], s[52:53], s[18:19]
	s_and_b64 s[18:19], exec, s[18:19]
	s_or_b64 s[46:47], s[18:19], s[46:47]
	s_andn2_b64 exec, exec, s[46:47]
	s_cbranch_execz .LBB62_14
.LBB62_10:                              ;   Parent Loop BB62_7 Depth=1
                                        ; =>  This Inner Loop Header: Depth=2
	v_ashrrev_i32_e32 v13, 31, v12
	v_lshl_add_u64 v[28:29], v[12:13], 2, s[28:29]
	global_load_dword v27, v[28:29], off
	s_waitcnt vmcnt(0)
	v_subrev_u32_e32 v27, s23, v27
	v_sub_u32_e32 v29, 0, v27
	v_max_i32_e32 v29, v27, v29
	v_mul_hi_u32 v30, v29, v23
	v_mul_lo_u32 v31, v30, s21
	v_sub_u32_e32 v29, v29, v31
	v_add_u32_e32 v32, 1, v30
	v_cmp_le_u32_e32 vcc, s21, v29
	v_subrev_u32_e32 v31, s21, v29
	v_ashrrev_i32_e32 v28, 31, v27
	v_cndmask_b32_e32 v30, v30, v32, vcc
	v_cndmask_b32_e32 v29, v29, v31, vcc
	v_add_u32_e32 v31, 1, v30
	v_cmp_le_u32_e32 vcc, s21, v29
	v_xor_b32_e32 v28, s48, v28
	s_nop 0
	v_cndmask_b32_e32 v29, v30, v31, vcc
	v_xor_b32_e32 v29, v29, v28
	v_sub_u32_e32 v29, v29, v28
	v_cmp_eq_u32_e32 vcc, v29, v14
	v_cmp_ne_u32_e64 s[18:19], v29, v14
	v_mov_b32_e32 v28, v25
	s_and_saveexec_b64 s[52:53], s[18:19]
	s_xor_b64 s[18:19], exec, s[52:53]
; %bb.11:                               ;   in Loop: Header=BB62_10 Depth=2
	v_min_i32_e32 v26, v29, v26
                                        ; implicit-def: $vgpr27
                                        ; implicit-def: $vgpr28
; %bb.12:                               ;   in Loop: Header=BB62_10 Depth=2
	s_or_saveexec_b64 s[18:19], s[18:19]
	v_mov_b32_e32 v25, v12
	s_xor_b64 exec, exec, s[18:19]
	s_cbranch_execz .LBB62_9
; %bb.13:                               ;   in Loop: Header=BB62_10 Depth=2
	v_lshl_add_u64 v[30:31], v[12:13], 2, s[26:27]
	global_load_dword v13, v[30:31], off
	v_sub_u32_e32 v25, v27, v15
	v_add_lshl_u32 v25, v25, v18, 2
	ds_write_b8 v3, v24 offset:4096
	s_waitcnt vmcnt(0)
	ds_write_b32 v25, v13
	v_mov_b32_e32 v25, v28
	s_branch .LBB62_9
.LBB62_14:                              ;   in Loop: Header=BB62_7 Depth=1
	s_or_b64 exec, exec, s[46:47]
.LBB62_15:                              ;   in Loop: Header=BB62_7 Depth=1
	s_or_b64 exec, exec, s[44:45]
	v_mov_b32_dpp v12, v25 row_shr:1 row_mask:0xf bank_mask:0xf
	v_min_i32_e32 v12, v12, v25
	s_waitcnt lgkmcnt(0)
	s_barrier
	v_mov_b32_dpp v13, v12 row_shr:2 row_mask:0xf bank_mask:0xf
	v_min_i32_e32 v12, v13, v12
	ds_read_u8 v13, v3 offset:4096
	s_nop 0
	v_mov_b32_dpp v15, v12 row_shr:4 row_mask:0xf bank_mask:0xe
	v_min_i32_e32 v12, v15, v12
	ds_bpermute_b32 v25, v20, v12
	s_mov_b32 s31, 0
	s_waitcnt lgkmcnt(1)
	v_cmp_eq_u32_e32 vcc, 0, v13
	s_cbranch_vccnz .LBB62_22
; %bb.16:                               ;   in Loop: Header=BB62_7 Depth=1
	s_ashr_i32 s31, s30, 31
	s_lshl_b64 s[18:19], s[30:31], 2
	s_add_u32 s18, s24, s18
	v_add_u32_e32 v12, s33, v14
	s_addc_u32 s19, s25, s19
	global_store_dword v3, v12, s[18:19]
	s_mul_hi_u32 s18, s50, s30
	s_mul_i32 s19, s50, s31
	s_add_i32 s18, s18, s19
	s_mul_i32 s19, s49, s30
	s_add_i32 s19, s18, s19
	s_mul_i32 s18, s50, s30
	s_lshl_b64 s[18:19], s[18:19], 2
	v_lshl_add_u64 v[12:13], v[4:5], 0, s[18:19]
	v_lshl_add_u64 v[14:15], v[6:7], 0, s[18:19]
	s_and_saveexec_b64 s[18:19], s[34:35]
	s_cbranch_execnz .LBB62_38
; %bb.17:                               ;   in Loop: Header=BB62_7 Depth=1
	s_or_b64 exec, exec, s[18:19]
	s_and_saveexec_b64 s[18:19], s[36:37]
	s_cbranch_execnz .LBB62_39
.LBB62_18:                              ;   in Loop: Header=BB62_7 Depth=1
	s_or_b64 exec, exec, s[18:19]
	s_and_saveexec_b64 s[18:19], s[38:39]
	s_cbranch_execnz .LBB62_40
.LBB62_19:                              ;   in Loop: Header=BB62_7 Depth=1
	s_or_b64 exec, exec, s[18:19]
	s_and_saveexec_b64 s[18:19], s[40:41]
	s_cbranch_execz .LBB62_21
.LBB62_20:                              ;   in Loop: Header=BB62_7 Depth=1
	ds_read_b32 v27, v22 offset:96
	v_lshl_add_u64 v[14:15], v[14:15], 0, s[42:43]
	v_lshl_add_u64 v[12:13], v[10:11], 2, v[12:13]
	v_cndmask_b32_e64 v13, v13, v15, s[0:1]
	v_cndmask_b32_e64 v12, v12, v14, s[0:1]
	s_waitcnt lgkmcnt(0)
	global_store_dword v[12:13], v27, off
.LBB62_21:                              ;   in Loop: Header=BB62_7 Depth=1
	s_or_b64 exec, exec, s[18:19]
	s_mov_b32 s31, 1
.LBB62_22:                              ;   in Loop: Header=BB62_7 Depth=1
	s_waitcnt lgkmcnt(0)
	s_barrier
	ds_write_b32 v21, v26
	s_waitcnt lgkmcnt(0)
	s_barrier
	s_and_saveexec_b64 s[18:19], s[2:3]
	s_cbranch_execz .LBB62_24
; %bb.23:                               ;   in Loop: Header=BB62_7 Depth=1
	ds_read2st64_b32 v[12:13], v21 offset1:2
	s_waitcnt lgkmcnt(0)
	v_min_i32_e32 v12, v13, v12
	ds_write_b32 v21, v12
.LBB62_24:                              ;   in Loop: Header=BB62_7 Depth=1
	s_or_b64 exec, exec, s[18:19]
	s_waitcnt lgkmcnt(0)
	s_barrier
	s_and_saveexec_b64 s[18:19], s[4:5]
	s_cbranch_execz .LBB62_26
; %bb.25:                               ;   in Loop: Header=BB62_7 Depth=1
	ds_read2st64_b32 v[12:13], v21 offset1:1
	s_waitcnt lgkmcnt(0)
	v_min_i32_e32 v12, v13, v12
	ds_write_b32 v21, v12
.LBB62_26:                              ;   in Loop: Header=BB62_7 Depth=1
	s_or_b64 exec, exec, s[18:19]
	s_waitcnt lgkmcnt(0)
	s_barrier
	s_and_saveexec_b64 s[18:19], s[6:7]
	s_cbranch_execz .LBB62_28
; %bb.27:                               ;   in Loop: Header=BB62_7 Depth=1
	ds_read2_b32 v[12:13], v21 offset1:32
	s_waitcnt lgkmcnt(0)
	v_min_i32_e32 v12, v13, v12
	ds_write_b32 v21, v12
.LBB62_28:                              ;   in Loop: Header=BB62_7 Depth=1
	s_or_b64 exec, exec, s[18:19]
	s_waitcnt lgkmcnt(0)
	s_barrier
	s_and_saveexec_b64 s[18:19], s[8:9]
	s_cbranch_execz .LBB62_30
; %bb.29:                               ;   in Loop: Header=BB62_7 Depth=1
	ds_read2_b32 v[12:13], v21 offset1:16
	s_waitcnt lgkmcnt(0)
	v_min_i32_e32 v12, v13, v12
	ds_write_b32 v21, v12
.LBB62_30:                              ;   in Loop: Header=BB62_7 Depth=1
	;; [unrolled: 11-line block ×5, first 2 shown]
	s_or_b64 exec, exec, s[18:19]
	s_waitcnt lgkmcnt(0)
	s_barrier
	s_and_saveexec_b64 s[18:19], s[16:17]
	s_cbranch_execz .LBB62_6
; %bb.37:                               ;   in Loop: Header=BB62_7 Depth=1
	ds_read_b64 v[12:13], v3
	s_waitcnt lgkmcnt(0)
	v_min_i32_e32 v12, v13, v12
	ds_write_b32 v3, v12
	s_branch .LBB62_6
.LBB62_38:                              ;   in Loop: Header=BB62_7 Depth=1
	ds_read_b32 v27, v22
	v_lshl_add_u64 v[28:29], v[2:3], 2, v[12:13]
	v_cndmask_b32_e64 v29, v29, v15, s[0:1]
	v_cndmask_b32_e64 v28, v28, v14, s[0:1]
	s_waitcnt lgkmcnt(0)
	global_store_dword v[28:29], v27, off
	s_or_b64 exec, exec, s[18:19]
	s_and_saveexec_b64 s[18:19], s[36:37]
	s_cbranch_execz .LBB62_18
.LBB62_39:                              ;   in Loop: Header=BB62_7 Depth=1
	ds_read_b32 v27, v22 offset:32
	v_lshl_add_u64 v[28:29], v[14:15], 0, 32
	v_lshl_add_u64 v[30:31], v[0:1], 2, v[12:13]
	v_cndmask_b32_e64 v29, v31, v29, s[0:1]
	v_cndmask_b32_e64 v28, v30, v28, s[0:1]
	s_waitcnt lgkmcnt(0)
	global_store_dword v[28:29], v27, off
	s_or_b64 exec, exec, s[18:19]
	s_and_saveexec_b64 s[18:19], s[38:39]
	s_cbranch_execz .LBB62_19
.LBB62_40:                              ;   in Loop: Header=BB62_7 Depth=1
	ds_read_b32 v27, v22 offset:64
	v_lshl_add_u64 v[28:29], v[14:15], 0, 64
	v_lshl_add_u64 v[30:31], v[8:9], 2, v[12:13]
	v_cndmask_b32_e64 v29, v31, v29, s[0:1]
	v_cndmask_b32_e64 v28, v30, v28, s[0:1]
	s_waitcnt lgkmcnt(0)
	global_store_dword v[28:29], v27, off
	s_or_b64 exec, exec, s[18:19]
	s_and_saveexec_b64 s[18:19], s[40:41]
	s_cbranch_execnz .LBB62_20
	s_branch .LBB62_21
.LBB62_41:
	s_endpgm
	.section	.rodata,"a",@progbits
	.p2align	6, 0x0
	.amdhsa_kernel _ZN9rocsparseL40csr2gebsr_block_per_row_multipass_kernelILj256ELj32ELj32EfEEv20rocsparse_direction_iiiiii21rocsparse_index_base_PKT2_PKiS7_S2_PS3_PiS9_
		.amdhsa_group_segment_fixed_size 4100
		.amdhsa_private_segment_fixed_size 0
		.amdhsa_kernarg_size 88
		.amdhsa_user_sgpr_count 2
		.amdhsa_user_sgpr_dispatch_ptr 0
		.amdhsa_user_sgpr_queue_ptr 0
		.amdhsa_user_sgpr_kernarg_segment_ptr 1
		.amdhsa_user_sgpr_dispatch_id 0
		.amdhsa_user_sgpr_kernarg_preload_length 0
		.amdhsa_user_sgpr_kernarg_preload_offset 0
		.amdhsa_user_sgpr_private_segment_size 0
		.amdhsa_uses_dynamic_stack 0
		.amdhsa_enable_private_segment 0
		.amdhsa_system_sgpr_workgroup_id_x 1
		.amdhsa_system_sgpr_workgroup_id_y 0
		.amdhsa_system_sgpr_workgroup_id_z 0
		.amdhsa_system_sgpr_workgroup_info 0
		.amdhsa_system_vgpr_workitem_id 0
		.amdhsa_next_free_vgpr 33
		.amdhsa_next_free_sgpr 54
		.amdhsa_accum_offset 36
		.amdhsa_reserve_vcc 1
		.amdhsa_float_round_mode_32 0
		.amdhsa_float_round_mode_16_64 0
		.amdhsa_float_denorm_mode_32 3
		.amdhsa_float_denorm_mode_16_64 3
		.amdhsa_dx10_clamp 1
		.amdhsa_ieee_mode 1
		.amdhsa_fp16_overflow 0
		.amdhsa_tg_split 0
		.amdhsa_exception_fp_ieee_invalid_op 0
		.amdhsa_exception_fp_denorm_src 0
		.amdhsa_exception_fp_ieee_div_zero 0
		.amdhsa_exception_fp_ieee_overflow 0
		.amdhsa_exception_fp_ieee_underflow 0
		.amdhsa_exception_fp_ieee_inexact 0
		.amdhsa_exception_int_div_zero 0
	.end_amdhsa_kernel
	.section	.text._ZN9rocsparseL40csr2gebsr_block_per_row_multipass_kernelILj256ELj32ELj32EfEEv20rocsparse_direction_iiiiii21rocsparse_index_base_PKT2_PKiS7_S2_PS3_PiS9_,"axG",@progbits,_ZN9rocsparseL40csr2gebsr_block_per_row_multipass_kernelILj256ELj32ELj32EfEEv20rocsparse_direction_iiiiii21rocsparse_index_base_PKT2_PKiS7_S2_PS3_PiS9_,comdat
.Lfunc_end62:
	.size	_ZN9rocsparseL40csr2gebsr_block_per_row_multipass_kernelILj256ELj32ELj32EfEEv20rocsparse_direction_iiiiii21rocsparse_index_base_PKT2_PKiS7_S2_PS3_PiS9_, .Lfunc_end62-_ZN9rocsparseL40csr2gebsr_block_per_row_multipass_kernelILj256ELj32ELj32EfEEv20rocsparse_direction_iiiiii21rocsparse_index_base_PKT2_PKiS7_S2_PS3_PiS9_
                                        ; -- End function
	.section	.AMDGPU.csdata,"",@progbits
; Kernel info:
; codeLenInByte = 1804
; NumSgprs: 60
; NumVgprs: 33
; NumAgprs: 0
; TotalNumVgprs: 33
; ScratchSize: 0
; MemoryBound: 0
; FloatMode: 240
; IeeeMode: 1
; LDSByteSize: 4100 bytes/workgroup (compile time only)
; SGPRBlocks: 7
; VGPRBlocks: 4
; NumSGPRsForWavesPerEU: 60
; NumVGPRsForWavesPerEU: 33
; AccumOffset: 36
; Occupancy: 8
; WaveLimiterHint : 0
; COMPUTE_PGM_RSRC2:SCRATCH_EN: 0
; COMPUTE_PGM_RSRC2:USER_SGPR: 2
; COMPUTE_PGM_RSRC2:TRAP_HANDLER: 0
; COMPUTE_PGM_RSRC2:TGID_X_EN: 1
; COMPUTE_PGM_RSRC2:TGID_Y_EN: 0
; COMPUTE_PGM_RSRC2:TGID_Z_EN: 0
; COMPUTE_PGM_RSRC2:TIDIG_COMP_CNT: 0
; COMPUTE_PGM_RSRC3_GFX90A:ACCUM_OFFSET: 8
; COMPUTE_PGM_RSRC3_GFX90A:TG_SPLIT: 0
	.section	.text._ZN9rocsparseL40csr2gebsr_block_per_row_multipass_kernelILj256ELj32ELj64EfEEv20rocsparse_direction_iiiiii21rocsparse_index_base_PKT2_PKiS7_S2_PS3_PiS9_,"axG",@progbits,_ZN9rocsparseL40csr2gebsr_block_per_row_multipass_kernelILj256ELj32ELj64EfEEv20rocsparse_direction_iiiiii21rocsparse_index_base_PKT2_PKiS7_S2_PS3_PiS9_,comdat
	.globl	_ZN9rocsparseL40csr2gebsr_block_per_row_multipass_kernelILj256ELj32ELj64EfEEv20rocsparse_direction_iiiiii21rocsparse_index_base_PKT2_PKiS7_S2_PS3_PiS9_ ; -- Begin function _ZN9rocsparseL40csr2gebsr_block_per_row_multipass_kernelILj256ELj32ELj64EfEEv20rocsparse_direction_iiiiii21rocsparse_index_base_PKT2_PKiS7_S2_PS3_PiS9_
	.p2align	8
	.type	_ZN9rocsparseL40csr2gebsr_block_per_row_multipass_kernelILj256ELj32ELj64EfEEv20rocsparse_direction_iiiiii21rocsparse_index_base_PKT2_PKiS7_S2_PS3_PiS9_,@function
_ZN9rocsparseL40csr2gebsr_block_per_row_multipass_kernelILj256ELj32ELj64EfEEv20rocsparse_direction_iiiiii21rocsparse_index_base_PKT2_PKiS7_S2_PS3_PiS9_: ; @_ZN9rocsparseL40csr2gebsr_block_per_row_multipass_kernelILj256ELj32ELj64EfEEv20rocsparse_direction_iiiiii21rocsparse_index_base_PKT2_PKiS7_S2_PS3_PiS9_
; %bb.0:
	s_load_dwordx4 s[20:23], s[0:1], 0x10
	s_load_dwordx2 s[6:7], s[0:1], 0x0
	s_load_dwordx2 s[8:9], s[0:1], 0x28
	v_lshrrev_b32_e32 v1, 3, v0
	v_mov_b32_e32 v24, 0
	s_waitcnt lgkmcnt(0)
	s_mul_i32 s3, s2, s21
	v_add_u32_e32 v2, s3, v1
	v_cmp_gt_i32_e64 s[4:5], s7, v2
	v_cmp_gt_i32_e32 vcc, s21, v1
	s_and_b64 s[4:5], vcc, s[4:5]
	v_mov_b32_e32 v31, 0
	s_and_saveexec_b64 s[10:11], s[4:5]
	s_cbranch_execnz .LBB63_3
; %bb.1:
	s_or_b64 exec, exec, s[10:11]
	s_and_saveexec_b64 s[10:11], s[4:5]
	s_cbranch_execnz .LBB63_4
.LBB63_2:
	s_or_b64 exec, exec, s[10:11]
	s_cmp_lt_i32 s20, 1
	s_cbranch_scc0 .LBB63_5
	s_branch .LBB63_49
.LBB63_3:
	v_ashrrev_i32_e32 v3, 31, v2
	v_lshl_add_u64 v[4:5], v[2:3], 2, s[8:9]
	global_load_dword v3, v[4:5], off
	s_waitcnt vmcnt(0)
	v_subrev_u32_e32 v31, s23, v3
	s_or_b64 exec, exec, s[10:11]
	s_and_saveexec_b64 s[10:11], s[4:5]
	s_cbranch_execz .LBB63_2
.LBB63_4:
	v_ashrrev_i32_e32 v3, 31, v2
	v_lshl_add_u64 v[2:3], v[2:3], 2, s[8:9]
	global_load_dword v2, v[2:3], off offset:4
	s_waitcnt vmcnt(0)
	v_subrev_u32_e32 v24, s23, v2
	s_or_b64 exec, exec, s[10:11]
	s_cmp_lt_i32 s20, 1
	s_cbranch_scc1 .LBB63_49
.LBB63_5:
	s_load_dwordx4 s[8:11], s[0:1], 0x40
	s_load_dwordx2 s[24:25], s[0:1], 0x50
	s_load_dword s33, s[0:1], 0x38
	s_ashr_i32 s3, s2, 31
	s_lshl_b64 s[2:3], s[2:3], 2
	s_waitcnt lgkmcnt(0)
	s_add_u32 s2, s10, s2
	s_addc_u32 s3, s11, s3
	s_load_dword s4, s[2:3], 0x0
	s_load_dwordx2 s[26:27], s[0:1], 0x20
	s_load_dwordx2 s[28:29], s[0:1], 0x30
	v_mbcnt_lo_u32_b32 v2, -1, 0
	v_mbcnt_hi_u32_b32 v2, -1, v2
	s_waitcnt lgkmcnt(0)
	s_sub_i32 s30, s4, s33
	v_mul_lo_u32 v6, v1, s22
	v_and_b32_e32 v25, 7, v0
	v_lshl_or_b32 v28, v2, 2, 28
	s_cmp_eq_u32 s6, 0
	v_lshlrev_b32_e32 v2, 2, v1
	v_mov_b32_e32 v3, 0
	v_ashrrev_i32_e32 v7, 31, v6
	s_cselect_b64 s[0:1], -1, 0
	s_ashr_i32 s64, s22, 31
	v_lshl_add_u64 v[4:5], s[8:9], 0, v[2:3]
	v_lshl_add_u64 v[6:7], v[6:7], 2, s[8:9]
	v_lshlrev_b32_e32 v2, 2, v25
	s_mul_hi_u32 s2, s22, s21
	s_mul_i32 s3, s64, s21
	s_mul_i32 s66, s22, s21
	v_lshl_add_u64 v[6:7], v[6:7], 0, v[2:3]
	v_mul_lo_u32 v2, v25, s21
	s_lshl_b32 s31, s21, 3
	s_abs_i32 s21, s22
	v_cvt_f32_u32_e32 v18, s21
	v_lshlrev_b32_e32 v26, 6, v1
	s_add_i32 s65, s2, s3
	s_movk_i32 s2, 0x80
	v_lshlrev_b32_e32 v29, 2, v0
	v_cmp_gt_u32_e64 s[2:3], s2, v0
	v_cmp_gt_u32_e64 s[4:5], 64, v0
	;; [unrolled: 1-line block ×7, first 2 shown]
	v_cmp_eq_u32_e64 s[16:17], 0, v0
	v_or_b32_e32 v0, v26, v25
	v_lshlrev_b32_e32 v30, 2, v0
	v_cmp_gt_u32_e64 s[18:19], s22, v25
	v_or_b32_e32 v0, 8, v25
	v_rcp_iflag_f32_e32 v18, v18
	s_and_b64 s[34:35], vcc, s[18:19]
	v_cmp_gt_u32_e64 s[18:19], s22, v0
	v_or_b32_e32 v8, 16, v25
	s_and_b64 s[36:37], vcc, s[18:19]
	v_cmp_gt_u32_e64 s[18:19], s22, v8
	v_or_b32_e32 v10, 24, v25
	;; [unrolled: 3-line block ×4, first 2 shown]
	v_mul_f32_e32 v18, 0x4f7ffffe, v18
	v_add_u32_e32 v0, s31, v2
	s_and_b64 s[42:43], vcc, s[18:19]
	v_cmp_gt_u32_e64 s[18:19], s22, v14
	v_or_b32_e32 v16, 48, v25
	v_cvt_u32_f32_e32 v20, v18
	v_add_u32_e32 v8, s31, v0
	s_and_b64 s[44:45], vcc, s[18:19]
	v_cmp_gt_u32_e64 s[18:19], s22, v16
	v_or_b32_e32 v19, 56, v25
	v_add_u32_e32 v10, s31, v8
	s_and_b64 s[46:47], vcc, s[18:19]
	v_cmp_gt_u32_e64 s[18:19], s22, v19
	v_add_u32_e32 v12, s31, v10
	s_and_b64 s[48:49], vcc, s[18:19]
	s_sub_i32 s18, 0, s21
	v_add_u32_e32 v14, s31, v12
	v_mul_lo_u32 v21, s18, v20
	v_add_u32_e32 v16, s31, v14
	v_mul_hi_u32 v21, v20, v21
	v_mov_b32_e32 v27, 0
	v_mov_b32_e32 v1, v3
	v_mov_b32_e32 v9, v3
	v_mov_b32_e32 v11, v3
	v_mov_b32_e32 v13, v3
	v_mov_b32_e32 v15, v3
	v_mov_b32_e32 v17, v3
	v_add_u32_e32 v18, s31, v16
	v_mov_b32_e32 v19, v3
	v_add_u32_e32 v32, v20, v21
	s_mov_b64 s[50:51], 0x60
	s_mov_b64 s[52:53], 0x80
	;; [unrolled: 1-line block ×5, first 2 shown]
	v_mov_b32_e32 v33, 1
	v_mov_b32_e32 v22, 0
	s_branch .LBB63_7
.LBB63_6:                               ;   in Loop: Header=BB63_7 Depth=1
	s_or_b64 exec, exec, s[18:19]
	s_waitcnt lgkmcnt(0)
	s_barrier
	ds_read_b32 v22, v3
	s_add_i32 s30, s31, s30
	s_waitcnt lgkmcnt(0)
	s_barrier
	v_cmp_gt_i32_e32 vcc, s20, v22
	s_cbranch_vccz .LBB63_49
.LBB63_7:                               ; =>This Loop Header: Depth=1
                                        ;     Child Loop BB63_10 Depth 2
	v_add_u32_e32 v20, v31, v25
	v_cmp_lt_i32_e32 vcc, v20, v24
	v_mov_b32_e32 v34, s20
	v_mov_b32_e32 v31, v24
	ds_write_b8 v3, v27 offset:8192
	ds_write2_b32 v30, v3, v3 offset1:8
	ds_write2_b32 v30, v3, v3 offset0:16 offset1:24
	ds_write2_b32 v30, v3, v3 offset0:32 offset1:40
	;; [unrolled: 1-line block ×3, first 2 shown]
	s_waitcnt lgkmcnt(0)
	s_barrier
	s_and_saveexec_b64 s[60:61], vcc
	s_cbranch_execz .LBB63_15
; %bb.8:                                ;   in Loop: Header=BB63_7 Depth=1
	v_mul_lo_u32 v23, v22, s22
	s_mov_b64 s[62:63], 0
	v_mov_b32_e32 v34, s20
	v_mov_b32_e32 v31, v24
	s_branch .LBB63_10
.LBB63_9:                               ;   in Loop: Header=BB63_10 Depth=2
	s_or_b64 exec, exec, s[18:19]
	v_add_u32_e32 v20, 8, v20
	v_cmp_ge_i32_e64 s[18:19], v20, v24
	s_xor_b64 s[68:69], vcc, -1
	s_or_b64 s[18:19], s[68:69], s[18:19]
	s_and_b64 s[18:19], exec, s[18:19]
	s_or_b64 s[62:63], s[18:19], s[62:63]
	s_andn2_b64 exec, exec, s[62:63]
	s_cbranch_execz .LBB63_14
.LBB63_10:                              ;   Parent Loop BB63_7 Depth=1
                                        ; =>  This Inner Loop Header: Depth=2
	v_ashrrev_i32_e32 v21, 31, v20
	v_lshl_add_u64 v[36:37], v[20:21], 2, s[28:29]
	global_load_dword v35, v[36:37], off
	s_waitcnt vmcnt(0)
	v_subrev_u32_e32 v35, s23, v35
	v_sub_u32_e32 v37, 0, v35
	v_max_i32_e32 v37, v35, v37
	v_mul_hi_u32 v38, v37, v32
	v_mul_lo_u32 v39, v38, s21
	v_sub_u32_e32 v37, v37, v39
	v_add_u32_e32 v40, 1, v38
	v_cmp_le_u32_e32 vcc, s21, v37
	v_subrev_u32_e32 v39, s21, v37
	v_ashrrev_i32_e32 v36, 31, v35
	v_cndmask_b32_e32 v38, v38, v40, vcc
	v_cndmask_b32_e32 v37, v37, v39, vcc
	v_add_u32_e32 v39, 1, v38
	v_cmp_le_u32_e32 vcc, s21, v37
	v_xor_b32_e32 v36, s64, v36
	s_nop 0
	v_cndmask_b32_e32 v37, v38, v39, vcc
	v_xor_b32_e32 v37, v37, v36
	v_sub_u32_e32 v37, v37, v36
	v_cmp_eq_u32_e32 vcc, v37, v22
	v_cmp_ne_u32_e64 s[18:19], v37, v22
	v_mov_b32_e32 v36, v31
	s_and_saveexec_b64 s[68:69], s[18:19]
	s_xor_b64 s[18:19], exec, s[68:69]
; %bb.11:                               ;   in Loop: Header=BB63_10 Depth=2
	v_min_i32_e32 v34, v37, v34
                                        ; implicit-def: $vgpr35
                                        ; implicit-def: $vgpr36
; %bb.12:                               ;   in Loop: Header=BB63_10 Depth=2
	s_or_saveexec_b64 s[18:19], s[18:19]
	v_mov_b32_e32 v31, v20
	s_xor_b64 exec, exec, s[18:19]
	s_cbranch_execz .LBB63_9
; %bb.13:                               ;   in Loop: Header=BB63_10 Depth=2
	v_lshl_add_u64 v[38:39], v[20:21], 2, s[26:27]
	global_load_dword v21, v[38:39], off
	v_sub_u32_e32 v31, v35, v23
	v_add_lshl_u32 v31, v31, v26, 2
	ds_write_b8 v3, v33 offset:8192
	s_waitcnt vmcnt(0)
	ds_write_b32 v31, v21
	v_mov_b32_e32 v31, v36
	s_branch .LBB63_9
.LBB63_14:                              ;   in Loop: Header=BB63_7 Depth=1
	s_or_b64 exec, exec, s[62:63]
.LBB63_15:                              ;   in Loop: Header=BB63_7 Depth=1
	s_or_b64 exec, exec, s[60:61]
	v_mov_b32_dpp v20, v31 row_shr:1 row_mask:0xf bank_mask:0xf
	v_min_i32_e32 v20, v20, v31
	s_waitcnt lgkmcnt(0)
	s_barrier
	v_mov_b32_dpp v21, v20 row_shr:2 row_mask:0xf bank_mask:0xf
	v_min_i32_e32 v20, v21, v20
	ds_read_u8 v21, v3 offset:8192
	s_nop 0
	v_mov_b32_dpp v23, v20 row_shr:4 row_mask:0xf bank_mask:0xe
	v_min_i32_e32 v20, v23, v20
	ds_bpermute_b32 v31, v28, v20
	s_mov_b32 s31, 0
	s_waitcnt lgkmcnt(1)
	v_cmp_eq_u32_e32 vcc, 0, v21
	s_cbranch_vccnz .LBB63_26
; %bb.16:                               ;   in Loop: Header=BB63_7 Depth=1
	s_ashr_i32 s31, s30, 31
	s_lshl_b64 s[18:19], s[30:31], 2
	s_add_u32 s18, s24, s18
	v_add_u32_e32 v20, s33, v22
	s_addc_u32 s19, s25, s19
	global_store_dword v3, v20, s[18:19]
	s_mul_hi_u32 s18, s66, s30
	s_mul_i32 s19, s66, s31
	s_add_i32 s18, s18, s19
	s_mul_i32 s19, s65, s30
	s_add_i32 s19, s18, s19
	s_mul_i32 s18, s66, s30
	s_lshl_b64 s[18:19], s[18:19], 2
	v_lshl_add_u64 v[20:21], v[4:5], 0, s[18:19]
	v_lshl_add_u64 v[22:23], v[6:7], 0, s[18:19]
	s_and_saveexec_b64 s[18:19], s[34:35]
	s_cbranch_execnz .LBB63_42
; %bb.17:                               ;   in Loop: Header=BB63_7 Depth=1
	s_or_b64 exec, exec, s[18:19]
	s_and_saveexec_b64 s[18:19], s[36:37]
	s_cbranch_execnz .LBB63_43
.LBB63_18:                              ;   in Loop: Header=BB63_7 Depth=1
	s_or_b64 exec, exec, s[18:19]
	s_and_saveexec_b64 s[18:19], s[38:39]
	s_cbranch_execnz .LBB63_44
.LBB63_19:                              ;   in Loop: Header=BB63_7 Depth=1
	s_or_b64 exec, exec, s[18:19]
	s_and_saveexec_b64 s[18:19], s[40:41]
	s_cbranch_execnz .LBB63_45
.LBB63_20:                              ;   in Loop: Header=BB63_7 Depth=1
	s_or_b64 exec, exec, s[18:19]
	s_and_saveexec_b64 s[18:19], s[42:43]
	s_cbranch_execnz .LBB63_46
.LBB63_21:                              ;   in Loop: Header=BB63_7 Depth=1
	s_or_b64 exec, exec, s[18:19]
	s_and_saveexec_b64 s[18:19], s[44:45]
	s_cbranch_execnz .LBB63_47
.LBB63_22:                              ;   in Loop: Header=BB63_7 Depth=1
	s_or_b64 exec, exec, s[18:19]
	s_and_saveexec_b64 s[18:19], s[46:47]
	s_cbranch_execnz .LBB63_48
.LBB63_23:                              ;   in Loop: Header=BB63_7 Depth=1
	s_or_b64 exec, exec, s[18:19]
	s_and_saveexec_b64 s[18:19], s[48:49]
	s_cbranch_execz .LBB63_25
.LBB63_24:                              ;   in Loop: Header=BB63_7 Depth=1
	ds_read_b32 v35, v30 offset:224
	v_lshl_add_u64 v[22:23], v[22:23], 0, s[58:59]
	v_lshl_add_u64 v[20:21], v[18:19], 2, v[20:21]
	v_cndmask_b32_e64 v21, v21, v23, s[0:1]
	v_cndmask_b32_e64 v20, v20, v22, s[0:1]
	s_waitcnt lgkmcnt(0)
	global_store_dword v[20:21], v35, off
.LBB63_25:                              ;   in Loop: Header=BB63_7 Depth=1
	s_or_b64 exec, exec, s[18:19]
	s_mov_b32 s31, 1
.LBB63_26:                              ;   in Loop: Header=BB63_7 Depth=1
	s_waitcnt lgkmcnt(0)
	s_barrier
	ds_write_b32 v29, v34
	s_waitcnt lgkmcnt(0)
	s_barrier
	s_and_saveexec_b64 s[18:19], s[2:3]
	s_cbranch_execz .LBB63_28
; %bb.27:                               ;   in Loop: Header=BB63_7 Depth=1
	ds_read2st64_b32 v[20:21], v29 offset1:2
	s_waitcnt lgkmcnt(0)
	v_min_i32_e32 v20, v21, v20
	ds_write_b32 v29, v20
.LBB63_28:                              ;   in Loop: Header=BB63_7 Depth=1
	s_or_b64 exec, exec, s[18:19]
	s_waitcnt lgkmcnt(0)
	s_barrier
	s_and_saveexec_b64 s[18:19], s[4:5]
	s_cbranch_execz .LBB63_30
; %bb.29:                               ;   in Loop: Header=BB63_7 Depth=1
	ds_read2st64_b32 v[20:21], v29 offset1:1
	s_waitcnt lgkmcnt(0)
	v_min_i32_e32 v20, v21, v20
	ds_write_b32 v29, v20
.LBB63_30:                              ;   in Loop: Header=BB63_7 Depth=1
	s_or_b64 exec, exec, s[18:19]
	s_waitcnt lgkmcnt(0)
	s_barrier
	s_and_saveexec_b64 s[18:19], s[6:7]
	s_cbranch_execz .LBB63_32
; %bb.31:                               ;   in Loop: Header=BB63_7 Depth=1
	ds_read2_b32 v[20:21], v29 offset1:32
	s_waitcnt lgkmcnt(0)
	v_min_i32_e32 v20, v21, v20
	ds_write_b32 v29, v20
.LBB63_32:                              ;   in Loop: Header=BB63_7 Depth=1
	s_or_b64 exec, exec, s[18:19]
	s_waitcnt lgkmcnt(0)
	s_barrier
	s_and_saveexec_b64 s[18:19], s[8:9]
	s_cbranch_execz .LBB63_34
; %bb.33:                               ;   in Loop: Header=BB63_7 Depth=1
	ds_read2_b32 v[20:21], v29 offset1:16
	s_waitcnt lgkmcnt(0)
	v_min_i32_e32 v20, v21, v20
	ds_write_b32 v29, v20
.LBB63_34:                              ;   in Loop: Header=BB63_7 Depth=1
	;; [unrolled: 11-line block ×5, first 2 shown]
	s_or_b64 exec, exec, s[18:19]
	s_waitcnt lgkmcnt(0)
	s_barrier
	s_and_saveexec_b64 s[18:19], s[16:17]
	s_cbranch_execz .LBB63_6
; %bb.41:                               ;   in Loop: Header=BB63_7 Depth=1
	ds_read_b64 v[20:21], v3
	s_waitcnt lgkmcnt(0)
	v_min_i32_e32 v20, v21, v20
	ds_write_b32 v3, v20
	s_branch .LBB63_6
.LBB63_42:                              ;   in Loop: Header=BB63_7 Depth=1
	ds_read_b32 v35, v30
	v_lshl_add_u64 v[36:37], v[2:3], 2, v[20:21]
	v_cndmask_b32_e64 v37, v37, v23, s[0:1]
	v_cndmask_b32_e64 v36, v36, v22, s[0:1]
	s_waitcnt lgkmcnt(0)
	global_store_dword v[36:37], v35, off
	s_or_b64 exec, exec, s[18:19]
	s_and_saveexec_b64 s[18:19], s[36:37]
	s_cbranch_execz .LBB63_18
.LBB63_43:                              ;   in Loop: Header=BB63_7 Depth=1
	ds_read_b32 v35, v30 offset:32
	v_lshl_add_u64 v[36:37], v[22:23], 0, 32
	v_lshl_add_u64 v[38:39], v[0:1], 2, v[20:21]
	v_cndmask_b32_e64 v37, v39, v37, s[0:1]
	v_cndmask_b32_e64 v36, v38, v36, s[0:1]
	s_waitcnt lgkmcnt(0)
	global_store_dword v[36:37], v35, off
	s_or_b64 exec, exec, s[18:19]
	s_and_saveexec_b64 s[18:19], s[38:39]
	s_cbranch_execz .LBB63_19
.LBB63_44:                              ;   in Loop: Header=BB63_7 Depth=1
	ds_read_b32 v35, v30 offset:64
	v_lshl_add_u64 v[36:37], v[22:23], 0, 64
	v_lshl_add_u64 v[38:39], v[8:9], 2, v[20:21]
	v_cndmask_b32_e64 v37, v39, v37, s[0:1]
	v_cndmask_b32_e64 v36, v38, v36, s[0:1]
	s_waitcnt lgkmcnt(0)
	global_store_dword v[36:37], v35, off
	s_or_b64 exec, exec, s[18:19]
	s_and_saveexec_b64 s[18:19], s[40:41]
	s_cbranch_execz .LBB63_20
.LBB63_45:                              ;   in Loop: Header=BB63_7 Depth=1
	ds_read_b32 v35, v30 offset:96
	v_lshl_add_u64 v[36:37], v[22:23], 0, s[50:51]
	v_lshl_add_u64 v[38:39], v[10:11], 2, v[20:21]
	v_cndmask_b32_e64 v37, v39, v37, s[0:1]
	v_cndmask_b32_e64 v36, v38, v36, s[0:1]
	s_waitcnt lgkmcnt(0)
	global_store_dword v[36:37], v35, off
	s_or_b64 exec, exec, s[18:19]
	s_and_saveexec_b64 s[18:19], s[42:43]
	s_cbranch_execz .LBB63_21
.LBB63_46:                              ;   in Loop: Header=BB63_7 Depth=1
	ds_read_b32 v35, v30 offset:128
	v_lshl_add_u64 v[36:37], v[22:23], 0, s[52:53]
	v_lshl_add_u64 v[38:39], v[12:13], 2, v[20:21]
	v_cndmask_b32_e64 v37, v39, v37, s[0:1]
	v_cndmask_b32_e64 v36, v38, v36, s[0:1]
	s_waitcnt lgkmcnt(0)
	global_store_dword v[36:37], v35, off
	s_or_b64 exec, exec, s[18:19]
	s_and_saveexec_b64 s[18:19], s[44:45]
	s_cbranch_execz .LBB63_22
.LBB63_47:                              ;   in Loop: Header=BB63_7 Depth=1
	ds_read_b32 v35, v30 offset:160
	v_lshl_add_u64 v[36:37], v[22:23], 0, s[54:55]
	v_lshl_add_u64 v[38:39], v[14:15], 2, v[20:21]
	v_cndmask_b32_e64 v37, v39, v37, s[0:1]
	v_cndmask_b32_e64 v36, v38, v36, s[0:1]
	s_waitcnt lgkmcnt(0)
	global_store_dword v[36:37], v35, off
	s_or_b64 exec, exec, s[18:19]
	s_and_saveexec_b64 s[18:19], s[46:47]
	s_cbranch_execz .LBB63_23
.LBB63_48:                              ;   in Loop: Header=BB63_7 Depth=1
	ds_read_b32 v35, v30 offset:192
	v_lshl_add_u64 v[36:37], v[22:23], 0, s[56:57]
	v_lshl_add_u64 v[38:39], v[16:17], 2, v[20:21]
	v_cndmask_b32_e64 v37, v39, v37, s[0:1]
	v_cndmask_b32_e64 v36, v38, v36, s[0:1]
	s_waitcnt lgkmcnt(0)
	global_store_dword v[36:37], v35, off
	s_or_b64 exec, exec, s[18:19]
	s_and_saveexec_b64 s[18:19], s[48:49]
	s_cbranch_execnz .LBB63_24
	s_branch .LBB63_25
.LBB63_49:
	s_endpgm
	.section	.rodata,"a",@progbits
	.p2align	6, 0x0
	.amdhsa_kernel _ZN9rocsparseL40csr2gebsr_block_per_row_multipass_kernelILj256ELj32ELj64EfEEv20rocsparse_direction_iiiiii21rocsparse_index_base_PKT2_PKiS7_S2_PS3_PiS9_
		.amdhsa_group_segment_fixed_size 8196
		.amdhsa_private_segment_fixed_size 0
		.amdhsa_kernarg_size 88
		.amdhsa_user_sgpr_count 2
		.amdhsa_user_sgpr_dispatch_ptr 0
		.amdhsa_user_sgpr_queue_ptr 0
		.amdhsa_user_sgpr_kernarg_segment_ptr 1
		.amdhsa_user_sgpr_dispatch_id 0
		.amdhsa_user_sgpr_kernarg_preload_length 0
		.amdhsa_user_sgpr_kernarg_preload_offset 0
		.amdhsa_user_sgpr_private_segment_size 0
		.amdhsa_uses_dynamic_stack 0
		.amdhsa_enable_private_segment 0
		.amdhsa_system_sgpr_workgroup_id_x 1
		.amdhsa_system_sgpr_workgroup_id_y 0
		.amdhsa_system_sgpr_workgroup_id_z 0
		.amdhsa_system_sgpr_workgroup_info 0
		.amdhsa_system_vgpr_workitem_id 0
		.amdhsa_next_free_vgpr 41
		.amdhsa_next_free_sgpr 70
		.amdhsa_accum_offset 44
		.amdhsa_reserve_vcc 1
		.amdhsa_float_round_mode_32 0
		.amdhsa_float_round_mode_16_64 0
		.amdhsa_float_denorm_mode_32 3
		.amdhsa_float_denorm_mode_16_64 3
		.amdhsa_dx10_clamp 1
		.amdhsa_ieee_mode 1
		.amdhsa_fp16_overflow 0
		.amdhsa_tg_split 0
		.amdhsa_exception_fp_ieee_invalid_op 0
		.amdhsa_exception_fp_denorm_src 0
		.amdhsa_exception_fp_ieee_div_zero 0
		.amdhsa_exception_fp_ieee_overflow 0
		.amdhsa_exception_fp_ieee_underflow 0
		.amdhsa_exception_fp_ieee_inexact 0
		.amdhsa_exception_int_div_zero 0
	.end_amdhsa_kernel
	.section	.text._ZN9rocsparseL40csr2gebsr_block_per_row_multipass_kernelILj256ELj32ELj64EfEEv20rocsparse_direction_iiiiii21rocsparse_index_base_PKT2_PKiS7_S2_PS3_PiS9_,"axG",@progbits,_ZN9rocsparseL40csr2gebsr_block_per_row_multipass_kernelILj256ELj32ELj64EfEEv20rocsparse_direction_iiiiii21rocsparse_index_base_PKT2_PKiS7_S2_PS3_PiS9_,comdat
.Lfunc_end63:
	.size	_ZN9rocsparseL40csr2gebsr_block_per_row_multipass_kernelILj256ELj32ELj64EfEEv20rocsparse_direction_iiiiii21rocsparse_index_base_PKT2_PKiS7_S2_PS3_PiS9_, .Lfunc_end63-_ZN9rocsparseL40csr2gebsr_block_per_row_multipass_kernelILj256ELj32ELj64EfEEv20rocsparse_direction_iiiiii21rocsparse_index_base_PKT2_PKiS7_S2_PS3_PiS9_
                                        ; -- End function
	.section	.AMDGPU.csdata,"",@progbits
; Kernel info:
; codeLenInByte = 2252
; NumSgprs: 76
; NumVgprs: 41
; NumAgprs: 0
; TotalNumVgprs: 41
; ScratchSize: 0
; MemoryBound: 0
; FloatMode: 240
; IeeeMode: 1
; LDSByteSize: 8196 bytes/workgroup (compile time only)
; SGPRBlocks: 9
; VGPRBlocks: 5
; NumSGPRsForWavesPerEU: 76
; NumVGPRsForWavesPerEU: 41
; AccumOffset: 44
; Occupancy: 7
; WaveLimiterHint : 0
; COMPUTE_PGM_RSRC2:SCRATCH_EN: 0
; COMPUTE_PGM_RSRC2:USER_SGPR: 2
; COMPUTE_PGM_RSRC2:TRAP_HANDLER: 0
; COMPUTE_PGM_RSRC2:TGID_X_EN: 1
; COMPUTE_PGM_RSRC2:TGID_Y_EN: 0
; COMPUTE_PGM_RSRC2:TGID_Z_EN: 0
; COMPUTE_PGM_RSRC2:TIDIG_COMP_CNT: 0
; COMPUTE_PGM_RSRC3_GFX90A:ACCUM_OFFSET: 10
; COMPUTE_PGM_RSRC3_GFX90A:TG_SPLIT: 0
	.section	.text._ZN9rocsparseL40csr2gebsr_block_per_row_multipass_kernelILj128ELj64ELj2EfEEv20rocsparse_direction_iiiiii21rocsparse_index_base_PKT2_PKiS7_S2_PS3_PiS9_,"axG",@progbits,_ZN9rocsparseL40csr2gebsr_block_per_row_multipass_kernelILj128ELj64ELj2EfEEv20rocsparse_direction_iiiiii21rocsparse_index_base_PKT2_PKiS7_S2_PS3_PiS9_,comdat
	.globl	_ZN9rocsparseL40csr2gebsr_block_per_row_multipass_kernelILj128ELj64ELj2EfEEv20rocsparse_direction_iiiiii21rocsparse_index_base_PKT2_PKiS7_S2_PS3_PiS9_ ; -- Begin function _ZN9rocsparseL40csr2gebsr_block_per_row_multipass_kernelILj128ELj64ELj2EfEEv20rocsparse_direction_iiiiii21rocsparse_index_base_PKT2_PKiS7_S2_PS3_PiS9_
	.p2align	8
	.type	_ZN9rocsparseL40csr2gebsr_block_per_row_multipass_kernelILj128ELj64ELj2EfEEv20rocsparse_direction_iiiiii21rocsparse_index_base_PKT2_PKiS7_S2_PS3_PiS9_,@function
_ZN9rocsparseL40csr2gebsr_block_per_row_multipass_kernelILj128ELj64ELj2EfEEv20rocsparse_direction_iiiiii21rocsparse_index_base_PKT2_PKiS7_S2_PS3_PiS9_: ; @_ZN9rocsparseL40csr2gebsr_block_per_row_multipass_kernelILj128ELj64ELj2EfEEv20rocsparse_direction_iiiiii21rocsparse_index_base_PKT2_PKiS7_S2_PS3_PiS9_
; %bb.0:
	s_load_dwordx4 s[16:19], s[0:1], 0x10
	s_load_dwordx2 s[8:9], s[0:1], 0x0
	s_load_dwordx2 s[6:7], s[0:1], 0x28
	v_lshrrev_b32_e32 v1, 1, v0
	v_mov_b32_e32 v6, 0
	s_waitcnt lgkmcnt(0)
	s_mul_i32 s3, s2, s17
	v_add_u32_e32 v2, s3, v1
	v_cmp_gt_i32_e64 s[4:5], s9, v2
	v_cmp_gt_i32_e32 vcc, s17, v1
	s_and_b64 s[4:5], vcc, s[4:5]
	v_mov_b32_e32 v4, 0
	s_and_saveexec_b64 s[10:11], s[4:5]
	s_cbranch_execnz .LBB64_3
; %bb.1:
	s_or_b64 exec, exec, s[10:11]
	s_and_saveexec_b64 s[10:11], s[4:5]
	s_cbranch_execnz .LBB64_4
.LBB64_2:
	s_or_b64 exec, exec, s[10:11]
	s_cmp_lt_i32 s16, 1
	s_cbranch_scc0 .LBB64_5
	s_branch .LBB64_33
.LBB64_3:
	v_ashrrev_i32_e32 v3, 31, v2
	v_lshl_add_u64 v[4:5], v[2:3], 2, s[6:7]
	global_load_dword v3, v[4:5], off
	s_waitcnt vmcnt(0)
	v_subrev_u32_e32 v4, s19, v3
	s_or_b64 exec, exec, s[10:11]
	s_and_saveexec_b64 s[10:11], s[4:5]
	s_cbranch_execz .LBB64_2
.LBB64_4:
	v_ashrrev_i32_e32 v3, 31, v2
	v_lshl_add_u64 v[2:3], v[2:3], 2, s[6:7]
	global_load_dword v2, v[2:3], off offset:4
	s_waitcnt vmcnt(0)
	v_subrev_u32_e32 v6, s19, v2
	s_or_b64 exec, exec, s[10:11]
	s_cmp_lt_i32 s16, 1
	s_cbranch_scc1 .LBB64_33
.LBB64_5:
	s_load_dwordx4 s[4:7], s[0:1], 0x40
	s_load_dwordx2 s[20:21], s[0:1], 0x50
	s_load_dword s33, s[0:1], 0x38
	s_ashr_i32 s3, s2, 31
	s_lshl_b64 s[2:3], s[2:3], 2
	s_waitcnt lgkmcnt(0)
	s_add_u32 s2, s6, s2
	s_addc_u32 s3, s7, s3
	s_load_dword s6, s[2:3], 0x0
	s_load_dwordx2 s[22:23], s[0:1], 0x20
	s_load_dwordx2 s[24:25], s[0:1], 0x30
	v_and_b32_e32 v7, 1, v0
	v_cmp_gt_u32_e64 s[0:1], s18, v7
	s_waitcnt lgkmcnt(0)
	s_sub_i32 s26, s6, s33
	v_mbcnt_lo_u32_b32 v2, -1, 0
	s_and_b64 s[28:29], vcc, s[0:1]
	v_mbcnt_hi_u32_b32 v2, -1, v2
	s_cmp_eq_u32 s8, 0
	v_lshl_or_b32 v11, v2, 2, 4
	v_mul_lo_u32 v2, v7, s17
	v_mov_b32_e32 v3, 0
	s_cselect_b64 vcc, -1, 0
	s_abs_i32 s38, s18
	v_lshl_add_u64 v[12:13], v[2:3], 2, s[4:5]
	v_lshlrev_b32_e32 v2, 2, v1
	v_mul_lo_u32 v14, v1, s18
	v_cvt_f32_u32_e32 v1, s38
	s_ashr_i32 s36, s18, 31
	v_ashrrev_i32_e32 v15, 31, v14
	s_mul_hi_u32 s0, s18, s17
	v_rcp_iflag_f32_e32 v1, v1
	s_mul_i32 s1, s36, s17
	v_lshlrev_b32_e32 v8, 2, v0
	v_and_b32_e32 v9, 0x7e, v0
	v_lshl_add_u64 v[12:13], v[12:13], 0, v[2:3]
	v_lshl_add_u64 v[14:15], v[14:15], 2, s[4:5]
	v_lshlrev_b32_e32 v2, 2, v7
	s_add_i32 s37, s0, s1
	v_cmp_gt_u32_e64 s[0:1], 64, v0
	v_cmp_gt_u32_e64 s[2:3], 32, v0
	v_cmp_gt_u32_e64 s[4:5], 16, v0
	v_cmp_gt_u32_e64 s[6:7], 8, v0
	v_cmp_gt_u32_e64 s[8:9], 4, v0
	v_cmp_gt_u32_e64 s[10:11], 2, v0
	v_cmp_eq_u32_e64 s[12:13], 0, v0
	v_mul_f32_e32 v0, 0x4f7ffffe, v1
	v_lshl_add_u64 v[14:15], v[14:15], 0, v[2:3]
	v_cvt_u32_f32_e32 v2, v0
	s_sub_i32 s14, 0, s38
	v_mov_b32_e32 v10, 0
	s_mul_i32 s17, s18, s17
	v_mul_lo_u32 v5, s14, v2
	v_mul_hi_u32 v5, v2, v5
	v_cndmask_b32_e32 v1, v13, v15, vcc
	v_cndmask_b32_e32 v0, v12, v14, vcc
	v_add_u32_e32 v2, v2, v5
	v_mov_b32_e32 v12, 1
	v_mov_b32_e32 v14, 0
	s_branch .LBB64_7
.LBB64_6:                               ;   in Loop: Header=BB64_7 Depth=1
	s_or_b64 exec, exec, s[14:15]
	s_waitcnt lgkmcnt(0)
	s_barrier
	ds_read_b32 v14, v3
	s_add_i32 s26, s27, s26
	s_waitcnt lgkmcnt(0)
	s_barrier
	v_cmp_gt_i32_e32 vcc, s16, v14
	s_cbranch_vccz .LBB64_33
.LBB64_7:                               ; =>This Loop Header: Depth=1
                                        ;     Child Loop BB64_10 Depth 2
	v_add_u32_e32 v4, v4, v7
	v_cmp_lt_i32_e32 vcc, v4, v6
	v_mov_b32_e32 v13, s16
	v_mov_b32_e32 v16, v6
	ds_write_b8 v3, v10 offset:512
	ds_write_b32 v8, v3
	s_waitcnt lgkmcnt(0)
	s_barrier
	s_and_saveexec_b64 s[30:31], vcc
	s_cbranch_execz .LBB64_15
; %bb.8:                                ;   in Loop: Header=BB64_7 Depth=1
	v_mul_lo_u32 v15, v14, s18
	s_mov_b64 s[34:35], 0
	v_mov_b32_e32 v13, s16
	v_mov_b32_e32 v16, v6
	s_branch .LBB64_10
.LBB64_9:                               ;   in Loop: Header=BB64_10 Depth=2
	s_or_b64 exec, exec, s[14:15]
	v_add_u32_e32 v4, 2, v4
	v_cmp_ge_i32_e64 s[14:15], v4, v6
	s_xor_b64 s[40:41], vcc, -1
	s_or_b64 s[14:15], s[40:41], s[14:15]
	s_and_b64 s[14:15], exec, s[14:15]
	s_or_b64 s[34:35], s[14:15], s[34:35]
	s_andn2_b64 exec, exec, s[34:35]
	s_cbranch_execz .LBB64_14
.LBB64_10:                              ;   Parent Loop BB64_7 Depth=1
                                        ; =>  This Inner Loop Header: Depth=2
	v_ashrrev_i32_e32 v5, 31, v4
	v_lshl_add_u64 v[18:19], v[4:5], 2, s[24:25]
	global_load_dword v17, v[18:19], off
	s_waitcnt vmcnt(0)
	v_subrev_u32_e32 v17, s19, v17
	v_sub_u32_e32 v19, 0, v17
	v_max_i32_e32 v19, v17, v19
	v_mul_hi_u32 v20, v19, v2
	v_mul_lo_u32 v21, v20, s38
	v_sub_u32_e32 v19, v19, v21
	v_add_u32_e32 v22, 1, v20
	v_cmp_le_u32_e32 vcc, s38, v19
	v_subrev_u32_e32 v21, s38, v19
	v_ashrrev_i32_e32 v18, 31, v17
	v_cndmask_b32_e32 v20, v20, v22, vcc
	v_cndmask_b32_e32 v19, v19, v21, vcc
	v_add_u32_e32 v21, 1, v20
	v_cmp_le_u32_e32 vcc, s38, v19
	v_xor_b32_e32 v18, s36, v18
	s_nop 0
	v_cndmask_b32_e32 v19, v20, v21, vcc
	v_xor_b32_e32 v19, v19, v18
	v_sub_u32_e32 v19, v19, v18
	v_cmp_eq_u32_e32 vcc, v19, v14
	v_cmp_ne_u32_e64 s[14:15], v19, v14
	v_mov_b32_e32 v18, v16
	s_and_saveexec_b64 s[40:41], s[14:15]
	s_xor_b64 s[14:15], exec, s[40:41]
; %bb.11:                               ;   in Loop: Header=BB64_10 Depth=2
	v_min_i32_e32 v13, v19, v13
                                        ; implicit-def: $vgpr17
                                        ; implicit-def: $vgpr18
; %bb.12:                               ;   in Loop: Header=BB64_10 Depth=2
	s_or_saveexec_b64 s[14:15], s[14:15]
	v_mov_b32_e32 v16, v4
	s_xor_b64 exec, exec, s[14:15]
	s_cbranch_execz .LBB64_9
; %bb.13:                               ;   in Loop: Header=BB64_10 Depth=2
	v_lshl_add_u64 v[20:21], v[4:5], 2, s[22:23]
	global_load_dword v5, v[20:21], off
	v_sub_u32_e32 v16, v17, v15
	v_add_lshl_u32 v16, v16, v9, 2
	ds_write_b8 v3, v12 offset:512
	s_waitcnt vmcnt(0)
	ds_write_b32 v16, v5
	v_mov_b32_e32 v16, v18
	s_branch .LBB64_9
.LBB64_14:                              ;   in Loop: Header=BB64_7 Depth=1
	s_or_b64 exec, exec, s[34:35]
.LBB64_15:                              ;   in Loop: Header=BB64_7 Depth=1
	s_or_b64 exec, exec, s[30:31]
	s_waitcnt lgkmcnt(0)
	s_barrier
	ds_read_u8 v5, v3 offset:512
	v_mov_b32_dpp v4, v16 row_shr:1 row_mask:0xf bank_mask:0xf
	v_min_i32_e32 v4, v4, v16
	ds_bpermute_b32 v4, v11, v4
	s_mov_b32 s27, 0
	s_waitcnt lgkmcnt(1)
	v_cmp_eq_u32_e32 vcc, 0, v5
	s_cbranch_vccnz .LBB64_19
; %bb.16:                               ;   in Loop: Header=BB64_7 Depth=1
	s_ashr_i32 s27, s26, 31
	s_lshl_b64 s[14:15], s[26:27], 2
	s_add_u32 s14, s20, s14
	v_add_u32_e32 v5, s33, v14
	s_addc_u32 s15, s21, s15
	global_store_dword v3, v5, s[14:15]
	s_and_saveexec_b64 s[14:15], s[28:29]
	s_cbranch_execz .LBB64_18
; %bb.17:                               ;   in Loop: Header=BB64_7 Depth=1
	ds_read_b32 v5, v8
	s_mul_i32 s27, s17, s27
	s_mul_hi_u32 s30, s17, s26
	s_add_i32 s27, s30, s27
	s_mul_i32 s30, s37, s26
	s_add_i32 s31, s27, s30
	s_mul_i32 s30, s17, s26
	v_lshl_add_u64 v[14:15], s[30:31], 2, v[0:1]
	s_waitcnt lgkmcnt(0)
	global_store_dword v[14:15], v5, off
.LBB64_18:                              ;   in Loop: Header=BB64_7 Depth=1
	s_or_b64 exec, exec, s[14:15]
	s_mov_b32 s27, 1
.LBB64_19:                              ;   in Loop: Header=BB64_7 Depth=1
	s_waitcnt lgkmcnt(0)
	s_barrier
	ds_write_b32 v8, v13
	s_waitcnt lgkmcnt(0)
	s_barrier
	s_and_saveexec_b64 s[14:15], s[0:1]
	s_cbranch_execz .LBB64_21
; %bb.20:                               ;   in Loop: Header=BB64_7 Depth=1
	ds_read2st64_b32 v[14:15], v8 offset1:1
	s_waitcnt lgkmcnt(0)
	v_min_i32_e32 v5, v15, v14
	ds_write_b32 v8, v5
.LBB64_21:                              ;   in Loop: Header=BB64_7 Depth=1
	s_or_b64 exec, exec, s[14:15]
	s_waitcnt lgkmcnt(0)
	s_barrier
	s_and_saveexec_b64 s[14:15], s[2:3]
	s_cbranch_execz .LBB64_23
; %bb.22:                               ;   in Loop: Header=BB64_7 Depth=1
	ds_read2_b32 v[14:15], v8 offset1:32
	s_waitcnt lgkmcnt(0)
	v_min_i32_e32 v5, v15, v14
	ds_write_b32 v8, v5
.LBB64_23:                              ;   in Loop: Header=BB64_7 Depth=1
	s_or_b64 exec, exec, s[14:15]
	s_waitcnt lgkmcnt(0)
	s_barrier
	s_and_saveexec_b64 s[14:15], s[4:5]
	s_cbranch_execz .LBB64_25
; %bb.24:                               ;   in Loop: Header=BB64_7 Depth=1
	ds_read2_b32 v[14:15], v8 offset1:16
	s_waitcnt lgkmcnt(0)
	v_min_i32_e32 v5, v15, v14
	ds_write_b32 v8, v5
.LBB64_25:                              ;   in Loop: Header=BB64_7 Depth=1
	;; [unrolled: 11-line block ×5, first 2 shown]
	s_or_b64 exec, exec, s[14:15]
	s_waitcnt lgkmcnt(0)
	s_barrier
	s_and_saveexec_b64 s[14:15], s[12:13]
	s_cbranch_execz .LBB64_6
; %bb.32:                               ;   in Loop: Header=BB64_7 Depth=1
	ds_read_b64 v[14:15], v3
	s_waitcnt lgkmcnt(0)
	v_min_i32_e32 v5, v15, v14
	ds_write_b32 v3, v5
	s_branch .LBB64_6
.LBB64_33:
	s_endpgm
	.section	.rodata,"a",@progbits
	.p2align	6, 0x0
	.amdhsa_kernel _ZN9rocsparseL40csr2gebsr_block_per_row_multipass_kernelILj128ELj64ELj2EfEEv20rocsparse_direction_iiiiii21rocsparse_index_base_PKT2_PKiS7_S2_PS3_PiS9_
		.amdhsa_group_segment_fixed_size 516
		.amdhsa_private_segment_fixed_size 0
		.amdhsa_kernarg_size 88
		.amdhsa_user_sgpr_count 2
		.amdhsa_user_sgpr_dispatch_ptr 0
		.amdhsa_user_sgpr_queue_ptr 0
		.amdhsa_user_sgpr_kernarg_segment_ptr 1
		.amdhsa_user_sgpr_dispatch_id 0
		.amdhsa_user_sgpr_kernarg_preload_length 0
		.amdhsa_user_sgpr_kernarg_preload_offset 0
		.amdhsa_user_sgpr_private_segment_size 0
		.amdhsa_uses_dynamic_stack 0
		.amdhsa_enable_private_segment 0
		.amdhsa_system_sgpr_workgroup_id_x 1
		.amdhsa_system_sgpr_workgroup_id_y 0
		.amdhsa_system_sgpr_workgroup_id_z 0
		.amdhsa_system_sgpr_workgroup_info 0
		.amdhsa_system_vgpr_workitem_id 0
		.amdhsa_next_free_vgpr 23
		.amdhsa_next_free_sgpr 42
		.amdhsa_accum_offset 24
		.amdhsa_reserve_vcc 1
		.amdhsa_float_round_mode_32 0
		.amdhsa_float_round_mode_16_64 0
		.amdhsa_float_denorm_mode_32 3
		.amdhsa_float_denorm_mode_16_64 3
		.amdhsa_dx10_clamp 1
		.amdhsa_ieee_mode 1
		.amdhsa_fp16_overflow 0
		.amdhsa_tg_split 0
		.amdhsa_exception_fp_ieee_invalid_op 0
		.amdhsa_exception_fp_denorm_src 0
		.amdhsa_exception_fp_ieee_div_zero 0
		.amdhsa_exception_fp_ieee_overflow 0
		.amdhsa_exception_fp_ieee_underflow 0
		.amdhsa_exception_fp_ieee_inexact 0
		.amdhsa_exception_int_div_zero 0
	.end_amdhsa_kernel
	.section	.text._ZN9rocsparseL40csr2gebsr_block_per_row_multipass_kernelILj128ELj64ELj2EfEEv20rocsparse_direction_iiiiii21rocsparse_index_base_PKT2_PKiS7_S2_PS3_PiS9_,"axG",@progbits,_ZN9rocsparseL40csr2gebsr_block_per_row_multipass_kernelILj128ELj64ELj2EfEEv20rocsparse_direction_iiiiii21rocsparse_index_base_PKT2_PKiS7_S2_PS3_PiS9_,comdat
.Lfunc_end64:
	.size	_ZN9rocsparseL40csr2gebsr_block_per_row_multipass_kernelILj128ELj64ELj2EfEEv20rocsparse_direction_iiiiii21rocsparse_index_base_PKT2_PKiS7_S2_PS3_PiS9_, .Lfunc_end64-_ZN9rocsparseL40csr2gebsr_block_per_row_multipass_kernelILj128ELj64ELj2EfEEv20rocsparse_direction_iiiiii21rocsparse_index_base_PKT2_PKiS7_S2_PS3_PiS9_
                                        ; -- End function
	.section	.AMDGPU.csdata,"",@progbits
; Kernel info:
; codeLenInByte = 1372
; NumSgprs: 48
; NumVgprs: 23
; NumAgprs: 0
; TotalNumVgprs: 23
; ScratchSize: 0
; MemoryBound: 0
; FloatMode: 240
; IeeeMode: 1
; LDSByteSize: 516 bytes/workgroup (compile time only)
; SGPRBlocks: 5
; VGPRBlocks: 2
; NumSGPRsForWavesPerEU: 48
; NumVGPRsForWavesPerEU: 23
; AccumOffset: 24
; Occupancy: 8
; WaveLimiterHint : 0
; COMPUTE_PGM_RSRC2:SCRATCH_EN: 0
; COMPUTE_PGM_RSRC2:USER_SGPR: 2
; COMPUTE_PGM_RSRC2:TRAP_HANDLER: 0
; COMPUTE_PGM_RSRC2:TGID_X_EN: 1
; COMPUTE_PGM_RSRC2:TGID_Y_EN: 0
; COMPUTE_PGM_RSRC2:TGID_Z_EN: 0
; COMPUTE_PGM_RSRC2:TIDIG_COMP_CNT: 0
; COMPUTE_PGM_RSRC3_GFX90A:ACCUM_OFFSET: 5
; COMPUTE_PGM_RSRC3_GFX90A:TG_SPLIT: 0
	.section	.text._ZN9rocsparseL40csr2gebsr_block_per_row_multipass_kernelILj256ELj64ELj4EfEEv20rocsparse_direction_iiiiii21rocsparse_index_base_PKT2_PKiS7_S2_PS3_PiS9_,"axG",@progbits,_ZN9rocsparseL40csr2gebsr_block_per_row_multipass_kernelILj256ELj64ELj4EfEEv20rocsparse_direction_iiiiii21rocsparse_index_base_PKT2_PKiS7_S2_PS3_PiS9_,comdat
	.globl	_ZN9rocsparseL40csr2gebsr_block_per_row_multipass_kernelILj256ELj64ELj4EfEEv20rocsparse_direction_iiiiii21rocsparse_index_base_PKT2_PKiS7_S2_PS3_PiS9_ ; -- Begin function _ZN9rocsparseL40csr2gebsr_block_per_row_multipass_kernelILj256ELj64ELj4EfEEv20rocsparse_direction_iiiiii21rocsparse_index_base_PKT2_PKiS7_S2_PS3_PiS9_
	.p2align	8
	.type	_ZN9rocsparseL40csr2gebsr_block_per_row_multipass_kernelILj256ELj64ELj4EfEEv20rocsparse_direction_iiiiii21rocsparse_index_base_PKT2_PKiS7_S2_PS3_PiS9_,@function
_ZN9rocsparseL40csr2gebsr_block_per_row_multipass_kernelILj256ELj64ELj4EfEEv20rocsparse_direction_iiiiii21rocsparse_index_base_PKT2_PKiS7_S2_PS3_PiS9_: ; @_ZN9rocsparseL40csr2gebsr_block_per_row_multipass_kernelILj256ELj64ELj4EfEEv20rocsparse_direction_iiiiii21rocsparse_index_base_PKT2_PKiS7_S2_PS3_PiS9_
; %bb.0:
	s_load_dwordx4 s[20:23], s[0:1], 0x10
	s_load_dwordx2 s[8:9], s[0:1], 0x0
	s_load_dwordx2 s[6:7], s[0:1], 0x28
	v_lshrrev_b32_e32 v1, 2, v0
	v_mov_b32_e32 v6, 0
	s_waitcnt lgkmcnt(0)
	s_mul_i32 s3, s2, s21
	v_add_u32_e32 v2, s3, v1
	v_cmp_gt_i32_e64 s[4:5], s9, v2
	v_cmp_gt_i32_e32 vcc, s21, v1
	s_and_b64 s[4:5], vcc, s[4:5]
	v_mov_b32_e32 v4, 0
	s_and_saveexec_b64 s[10:11], s[4:5]
	s_cbranch_execnz .LBB65_3
; %bb.1:
	s_or_b64 exec, exec, s[10:11]
	s_and_saveexec_b64 s[10:11], s[4:5]
	s_cbranch_execnz .LBB65_4
.LBB65_2:
	s_or_b64 exec, exec, s[10:11]
	s_cmp_lt_i32 s20, 1
	s_cbranch_scc0 .LBB65_5
	s_branch .LBB65_35
.LBB65_3:
	v_ashrrev_i32_e32 v3, 31, v2
	v_lshl_add_u64 v[4:5], v[2:3], 2, s[6:7]
	global_load_dword v3, v[4:5], off
	s_waitcnt vmcnt(0)
	v_subrev_u32_e32 v4, s23, v3
	s_or_b64 exec, exec, s[10:11]
	s_and_saveexec_b64 s[10:11], s[4:5]
	s_cbranch_execz .LBB65_2
.LBB65_4:
	v_ashrrev_i32_e32 v3, 31, v2
	v_lshl_add_u64 v[2:3], v[2:3], 2, s[6:7]
	global_load_dword v2, v[2:3], off offset:4
	s_waitcnt vmcnt(0)
	v_subrev_u32_e32 v6, s23, v2
	s_or_b64 exec, exec, s[10:11]
	s_cmp_lt_i32 s20, 1
	s_cbranch_scc1 .LBB65_35
.LBB65_5:
	s_load_dwordx4 s[4:7], s[0:1], 0x40
	s_load_dwordx2 s[18:19], s[0:1], 0x50
	s_load_dword s33, s[0:1], 0x38
	s_ashr_i32 s3, s2, 31
	s_lshl_b64 s[2:3], s[2:3], 2
	s_waitcnt lgkmcnt(0)
	s_add_u32 s2, s6, s2
	s_addc_u32 s3, s7, s3
	s_load_dword s6, s[2:3], 0x0
	s_load_dwordx2 s[24:25], s[0:1], 0x20
	s_load_dwordx2 s[26:27], s[0:1], 0x30
	v_and_b32_e32 v7, 3, v0
	v_cmp_gt_u32_e64 s[0:1], s22, v7
	s_waitcnt lgkmcnt(0)
	s_sub_i32 s28, s6, s33
	v_mbcnt_lo_u32_b32 v2, -1, 0
	s_and_b64 s[30:31], vcc, s[0:1]
	v_mbcnt_hi_u32_b32 v2, -1, v2
	s_cmp_eq_u32 s8, 0
	v_lshl_or_b32 v11, v2, 2, 12
	v_mul_lo_u32 v2, v7, s21
	v_mov_b32_e32 v3, 0
	s_cselect_b64 vcc, -1, 0
	s_abs_i32 s40, s22
	v_lshl_add_u64 v[12:13], v[2:3], 2, s[4:5]
	v_lshlrev_b32_e32 v2, 2, v1
	v_mul_lo_u32 v14, v1, s22
	v_cvt_f32_u32_e32 v1, s40
	s_ashr_i32 s38, s22, 31
	s_mul_hi_u32 s0, s22, s21
	s_mul_i32 s1, s38, s21
	v_rcp_iflag_f32_e32 v1, v1
	v_ashrrev_i32_e32 v15, 31, v14
	s_add_i32 s39, s0, s1
	s_movk_i32 s0, 0x80
	v_lshlrev_b32_e32 v8, 2, v0
	v_and_b32_e32 v9, 0xfc, v0
	v_lshl_add_u64 v[12:13], v[12:13], 0, v[2:3]
	v_lshl_add_u64 v[14:15], v[14:15], 2, s[4:5]
	v_lshlrev_b32_e32 v2, 2, v7
	v_cmp_gt_u32_e64 s[0:1], s0, v0
	v_cmp_gt_u32_e64 s[2:3], 64, v0
	;; [unrolled: 1-line block ×7, first 2 shown]
	v_cmp_eq_u32_e64 s[14:15], 0, v0
	v_mul_f32_e32 v0, 0x4f7ffffe, v1
	v_lshl_add_u64 v[14:15], v[14:15], 0, v[2:3]
	v_cvt_u32_f32_e32 v2, v0
	s_sub_i32 s16, 0, s40
	v_mov_b32_e32 v10, 0
	s_mul_i32 s21, s22, s21
	v_mul_lo_u32 v5, s16, v2
	v_mul_hi_u32 v5, v2, v5
	v_cndmask_b32_e32 v1, v13, v15, vcc
	v_cndmask_b32_e32 v0, v12, v14, vcc
	v_add_u32_e32 v2, v2, v5
	v_mov_b32_e32 v12, 1
	v_mov_b32_e32 v14, 0
	s_branch .LBB65_7
.LBB65_6:                               ;   in Loop: Header=BB65_7 Depth=1
	s_or_b64 exec, exec, s[16:17]
	s_waitcnt lgkmcnt(0)
	s_barrier
	ds_read_b32 v14, v3
	s_add_i32 s28, s29, s28
	s_waitcnt lgkmcnt(0)
	s_barrier
	v_cmp_gt_i32_e32 vcc, s20, v14
	s_cbranch_vccz .LBB65_35
.LBB65_7:                               ; =>This Loop Header: Depth=1
                                        ;     Child Loop BB65_10 Depth 2
	v_add_u32_e32 v4, v4, v7
	v_cmp_lt_i32_e32 vcc, v4, v6
	v_mov_b32_e32 v13, s20
	v_mov_b32_e32 v16, v6
	ds_write_b8 v3, v10 offset:1024
	ds_write_b32 v8, v3
	s_waitcnt lgkmcnt(0)
	s_barrier
	s_and_saveexec_b64 s[34:35], vcc
	s_cbranch_execz .LBB65_15
; %bb.8:                                ;   in Loop: Header=BB65_7 Depth=1
	v_mul_lo_u32 v15, v14, s22
	s_mov_b64 s[36:37], 0
	v_mov_b32_e32 v13, s20
	v_mov_b32_e32 v16, v6
	s_branch .LBB65_10
.LBB65_9:                               ;   in Loop: Header=BB65_10 Depth=2
	s_or_b64 exec, exec, s[16:17]
	v_add_u32_e32 v4, 4, v4
	v_cmp_ge_i32_e64 s[16:17], v4, v6
	s_xor_b64 s[42:43], vcc, -1
	s_or_b64 s[16:17], s[42:43], s[16:17]
	s_and_b64 s[16:17], exec, s[16:17]
	s_or_b64 s[36:37], s[16:17], s[36:37]
	s_andn2_b64 exec, exec, s[36:37]
	s_cbranch_execz .LBB65_14
.LBB65_10:                              ;   Parent Loop BB65_7 Depth=1
                                        ; =>  This Inner Loop Header: Depth=2
	v_ashrrev_i32_e32 v5, 31, v4
	v_lshl_add_u64 v[18:19], v[4:5], 2, s[26:27]
	global_load_dword v17, v[18:19], off
	s_waitcnt vmcnt(0)
	v_subrev_u32_e32 v17, s23, v17
	v_sub_u32_e32 v19, 0, v17
	v_max_i32_e32 v19, v17, v19
	v_mul_hi_u32 v20, v19, v2
	v_mul_lo_u32 v21, v20, s40
	v_sub_u32_e32 v19, v19, v21
	v_add_u32_e32 v22, 1, v20
	v_cmp_le_u32_e32 vcc, s40, v19
	v_subrev_u32_e32 v21, s40, v19
	v_ashrrev_i32_e32 v18, 31, v17
	v_cndmask_b32_e32 v20, v20, v22, vcc
	v_cndmask_b32_e32 v19, v19, v21, vcc
	v_add_u32_e32 v21, 1, v20
	v_cmp_le_u32_e32 vcc, s40, v19
	v_xor_b32_e32 v18, s38, v18
	s_nop 0
	v_cndmask_b32_e32 v19, v20, v21, vcc
	v_xor_b32_e32 v19, v19, v18
	v_sub_u32_e32 v19, v19, v18
	v_cmp_eq_u32_e32 vcc, v19, v14
	v_cmp_ne_u32_e64 s[16:17], v19, v14
	v_mov_b32_e32 v18, v16
	s_and_saveexec_b64 s[42:43], s[16:17]
	s_xor_b64 s[16:17], exec, s[42:43]
; %bb.11:                               ;   in Loop: Header=BB65_10 Depth=2
	v_min_i32_e32 v13, v19, v13
                                        ; implicit-def: $vgpr17
                                        ; implicit-def: $vgpr18
; %bb.12:                               ;   in Loop: Header=BB65_10 Depth=2
	s_or_saveexec_b64 s[16:17], s[16:17]
	v_mov_b32_e32 v16, v4
	s_xor_b64 exec, exec, s[16:17]
	s_cbranch_execz .LBB65_9
; %bb.13:                               ;   in Loop: Header=BB65_10 Depth=2
	v_lshl_add_u64 v[20:21], v[4:5], 2, s[24:25]
	global_load_dword v5, v[20:21], off
	v_sub_u32_e32 v16, v17, v15
	v_add_lshl_u32 v16, v16, v9, 2
	ds_write_b8 v3, v12 offset:1024
	s_waitcnt vmcnt(0)
	ds_write_b32 v16, v5
	v_mov_b32_e32 v16, v18
	s_branch .LBB65_9
.LBB65_14:                              ;   in Loop: Header=BB65_7 Depth=1
	s_or_b64 exec, exec, s[36:37]
.LBB65_15:                              ;   in Loop: Header=BB65_7 Depth=1
	s_or_b64 exec, exec, s[34:35]
	v_mov_b32_dpp v4, v16 row_shr:1 row_mask:0xf bank_mask:0xf
	v_min_i32_e32 v4, v4, v16
	s_waitcnt lgkmcnt(0)
	s_barrier
	ds_read_u8 v5, v3 offset:1024
	v_mov_b32_dpp v15, v4 row_shr:2 row_mask:0xf bank_mask:0xf
	v_min_i32_e32 v4, v15, v4
	ds_bpermute_b32 v4, v11, v4
	s_mov_b32 s29, 0
	s_waitcnt lgkmcnt(1)
	v_cmp_eq_u32_e32 vcc, 0, v5
	s_cbranch_vccnz .LBB65_19
; %bb.16:                               ;   in Loop: Header=BB65_7 Depth=1
	s_ashr_i32 s29, s28, 31
	s_lshl_b64 s[16:17], s[28:29], 2
	s_add_u32 s16, s18, s16
	v_add_u32_e32 v5, s33, v14
	s_addc_u32 s17, s19, s17
	global_store_dword v3, v5, s[16:17]
	s_and_saveexec_b64 s[16:17], s[30:31]
	s_cbranch_execz .LBB65_18
; %bb.17:                               ;   in Loop: Header=BB65_7 Depth=1
	ds_read_b32 v5, v8
	s_mul_i32 s29, s21, s29
	s_mul_hi_u32 s34, s21, s28
	s_add_i32 s29, s34, s29
	s_mul_i32 s34, s39, s28
	s_add_i32 s35, s29, s34
	s_mul_i32 s34, s21, s28
	v_lshl_add_u64 v[14:15], s[34:35], 2, v[0:1]
	s_waitcnt lgkmcnt(0)
	global_store_dword v[14:15], v5, off
.LBB65_18:                              ;   in Loop: Header=BB65_7 Depth=1
	s_or_b64 exec, exec, s[16:17]
	s_mov_b32 s29, 1
.LBB65_19:                              ;   in Loop: Header=BB65_7 Depth=1
	s_waitcnt lgkmcnt(0)
	s_barrier
	ds_write_b32 v8, v13
	s_waitcnt lgkmcnt(0)
	s_barrier
	s_and_saveexec_b64 s[16:17], s[0:1]
	s_cbranch_execz .LBB65_21
; %bb.20:                               ;   in Loop: Header=BB65_7 Depth=1
	ds_read2st64_b32 v[14:15], v8 offset1:2
	s_waitcnt lgkmcnt(0)
	v_min_i32_e32 v5, v15, v14
	ds_write_b32 v8, v5
.LBB65_21:                              ;   in Loop: Header=BB65_7 Depth=1
	s_or_b64 exec, exec, s[16:17]
	s_waitcnt lgkmcnt(0)
	s_barrier
	s_and_saveexec_b64 s[16:17], s[2:3]
	s_cbranch_execz .LBB65_23
; %bb.22:                               ;   in Loop: Header=BB65_7 Depth=1
	ds_read2st64_b32 v[14:15], v8 offset1:1
	s_waitcnt lgkmcnt(0)
	v_min_i32_e32 v5, v15, v14
	ds_write_b32 v8, v5
.LBB65_23:                              ;   in Loop: Header=BB65_7 Depth=1
	s_or_b64 exec, exec, s[16:17]
	s_waitcnt lgkmcnt(0)
	s_barrier
	s_and_saveexec_b64 s[16:17], s[4:5]
	s_cbranch_execz .LBB65_25
; %bb.24:                               ;   in Loop: Header=BB65_7 Depth=1
	ds_read2_b32 v[14:15], v8 offset1:32
	s_waitcnt lgkmcnt(0)
	v_min_i32_e32 v5, v15, v14
	ds_write_b32 v8, v5
.LBB65_25:                              ;   in Loop: Header=BB65_7 Depth=1
	s_or_b64 exec, exec, s[16:17]
	s_waitcnt lgkmcnt(0)
	s_barrier
	s_and_saveexec_b64 s[16:17], s[6:7]
	s_cbranch_execz .LBB65_27
; %bb.26:                               ;   in Loop: Header=BB65_7 Depth=1
	ds_read2_b32 v[14:15], v8 offset1:16
	s_waitcnt lgkmcnt(0)
	v_min_i32_e32 v5, v15, v14
	ds_write_b32 v8, v5
.LBB65_27:                              ;   in Loop: Header=BB65_7 Depth=1
	;; [unrolled: 11-line block ×5, first 2 shown]
	s_or_b64 exec, exec, s[16:17]
	s_waitcnt lgkmcnt(0)
	s_barrier
	s_and_saveexec_b64 s[16:17], s[14:15]
	s_cbranch_execz .LBB65_6
; %bb.34:                               ;   in Loop: Header=BB65_7 Depth=1
	ds_read_b64 v[14:15], v3
	s_waitcnt lgkmcnt(0)
	v_min_i32_e32 v5, v15, v14
	ds_write_b32 v3, v5
	s_branch .LBB65_6
.LBB65_35:
	s_endpgm
	.section	.rodata,"a",@progbits
	.p2align	6, 0x0
	.amdhsa_kernel _ZN9rocsparseL40csr2gebsr_block_per_row_multipass_kernelILj256ELj64ELj4EfEEv20rocsparse_direction_iiiiii21rocsparse_index_base_PKT2_PKiS7_S2_PS3_PiS9_
		.amdhsa_group_segment_fixed_size 1028
		.amdhsa_private_segment_fixed_size 0
		.amdhsa_kernarg_size 88
		.amdhsa_user_sgpr_count 2
		.amdhsa_user_sgpr_dispatch_ptr 0
		.amdhsa_user_sgpr_queue_ptr 0
		.amdhsa_user_sgpr_kernarg_segment_ptr 1
		.amdhsa_user_sgpr_dispatch_id 0
		.amdhsa_user_sgpr_kernarg_preload_length 0
		.amdhsa_user_sgpr_kernarg_preload_offset 0
		.amdhsa_user_sgpr_private_segment_size 0
		.amdhsa_uses_dynamic_stack 0
		.amdhsa_enable_private_segment 0
		.amdhsa_system_sgpr_workgroup_id_x 1
		.amdhsa_system_sgpr_workgroup_id_y 0
		.amdhsa_system_sgpr_workgroup_id_z 0
		.amdhsa_system_sgpr_workgroup_info 0
		.amdhsa_system_vgpr_workitem_id 0
		.amdhsa_next_free_vgpr 23
		.amdhsa_next_free_sgpr 44
		.amdhsa_accum_offset 24
		.amdhsa_reserve_vcc 1
		.amdhsa_float_round_mode_32 0
		.amdhsa_float_round_mode_16_64 0
		.amdhsa_float_denorm_mode_32 3
		.amdhsa_float_denorm_mode_16_64 3
		.amdhsa_dx10_clamp 1
		.amdhsa_ieee_mode 1
		.amdhsa_fp16_overflow 0
		.amdhsa_tg_split 0
		.amdhsa_exception_fp_ieee_invalid_op 0
		.amdhsa_exception_fp_denorm_src 0
		.amdhsa_exception_fp_ieee_div_zero 0
		.amdhsa_exception_fp_ieee_overflow 0
		.amdhsa_exception_fp_ieee_underflow 0
		.amdhsa_exception_fp_ieee_inexact 0
		.amdhsa_exception_int_div_zero 0
	.end_amdhsa_kernel
	.section	.text._ZN9rocsparseL40csr2gebsr_block_per_row_multipass_kernelILj256ELj64ELj4EfEEv20rocsparse_direction_iiiiii21rocsparse_index_base_PKT2_PKiS7_S2_PS3_PiS9_,"axG",@progbits,_ZN9rocsparseL40csr2gebsr_block_per_row_multipass_kernelILj256ELj64ELj4EfEEv20rocsparse_direction_iiiiii21rocsparse_index_base_PKT2_PKiS7_S2_PS3_PiS9_,comdat
.Lfunc_end65:
	.size	_ZN9rocsparseL40csr2gebsr_block_per_row_multipass_kernelILj256ELj64ELj4EfEEv20rocsparse_direction_iiiiii21rocsparse_index_base_PKT2_PKiS7_S2_PS3_PiS9_, .Lfunc_end65-_ZN9rocsparseL40csr2gebsr_block_per_row_multipass_kernelILj256ELj64ELj4EfEEv20rocsparse_direction_iiiiii21rocsparse_index_base_PKT2_PKiS7_S2_PS3_PiS9_
                                        ; -- End function
	.section	.AMDGPU.csdata,"",@progbits
; Kernel info:
; codeLenInByte = 1440
; NumSgprs: 50
; NumVgprs: 23
; NumAgprs: 0
; TotalNumVgprs: 23
; ScratchSize: 0
; MemoryBound: 0
; FloatMode: 240
; IeeeMode: 1
; LDSByteSize: 1028 bytes/workgroup (compile time only)
; SGPRBlocks: 6
; VGPRBlocks: 2
; NumSGPRsForWavesPerEU: 50
; NumVGPRsForWavesPerEU: 23
; AccumOffset: 24
; Occupancy: 8
; WaveLimiterHint : 0
; COMPUTE_PGM_RSRC2:SCRATCH_EN: 0
; COMPUTE_PGM_RSRC2:USER_SGPR: 2
; COMPUTE_PGM_RSRC2:TRAP_HANDLER: 0
; COMPUTE_PGM_RSRC2:TGID_X_EN: 1
; COMPUTE_PGM_RSRC2:TGID_Y_EN: 0
; COMPUTE_PGM_RSRC2:TGID_Z_EN: 0
; COMPUTE_PGM_RSRC2:TIDIG_COMP_CNT: 0
; COMPUTE_PGM_RSRC3_GFX90A:ACCUM_OFFSET: 5
; COMPUTE_PGM_RSRC3_GFX90A:TG_SPLIT: 0
	.section	.text._ZN9rocsparseL40csr2gebsr_block_per_row_multipass_kernelILj256ELj64ELj8EfEEv20rocsparse_direction_iiiiii21rocsparse_index_base_PKT2_PKiS7_S2_PS3_PiS9_,"axG",@progbits,_ZN9rocsparseL40csr2gebsr_block_per_row_multipass_kernelILj256ELj64ELj8EfEEv20rocsparse_direction_iiiiii21rocsparse_index_base_PKT2_PKiS7_S2_PS3_PiS9_,comdat
	.globl	_ZN9rocsparseL40csr2gebsr_block_per_row_multipass_kernelILj256ELj64ELj8EfEEv20rocsparse_direction_iiiiii21rocsparse_index_base_PKT2_PKiS7_S2_PS3_PiS9_ ; -- Begin function _ZN9rocsparseL40csr2gebsr_block_per_row_multipass_kernelILj256ELj64ELj8EfEEv20rocsparse_direction_iiiiii21rocsparse_index_base_PKT2_PKiS7_S2_PS3_PiS9_
	.p2align	8
	.type	_ZN9rocsparseL40csr2gebsr_block_per_row_multipass_kernelILj256ELj64ELj8EfEEv20rocsparse_direction_iiiiii21rocsparse_index_base_PKT2_PKiS7_S2_PS3_PiS9_,@function
_ZN9rocsparseL40csr2gebsr_block_per_row_multipass_kernelILj256ELj64ELj8EfEEv20rocsparse_direction_iiiiii21rocsparse_index_base_PKT2_PKiS7_S2_PS3_PiS9_: ; @_ZN9rocsparseL40csr2gebsr_block_per_row_multipass_kernelILj256ELj64ELj8EfEEv20rocsparse_direction_iiiiii21rocsparse_index_base_PKT2_PKiS7_S2_PS3_PiS9_
; %bb.0:
	s_load_dwordx4 s[20:23], s[0:1], 0x10
	s_load_dwordx2 s[6:7], s[0:1], 0x0
	s_load_dwordx2 s[8:9], s[0:1], 0x28
	v_lshrrev_b32_e32 v1, 2, v0
	v_mov_b32_e32 v12, 0
	s_waitcnt lgkmcnt(0)
	s_mul_i32 s3, s2, s21
	v_add_u32_e32 v2, s3, v1
	v_cmp_gt_i32_e64 s[4:5], s7, v2
	v_cmp_gt_i32_e32 vcc, s21, v1
	s_and_b64 s[4:5], vcc, s[4:5]
	v_mov_b32_e32 v21, 0
	s_and_saveexec_b64 s[10:11], s[4:5]
	s_cbranch_execnz .LBB66_3
; %bb.1:
	s_or_b64 exec, exec, s[10:11]
	s_and_saveexec_b64 s[10:11], s[4:5]
	s_cbranch_execnz .LBB66_4
.LBB66_2:
	s_or_b64 exec, exec, s[10:11]
	s_cmp_lt_i32 s20, 1
	s_cbranch_scc0 .LBB66_5
	s_branch .LBB66_37
.LBB66_3:
	v_ashrrev_i32_e32 v3, 31, v2
	v_lshl_add_u64 v[4:5], v[2:3], 2, s[8:9]
	global_load_dword v3, v[4:5], off
	s_waitcnt vmcnt(0)
	v_subrev_u32_e32 v21, s23, v3
	s_or_b64 exec, exec, s[10:11]
	s_and_saveexec_b64 s[10:11], s[4:5]
	s_cbranch_execz .LBB66_2
.LBB66_4:
	v_ashrrev_i32_e32 v3, 31, v2
	v_lshl_add_u64 v[2:3], v[2:3], 2, s[8:9]
	global_load_dword v2, v[2:3], off offset:4
	s_waitcnt vmcnt(0)
	v_subrev_u32_e32 v12, s23, v2
	s_or_b64 exec, exec, s[10:11]
	s_cmp_lt_i32 s20, 1
	s_cbranch_scc1 .LBB66_37
.LBB66_5:
	s_load_dwordx4 s[8:11], s[0:1], 0x40
	s_load_dwordx2 s[24:25], s[0:1], 0x50
	s_load_dword s33, s[0:1], 0x38
	s_ashr_i32 s3, s2, 31
	s_lshl_b64 s[2:3], s[2:3], 2
	s_waitcnt lgkmcnt(0)
	s_add_u32 s2, s10, s2
	s_addc_u32 s3, s11, s3
	s_load_dword s4, s[2:3], 0x0
	s_load_dwordx2 s[26:27], s[0:1], 0x20
	s_load_dwordx2 s[28:29], s[0:1], 0x30
	v_mbcnt_lo_u32_b32 v2, -1, 0
	v_mbcnt_hi_u32_b32 v2, -1, v2
	s_waitcnt lgkmcnt(0)
	s_sub_i32 s30, s4, s33
	s_cmp_eq_u32 s6, 0
	s_cselect_b64 s[0:1], -1, 0
	s_ashr_i32 s42, s22, 31
	s_mul_hi_u32 s2, s22, s21
	s_mul_i32 s3, s42, s21
	v_mul_lo_u32 v6, v1, s22
	v_and_b32_e32 v13, 3, v0
	v_lshlrev_b32_e32 v14, 3, v1
	v_lshl_or_b32 v16, v2, 2, 12
	s_add_i32 s43, s2, s3
	v_lshlrev_b32_e32 v2, 2, v1
	v_mov_b32_e32 v3, 0
	v_ashrrev_i32_e32 v7, 31, v6
	s_movk_i32 s2, 0x80
	v_lshl_add_u64 v[4:5], s[8:9], 0, v[2:3]
	v_lshl_add_u64 v[6:7], v[6:7], 2, s[8:9]
	v_lshlrev_b32_e32 v17, 2, v0
	v_cmp_gt_u32_e64 s[2:3], s2, v0
	v_cmp_gt_u32_e64 s[4:5], 64, v0
	;; [unrolled: 1-line block ×7, first 2 shown]
	v_cmp_eq_u32_e64 s[16:17], 0, v0
	v_or_b32_e32 v0, v14, v13
	s_abs_i32 s45, s22
	v_lshlrev_b32_e32 v18, 2, v0
	v_cvt_f32_u32_e32 v0, s45
	v_cmp_gt_u32_e64 s[18:19], s22, v13
	v_or_b32_e32 v1, 4, v13
	s_and_b64 s[34:35], vcc, s[18:19]
	v_rcp_iflag_f32_e32 v0, v0
	v_cmp_gt_u32_e64 s[18:19], s22, v1
	s_and_b64 s[36:37], vcc, s[18:19]
	s_sub_i32 s18, 0, s45
	v_mul_f32_e32 v0, 0x4f7ffffe, v0
	v_cvt_u32_f32_e32 v8, v0
	v_lshlrev_b32_e32 v2, 2, v13
	v_lshl_add_u64 v[6:7], v[6:7], 0, v[2:3]
	v_mul_lo_u32 v2, v13, s21
	v_mul_lo_u32 v9, s18, v8
	v_mul_hi_u32 v9, v8, v9
	v_mov_b32_e32 v15, 0
	s_mul_i32 s44, s22, s21
	v_lshl_add_u32 v0, s21, 2, v2
	v_mov_b32_e32 v1, v3
	v_add_u32_e32 v19, v8, v9
	v_mov_b32_e32 v20, 1
	v_mov_b32_e32 v10, 0
	s_branch .LBB66_7
.LBB66_6:                               ;   in Loop: Header=BB66_7 Depth=1
	s_or_b64 exec, exec, s[18:19]
	s_waitcnt lgkmcnt(0)
	s_barrier
	ds_read_b32 v10, v3
	s_add_i32 s30, s21, s30
	s_waitcnt lgkmcnt(0)
	s_barrier
	v_cmp_gt_i32_e32 vcc, s20, v10
	s_cbranch_vccz .LBB66_37
.LBB66_7:                               ; =>This Loop Header: Depth=1
                                        ;     Child Loop BB66_10 Depth 2
	v_add_u32_e32 v8, v21, v13
	v_cmp_lt_i32_e32 vcc, v8, v12
	v_mov_b32_e32 v22, s20
	v_mov_b32_e32 v21, v12
	ds_write_b8 v3, v15 offset:2048
	ds_write2_b32 v18, v3, v3 offset1:4
	s_waitcnt lgkmcnt(0)
	s_barrier
	s_and_saveexec_b64 s[38:39], vcc
	s_cbranch_execz .LBB66_15
; %bb.8:                                ;   in Loop: Header=BB66_7 Depth=1
	v_mul_lo_u32 v11, v10, s22
	s_mov_b64 s[40:41], 0
	v_mov_b32_e32 v22, s20
	v_mov_b32_e32 v21, v12
	s_branch .LBB66_10
.LBB66_9:                               ;   in Loop: Header=BB66_10 Depth=2
	s_or_b64 exec, exec, s[18:19]
	v_add_u32_e32 v8, 4, v8
	v_cmp_ge_i32_e64 s[18:19], v8, v12
	s_xor_b64 s[46:47], vcc, -1
	s_or_b64 s[18:19], s[46:47], s[18:19]
	s_and_b64 s[18:19], exec, s[18:19]
	s_or_b64 s[40:41], s[18:19], s[40:41]
	s_andn2_b64 exec, exec, s[40:41]
	s_cbranch_execz .LBB66_14
.LBB66_10:                              ;   Parent Loop BB66_7 Depth=1
                                        ; =>  This Inner Loop Header: Depth=2
	v_ashrrev_i32_e32 v9, 31, v8
	v_lshl_add_u64 v[24:25], v[8:9], 2, s[28:29]
	global_load_dword v23, v[24:25], off
	s_waitcnt vmcnt(0)
	v_subrev_u32_e32 v23, s23, v23
	v_sub_u32_e32 v25, 0, v23
	v_max_i32_e32 v25, v23, v25
	v_mul_hi_u32 v26, v25, v19
	v_mul_lo_u32 v27, v26, s45
	v_sub_u32_e32 v25, v25, v27
	v_add_u32_e32 v28, 1, v26
	v_cmp_le_u32_e32 vcc, s45, v25
	v_subrev_u32_e32 v27, s45, v25
	v_ashrrev_i32_e32 v24, 31, v23
	v_cndmask_b32_e32 v26, v26, v28, vcc
	v_cndmask_b32_e32 v25, v25, v27, vcc
	v_add_u32_e32 v27, 1, v26
	v_cmp_le_u32_e32 vcc, s45, v25
	v_xor_b32_e32 v24, s42, v24
	s_nop 0
	v_cndmask_b32_e32 v25, v26, v27, vcc
	v_xor_b32_e32 v25, v25, v24
	v_sub_u32_e32 v25, v25, v24
	v_cmp_eq_u32_e32 vcc, v25, v10
	v_cmp_ne_u32_e64 s[18:19], v25, v10
	v_mov_b32_e32 v24, v21
	s_and_saveexec_b64 s[46:47], s[18:19]
	s_xor_b64 s[18:19], exec, s[46:47]
; %bb.11:                               ;   in Loop: Header=BB66_10 Depth=2
	v_min_i32_e32 v22, v25, v22
                                        ; implicit-def: $vgpr23
                                        ; implicit-def: $vgpr24
; %bb.12:                               ;   in Loop: Header=BB66_10 Depth=2
	s_or_saveexec_b64 s[18:19], s[18:19]
	v_mov_b32_e32 v21, v8
	s_xor_b64 exec, exec, s[18:19]
	s_cbranch_execz .LBB66_9
; %bb.13:                               ;   in Loop: Header=BB66_10 Depth=2
	v_lshl_add_u64 v[26:27], v[8:9], 2, s[26:27]
	global_load_dword v9, v[26:27], off
	v_sub_u32_e32 v21, v23, v11
	v_add_lshl_u32 v21, v21, v14, 2
	ds_write_b8 v3, v20 offset:2048
	s_waitcnt vmcnt(0)
	ds_write_b32 v21, v9
	v_mov_b32_e32 v21, v24
	s_branch .LBB66_9
.LBB66_14:                              ;   in Loop: Header=BB66_7 Depth=1
	s_or_b64 exec, exec, s[40:41]
.LBB66_15:                              ;   in Loop: Header=BB66_7 Depth=1
	s_or_b64 exec, exec, s[38:39]
	v_mov_b32_dpp v8, v21 row_shr:1 row_mask:0xf bank_mask:0xf
	v_min_i32_e32 v8, v8, v21
	s_waitcnt lgkmcnt(0)
	s_barrier
	ds_read_u8 v9, v3 offset:2048
	v_mov_b32_dpp v11, v8 row_shr:2 row_mask:0xf bank_mask:0xf
	v_min_i32_e32 v8, v11, v8
	ds_bpermute_b32 v21, v16, v8
	s_mov_b32 s21, 0
	s_waitcnt lgkmcnt(1)
	v_cmp_eq_u32_e32 vcc, 0, v9
	s_cbranch_vccnz .LBB66_21
; %bb.16:                               ;   in Loop: Header=BB66_7 Depth=1
	s_ashr_i32 s31, s30, 31
	s_lshl_b64 s[18:19], s[30:31], 2
	s_add_u32 s18, s24, s18
	v_add_u32_e32 v8, s33, v10
	s_addc_u32 s19, s25, s19
	global_store_dword v3, v8, s[18:19]
	s_mul_hi_u32 s18, s44, s30
	s_mul_i32 s19, s44, s31
	s_add_i32 s18, s18, s19
	s_mul_i32 s19, s43, s30
	s_add_i32 s19, s18, s19
	s_mul_i32 s18, s44, s30
	s_lshl_b64 s[18:19], s[18:19], 2
	v_lshl_add_u64 v[8:9], v[4:5], 0, s[18:19]
	v_lshl_add_u64 v[10:11], v[6:7], 0, s[18:19]
	s_and_saveexec_b64 s[18:19], s[34:35]
	s_cbranch_execz .LBB66_18
; %bb.17:                               ;   in Loop: Header=BB66_7 Depth=1
	ds_read_b32 v23, v18
	v_lshl_add_u64 v[24:25], v[2:3], 2, v[8:9]
	v_cndmask_b32_e64 v25, v25, v11, s[0:1]
	v_cndmask_b32_e64 v24, v24, v10, s[0:1]
	s_waitcnt lgkmcnt(0)
	global_store_dword v[24:25], v23, off
.LBB66_18:                              ;   in Loop: Header=BB66_7 Depth=1
	s_or_b64 exec, exec, s[18:19]
	s_and_saveexec_b64 s[18:19], s[36:37]
	s_cbranch_execz .LBB66_20
; %bb.19:                               ;   in Loop: Header=BB66_7 Depth=1
	ds_read_b32 v23, v18 offset:16
	v_lshl_add_u64 v[10:11], v[10:11], 0, 16
	v_lshl_add_u64 v[8:9], v[0:1], 2, v[8:9]
	v_cndmask_b32_e64 v9, v9, v11, s[0:1]
	v_cndmask_b32_e64 v8, v8, v10, s[0:1]
	s_waitcnt lgkmcnt(0)
	global_store_dword v[8:9], v23, off
.LBB66_20:                              ;   in Loop: Header=BB66_7 Depth=1
	s_or_b64 exec, exec, s[18:19]
	s_mov_b32 s21, 1
.LBB66_21:                              ;   in Loop: Header=BB66_7 Depth=1
	s_waitcnt lgkmcnt(0)
	s_barrier
	ds_write_b32 v17, v22
	s_waitcnt lgkmcnt(0)
	s_barrier
	s_and_saveexec_b64 s[18:19], s[2:3]
	s_cbranch_execz .LBB66_23
; %bb.22:                               ;   in Loop: Header=BB66_7 Depth=1
	ds_read2st64_b32 v[8:9], v17 offset1:2
	s_waitcnt lgkmcnt(0)
	v_min_i32_e32 v8, v9, v8
	ds_write_b32 v17, v8
.LBB66_23:                              ;   in Loop: Header=BB66_7 Depth=1
	s_or_b64 exec, exec, s[18:19]
	s_waitcnt lgkmcnt(0)
	s_barrier
	s_and_saveexec_b64 s[18:19], s[4:5]
	s_cbranch_execz .LBB66_25
; %bb.24:                               ;   in Loop: Header=BB66_7 Depth=1
	ds_read2st64_b32 v[8:9], v17 offset1:1
	s_waitcnt lgkmcnt(0)
	v_min_i32_e32 v8, v9, v8
	ds_write_b32 v17, v8
.LBB66_25:                              ;   in Loop: Header=BB66_7 Depth=1
	s_or_b64 exec, exec, s[18:19]
	s_waitcnt lgkmcnt(0)
	s_barrier
	s_and_saveexec_b64 s[18:19], s[6:7]
	s_cbranch_execz .LBB66_27
; %bb.26:                               ;   in Loop: Header=BB66_7 Depth=1
	ds_read2_b32 v[8:9], v17 offset1:32
	s_waitcnt lgkmcnt(0)
	v_min_i32_e32 v8, v9, v8
	ds_write_b32 v17, v8
.LBB66_27:                              ;   in Loop: Header=BB66_7 Depth=1
	s_or_b64 exec, exec, s[18:19]
	s_waitcnt lgkmcnt(0)
	s_barrier
	s_and_saveexec_b64 s[18:19], s[8:9]
	s_cbranch_execz .LBB66_29
; %bb.28:                               ;   in Loop: Header=BB66_7 Depth=1
	ds_read2_b32 v[8:9], v17 offset1:16
	s_waitcnt lgkmcnt(0)
	v_min_i32_e32 v8, v9, v8
	ds_write_b32 v17, v8
.LBB66_29:                              ;   in Loop: Header=BB66_7 Depth=1
	;; [unrolled: 11-line block ×5, first 2 shown]
	s_or_b64 exec, exec, s[18:19]
	s_waitcnt lgkmcnt(0)
	s_barrier
	s_and_saveexec_b64 s[18:19], s[16:17]
	s_cbranch_execz .LBB66_6
; %bb.36:                               ;   in Loop: Header=BB66_7 Depth=1
	ds_read_b64 v[8:9], v3
	s_waitcnt lgkmcnt(0)
	v_min_i32_e32 v8, v9, v8
	ds_write_b32 v3, v8
	s_branch .LBB66_6
.LBB66_37:
	s_endpgm
	.section	.rodata,"a",@progbits
	.p2align	6, 0x0
	.amdhsa_kernel _ZN9rocsparseL40csr2gebsr_block_per_row_multipass_kernelILj256ELj64ELj8EfEEv20rocsparse_direction_iiiiii21rocsparse_index_base_PKT2_PKiS7_S2_PS3_PiS9_
		.amdhsa_group_segment_fixed_size 2052
		.amdhsa_private_segment_fixed_size 0
		.amdhsa_kernarg_size 88
		.amdhsa_user_sgpr_count 2
		.amdhsa_user_sgpr_dispatch_ptr 0
		.amdhsa_user_sgpr_queue_ptr 0
		.amdhsa_user_sgpr_kernarg_segment_ptr 1
		.amdhsa_user_sgpr_dispatch_id 0
		.amdhsa_user_sgpr_kernarg_preload_length 0
		.amdhsa_user_sgpr_kernarg_preload_offset 0
		.amdhsa_user_sgpr_private_segment_size 0
		.amdhsa_uses_dynamic_stack 0
		.amdhsa_enable_private_segment 0
		.amdhsa_system_sgpr_workgroup_id_x 1
		.amdhsa_system_sgpr_workgroup_id_y 0
		.amdhsa_system_sgpr_workgroup_id_z 0
		.amdhsa_system_sgpr_workgroup_info 0
		.amdhsa_system_vgpr_workitem_id 0
		.amdhsa_next_free_vgpr 29
		.amdhsa_next_free_sgpr 48
		.amdhsa_accum_offset 32
		.amdhsa_reserve_vcc 1
		.amdhsa_float_round_mode_32 0
		.amdhsa_float_round_mode_16_64 0
		.amdhsa_float_denorm_mode_32 3
		.amdhsa_float_denorm_mode_16_64 3
		.amdhsa_dx10_clamp 1
		.amdhsa_ieee_mode 1
		.amdhsa_fp16_overflow 0
		.amdhsa_tg_split 0
		.amdhsa_exception_fp_ieee_invalid_op 0
		.amdhsa_exception_fp_denorm_src 0
		.amdhsa_exception_fp_ieee_div_zero 0
		.amdhsa_exception_fp_ieee_overflow 0
		.amdhsa_exception_fp_ieee_underflow 0
		.amdhsa_exception_fp_ieee_inexact 0
		.amdhsa_exception_int_div_zero 0
	.end_amdhsa_kernel
	.section	.text._ZN9rocsparseL40csr2gebsr_block_per_row_multipass_kernelILj256ELj64ELj8EfEEv20rocsparse_direction_iiiiii21rocsparse_index_base_PKT2_PKiS7_S2_PS3_PiS9_,"axG",@progbits,_ZN9rocsparseL40csr2gebsr_block_per_row_multipass_kernelILj256ELj64ELj8EfEEv20rocsparse_direction_iiiiii21rocsparse_index_base_PKT2_PKiS7_S2_PS3_PiS9_,comdat
.Lfunc_end66:
	.size	_ZN9rocsparseL40csr2gebsr_block_per_row_multipass_kernelILj256ELj64ELj8EfEEv20rocsparse_direction_iiiiii21rocsparse_index_base_PKT2_PKiS7_S2_PS3_PiS9_, .Lfunc_end66-_ZN9rocsparseL40csr2gebsr_block_per_row_multipass_kernelILj256ELj64ELj8EfEEv20rocsparse_direction_iiiiii21rocsparse_index_base_PKT2_PKiS7_S2_PS3_PiS9_
                                        ; -- End function
	.section	.AMDGPU.csdata,"",@progbits
; Kernel info:
; codeLenInByte = 1556
; NumSgprs: 54
; NumVgprs: 29
; NumAgprs: 0
; TotalNumVgprs: 29
; ScratchSize: 0
; MemoryBound: 0
; FloatMode: 240
; IeeeMode: 1
; LDSByteSize: 2052 bytes/workgroup (compile time only)
; SGPRBlocks: 6
; VGPRBlocks: 3
; NumSGPRsForWavesPerEU: 54
; NumVGPRsForWavesPerEU: 29
; AccumOffset: 32
; Occupancy: 8
; WaveLimiterHint : 0
; COMPUTE_PGM_RSRC2:SCRATCH_EN: 0
; COMPUTE_PGM_RSRC2:USER_SGPR: 2
; COMPUTE_PGM_RSRC2:TRAP_HANDLER: 0
; COMPUTE_PGM_RSRC2:TGID_X_EN: 1
; COMPUTE_PGM_RSRC2:TGID_Y_EN: 0
; COMPUTE_PGM_RSRC2:TGID_Z_EN: 0
; COMPUTE_PGM_RSRC2:TIDIG_COMP_CNT: 0
; COMPUTE_PGM_RSRC3_GFX90A:ACCUM_OFFSET: 7
; COMPUTE_PGM_RSRC3_GFX90A:TG_SPLIT: 0
	.section	.text._ZN9rocsparseL40csr2gebsr_block_per_row_multipass_kernelILj256ELj64ELj16EfEEv20rocsparse_direction_iiiiii21rocsparse_index_base_PKT2_PKiS7_S2_PS3_PiS9_,"axG",@progbits,_ZN9rocsparseL40csr2gebsr_block_per_row_multipass_kernelILj256ELj64ELj16EfEEv20rocsparse_direction_iiiiii21rocsparse_index_base_PKT2_PKiS7_S2_PS3_PiS9_,comdat
	.globl	_ZN9rocsparseL40csr2gebsr_block_per_row_multipass_kernelILj256ELj64ELj16EfEEv20rocsparse_direction_iiiiii21rocsparse_index_base_PKT2_PKiS7_S2_PS3_PiS9_ ; -- Begin function _ZN9rocsparseL40csr2gebsr_block_per_row_multipass_kernelILj256ELj64ELj16EfEEv20rocsparse_direction_iiiiii21rocsparse_index_base_PKT2_PKiS7_S2_PS3_PiS9_
	.p2align	8
	.type	_ZN9rocsparseL40csr2gebsr_block_per_row_multipass_kernelILj256ELj64ELj16EfEEv20rocsparse_direction_iiiiii21rocsparse_index_base_PKT2_PKiS7_S2_PS3_PiS9_,@function
_ZN9rocsparseL40csr2gebsr_block_per_row_multipass_kernelILj256ELj64ELj16EfEEv20rocsparse_direction_iiiiii21rocsparse_index_base_PKT2_PKiS7_S2_PS3_PiS9_: ; @_ZN9rocsparseL40csr2gebsr_block_per_row_multipass_kernelILj256ELj64ELj16EfEEv20rocsparse_direction_iiiiii21rocsparse_index_base_PKT2_PKiS7_S2_PS3_PiS9_
; %bb.0:
	s_load_dwordx4 s[20:23], s[0:1], 0x10
	s_load_dwordx2 s[6:7], s[0:1], 0x0
	s_load_dwordx2 s[8:9], s[0:1], 0x28
	v_lshrrev_b32_e32 v1, 2, v0
	v_mov_b32_e32 v16, 0
	s_waitcnt lgkmcnt(0)
	s_mul_i32 s3, s2, s21
	v_add_u32_e32 v2, s3, v1
	v_cmp_gt_i32_e64 s[4:5], s7, v2
	v_cmp_gt_i32_e32 vcc, s21, v1
	s_and_b64 s[4:5], vcc, s[4:5]
	v_mov_b32_e32 v25, 0
	s_and_saveexec_b64 s[10:11], s[4:5]
	s_cbranch_execnz .LBB67_3
; %bb.1:
	s_or_b64 exec, exec, s[10:11]
	s_and_saveexec_b64 s[10:11], s[4:5]
	s_cbranch_execnz .LBB67_4
.LBB67_2:
	s_or_b64 exec, exec, s[10:11]
	s_cmp_lt_i32 s20, 1
	s_cbranch_scc0 .LBB67_5
	s_branch .LBB67_41
.LBB67_3:
	v_ashrrev_i32_e32 v3, 31, v2
	v_lshl_add_u64 v[4:5], v[2:3], 2, s[8:9]
	global_load_dword v3, v[4:5], off
	s_waitcnt vmcnt(0)
	v_subrev_u32_e32 v25, s23, v3
	s_or_b64 exec, exec, s[10:11]
	s_and_saveexec_b64 s[10:11], s[4:5]
	s_cbranch_execz .LBB67_2
.LBB67_4:
	v_ashrrev_i32_e32 v3, 31, v2
	v_lshl_add_u64 v[2:3], v[2:3], 2, s[8:9]
	global_load_dword v2, v[2:3], off offset:4
	s_waitcnt vmcnt(0)
	v_subrev_u32_e32 v16, s23, v2
	s_or_b64 exec, exec, s[10:11]
	s_cmp_lt_i32 s20, 1
	s_cbranch_scc1 .LBB67_41
.LBB67_5:
	s_load_dwordx4 s[8:11], s[0:1], 0x40
	s_load_dwordx2 s[24:25], s[0:1], 0x50
	s_load_dword s33, s[0:1], 0x38
	s_ashr_i32 s3, s2, 31
	s_lshl_b64 s[2:3], s[2:3], 2
	s_waitcnt lgkmcnt(0)
	s_add_u32 s2, s10, s2
	s_addc_u32 s3, s11, s3
	s_load_dword s4, s[2:3], 0x0
	s_load_dwordx2 s[26:27], s[0:1], 0x20
	s_load_dwordx2 s[28:29], s[0:1], 0x30
	v_mbcnt_lo_u32_b32 v2, -1, 0
	v_mbcnt_hi_u32_b32 v2, -1, v2
	s_waitcnt lgkmcnt(0)
	s_sub_i32 s30, s4, s33
	v_mul_lo_u32 v6, v1, s22
	v_and_b32_e32 v17, 3, v0
	v_lshl_or_b32 v20, v2, 2, 12
	s_cmp_eq_u32 s6, 0
	v_lshlrev_b32_e32 v2, 2, v1
	v_mov_b32_e32 v3, 0
	v_ashrrev_i32_e32 v7, 31, v6
	s_cselect_b64 s[0:1], -1, 0
	s_ashr_i32 s46, s22, 31
	v_lshl_add_u64 v[4:5], s[8:9], 0, v[2:3]
	v_lshl_add_u64 v[6:7], v[6:7], 2, s[8:9]
	v_lshlrev_b32_e32 v2, 2, v17
	s_mul_hi_u32 s2, s22, s21
	s_mul_i32 s3, s46, s21
	s_mul_i32 s48, s22, s21
	v_lshl_add_u64 v[6:7], v[6:7], 0, v[2:3]
	v_mul_lo_u32 v2, v17, s21
	s_lshl_b32 s31, s21, 2
	s_abs_i32 s21, s22
	v_cvt_f32_u32_e32 v10, s21
	v_lshlrev_b32_e32 v18, 4, v1
	s_add_i32 s47, s2, s3
	s_movk_i32 s2, 0x80
	v_rcp_iflag_f32_e32 v10, v10
	v_lshlrev_b32_e32 v21, 2, v0
	v_cmp_gt_u32_e64 s[2:3], s2, v0
	v_cmp_gt_u32_e64 s[4:5], 64, v0
	;; [unrolled: 1-line block ×7, first 2 shown]
	v_cmp_eq_u32_e64 s[16:17], 0, v0
	v_or_b32_e32 v0, v18, v17
	v_lshlrev_b32_e32 v22, 2, v0
	v_cmp_gt_u32_e64 s[18:19], s22, v17
	v_or_b32_e32 v0, 4, v17
	v_mul_f32_e32 v10, 0x4f7ffffe, v10
	s_and_b64 s[34:35], vcc, s[18:19]
	v_cmp_gt_u32_e64 s[18:19], s22, v0
	v_or_b32_e32 v8, 8, v17
	v_cvt_u32_f32_e32 v12, v10
	s_and_b64 s[36:37], vcc, s[18:19]
	v_cmp_gt_u32_e64 s[18:19], s22, v8
	v_or_b32_e32 v11, 12, v17
	s_and_b64 s[38:39], vcc, s[18:19]
	v_cmp_gt_u32_e64 s[18:19], s22, v11
	s_and_b64 s[40:41], vcc, s[18:19]
	s_sub_i32 s18, 0, s21
	v_add_u32_e32 v0, s31, v2
	v_mul_lo_u32 v13, s18, v12
	v_add_u32_e32 v8, s31, v0
	v_mul_hi_u32 v13, v12, v13
	v_mov_b32_e32 v19, 0
	v_mov_b32_e32 v1, v3
	;; [unrolled: 1-line block ×3, first 2 shown]
	v_add_u32_e32 v10, s31, v8
	v_mov_b32_e32 v11, v3
	v_add_u32_e32 v23, v12, v13
	v_mov_b32_e32 v24, 1
	v_mov_b32_e32 v14, 0
	s_branch .LBB67_7
.LBB67_6:                               ;   in Loop: Header=BB67_7 Depth=1
	s_or_b64 exec, exec, s[18:19]
	s_waitcnt lgkmcnt(0)
	s_barrier
	ds_read_b32 v14, v3
	s_add_i32 s30, s31, s30
	s_waitcnt lgkmcnt(0)
	s_barrier
	v_cmp_gt_i32_e32 vcc, s20, v14
	s_cbranch_vccz .LBB67_41
.LBB67_7:                               ; =>This Loop Header: Depth=1
                                        ;     Child Loop BB67_10 Depth 2
	v_add_u32_e32 v12, v25, v17
	v_cmp_lt_i32_e32 vcc, v12, v16
	v_mov_b32_e32 v26, s20
	v_mov_b32_e32 v25, v16
	ds_write_b8 v3, v19 offset:4096
	ds_write2_b32 v22, v3, v3 offset1:4
	ds_write2_b32 v22, v3, v3 offset0:8 offset1:12
	s_waitcnt lgkmcnt(0)
	s_barrier
	s_and_saveexec_b64 s[42:43], vcc
	s_cbranch_execz .LBB67_15
; %bb.8:                                ;   in Loop: Header=BB67_7 Depth=1
	v_mul_lo_u32 v15, v14, s22
	s_mov_b64 s[44:45], 0
	v_mov_b32_e32 v26, s20
	v_mov_b32_e32 v25, v16
	s_branch .LBB67_10
.LBB67_9:                               ;   in Loop: Header=BB67_10 Depth=2
	s_or_b64 exec, exec, s[18:19]
	v_add_u32_e32 v12, 4, v12
	v_cmp_ge_i32_e64 s[18:19], v12, v16
	s_xor_b64 s[50:51], vcc, -1
	s_or_b64 s[18:19], s[50:51], s[18:19]
	s_and_b64 s[18:19], exec, s[18:19]
	s_or_b64 s[44:45], s[18:19], s[44:45]
	s_andn2_b64 exec, exec, s[44:45]
	s_cbranch_execz .LBB67_14
.LBB67_10:                              ;   Parent Loop BB67_7 Depth=1
                                        ; =>  This Inner Loop Header: Depth=2
	v_ashrrev_i32_e32 v13, 31, v12
	v_lshl_add_u64 v[28:29], v[12:13], 2, s[28:29]
	global_load_dword v27, v[28:29], off
	s_waitcnt vmcnt(0)
	v_subrev_u32_e32 v27, s23, v27
	v_sub_u32_e32 v29, 0, v27
	v_max_i32_e32 v29, v27, v29
	v_mul_hi_u32 v30, v29, v23
	v_mul_lo_u32 v31, v30, s21
	v_sub_u32_e32 v29, v29, v31
	v_add_u32_e32 v32, 1, v30
	v_cmp_le_u32_e32 vcc, s21, v29
	v_subrev_u32_e32 v31, s21, v29
	v_ashrrev_i32_e32 v28, 31, v27
	v_cndmask_b32_e32 v30, v30, v32, vcc
	v_cndmask_b32_e32 v29, v29, v31, vcc
	v_add_u32_e32 v31, 1, v30
	v_cmp_le_u32_e32 vcc, s21, v29
	v_xor_b32_e32 v28, s46, v28
	s_nop 0
	v_cndmask_b32_e32 v29, v30, v31, vcc
	v_xor_b32_e32 v29, v29, v28
	v_sub_u32_e32 v29, v29, v28
	v_cmp_eq_u32_e32 vcc, v29, v14
	v_cmp_ne_u32_e64 s[18:19], v29, v14
	v_mov_b32_e32 v28, v25
	s_and_saveexec_b64 s[50:51], s[18:19]
	s_xor_b64 s[18:19], exec, s[50:51]
; %bb.11:                               ;   in Loop: Header=BB67_10 Depth=2
	v_min_i32_e32 v26, v29, v26
                                        ; implicit-def: $vgpr27
                                        ; implicit-def: $vgpr28
; %bb.12:                               ;   in Loop: Header=BB67_10 Depth=2
	s_or_saveexec_b64 s[18:19], s[18:19]
	v_mov_b32_e32 v25, v12
	s_xor_b64 exec, exec, s[18:19]
	s_cbranch_execz .LBB67_9
; %bb.13:                               ;   in Loop: Header=BB67_10 Depth=2
	v_lshl_add_u64 v[30:31], v[12:13], 2, s[26:27]
	global_load_dword v13, v[30:31], off
	v_sub_u32_e32 v25, v27, v15
	v_add_lshl_u32 v25, v25, v18, 2
	ds_write_b8 v3, v24 offset:4096
	s_waitcnt vmcnt(0)
	ds_write_b32 v25, v13
	v_mov_b32_e32 v25, v28
	s_branch .LBB67_9
.LBB67_14:                              ;   in Loop: Header=BB67_7 Depth=1
	s_or_b64 exec, exec, s[44:45]
.LBB67_15:                              ;   in Loop: Header=BB67_7 Depth=1
	s_or_b64 exec, exec, s[42:43]
	v_mov_b32_dpp v12, v25 row_shr:1 row_mask:0xf bank_mask:0xf
	v_min_i32_e32 v12, v12, v25
	s_waitcnt lgkmcnt(0)
	s_barrier
	ds_read_u8 v13, v3 offset:4096
	v_mov_b32_dpp v15, v12 row_shr:2 row_mask:0xf bank_mask:0xf
	v_min_i32_e32 v12, v15, v12
	ds_bpermute_b32 v25, v20, v12
	s_mov_b32 s31, 0
	s_waitcnt lgkmcnt(1)
	v_cmp_eq_u32_e32 vcc, 0, v13
	s_cbranch_vccnz .LBB67_22
; %bb.16:                               ;   in Loop: Header=BB67_7 Depth=1
	s_ashr_i32 s31, s30, 31
	s_lshl_b64 s[18:19], s[30:31], 2
	s_add_u32 s18, s24, s18
	v_add_u32_e32 v12, s33, v14
	s_addc_u32 s19, s25, s19
	global_store_dword v3, v12, s[18:19]
	s_mul_hi_u32 s18, s48, s30
	s_mul_i32 s19, s48, s31
	s_add_i32 s18, s18, s19
	s_mul_i32 s19, s47, s30
	s_add_i32 s19, s18, s19
	s_mul_i32 s18, s48, s30
	s_lshl_b64 s[18:19], s[18:19], 2
	v_lshl_add_u64 v[12:13], v[4:5], 0, s[18:19]
	v_lshl_add_u64 v[14:15], v[6:7], 0, s[18:19]
	s_and_saveexec_b64 s[18:19], s[34:35]
	s_cbranch_execnz .LBB67_38
; %bb.17:                               ;   in Loop: Header=BB67_7 Depth=1
	s_or_b64 exec, exec, s[18:19]
	s_and_saveexec_b64 s[18:19], s[36:37]
	s_cbranch_execnz .LBB67_39
.LBB67_18:                              ;   in Loop: Header=BB67_7 Depth=1
	s_or_b64 exec, exec, s[18:19]
	s_and_saveexec_b64 s[18:19], s[38:39]
	s_cbranch_execnz .LBB67_40
.LBB67_19:                              ;   in Loop: Header=BB67_7 Depth=1
	s_or_b64 exec, exec, s[18:19]
	s_and_saveexec_b64 s[18:19], s[40:41]
	s_cbranch_execz .LBB67_21
.LBB67_20:                              ;   in Loop: Header=BB67_7 Depth=1
	ds_read_b32 v27, v22 offset:48
	v_lshl_add_u64 v[14:15], v[14:15], 0, 48
	v_lshl_add_u64 v[12:13], v[10:11], 2, v[12:13]
	v_cndmask_b32_e64 v13, v13, v15, s[0:1]
	v_cndmask_b32_e64 v12, v12, v14, s[0:1]
	s_waitcnt lgkmcnt(0)
	global_store_dword v[12:13], v27, off
.LBB67_21:                              ;   in Loop: Header=BB67_7 Depth=1
	s_or_b64 exec, exec, s[18:19]
	s_mov_b32 s31, 1
.LBB67_22:                              ;   in Loop: Header=BB67_7 Depth=1
	s_waitcnt lgkmcnt(0)
	s_barrier
	ds_write_b32 v21, v26
	s_waitcnt lgkmcnt(0)
	s_barrier
	s_and_saveexec_b64 s[18:19], s[2:3]
	s_cbranch_execz .LBB67_24
; %bb.23:                               ;   in Loop: Header=BB67_7 Depth=1
	ds_read2st64_b32 v[12:13], v21 offset1:2
	s_waitcnt lgkmcnt(0)
	v_min_i32_e32 v12, v13, v12
	ds_write_b32 v21, v12
.LBB67_24:                              ;   in Loop: Header=BB67_7 Depth=1
	s_or_b64 exec, exec, s[18:19]
	s_waitcnt lgkmcnt(0)
	s_barrier
	s_and_saveexec_b64 s[18:19], s[4:5]
	s_cbranch_execz .LBB67_26
; %bb.25:                               ;   in Loop: Header=BB67_7 Depth=1
	ds_read2st64_b32 v[12:13], v21 offset1:1
	s_waitcnt lgkmcnt(0)
	v_min_i32_e32 v12, v13, v12
	ds_write_b32 v21, v12
.LBB67_26:                              ;   in Loop: Header=BB67_7 Depth=1
	s_or_b64 exec, exec, s[18:19]
	s_waitcnt lgkmcnt(0)
	s_barrier
	s_and_saveexec_b64 s[18:19], s[6:7]
	s_cbranch_execz .LBB67_28
; %bb.27:                               ;   in Loop: Header=BB67_7 Depth=1
	ds_read2_b32 v[12:13], v21 offset1:32
	s_waitcnt lgkmcnt(0)
	v_min_i32_e32 v12, v13, v12
	ds_write_b32 v21, v12
.LBB67_28:                              ;   in Loop: Header=BB67_7 Depth=1
	s_or_b64 exec, exec, s[18:19]
	s_waitcnt lgkmcnt(0)
	s_barrier
	s_and_saveexec_b64 s[18:19], s[8:9]
	s_cbranch_execz .LBB67_30
; %bb.29:                               ;   in Loop: Header=BB67_7 Depth=1
	ds_read2_b32 v[12:13], v21 offset1:16
	s_waitcnt lgkmcnt(0)
	v_min_i32_e32 v12, v13, v12
	ds_write_b32 v21, v12
.LBB67_30:                              ;   in Loop: Header=BB67_7 Depth=1
	;; [unrolled: 11-line block ×5, first 2 shown]
	s_or_b64 exec, exec, s[18:19]
	s_waitcnt lgkmcnt(0)
	s_barrier
	s_and_saveexec_b64 s[18:19], s[16:17]
	s_cbranch_execz .LBB67_6
; %bb.37:                               ;   in Loop: Header=BB67_7 Depth=1
	ds_read_b64 v[12:13], v3
	s_waitcnt lgkmcnt(0)
	v_min_i32_e32 v12, v13, v12
	ds_write_b32 v3, v12
	s_branch .LBB67_6
.LBB67_38:                              ;   in Loop: Header=BB67_7 Depth=1
	ds_read_b32 v27, v22
	v_lshl_add_u64 v[28:29], v[2:3], 2, v[12:13]
	v_cndmask_b32_e64 v29, v29, v15, s[0:1]
	v_cndmask_b32_e64 v28, v28, v14, s[0:1]
	s_waitcnt lgkmcnt(0)
	global_store_dword v[28:29], v27, off
	s_or_b64 exec, exec, s[18:19]
	s_and_saveexec_b64 s[18:19], s[36:37]
	s_cbranch_execz .LBB67_18
.LBB67_39:                              ;   in Loop: Header=BB67_7 Depth=1
	ds_read_b32 v27, v22 offset:16
	v_lshl_add_u64 v[28:29], v[14:15], 0, 16
	v_lshl_add_u64 v[30:31], v[0:1], 2, v[12:13]
	v_cndmask_b32_e64 v29, v31, v29, s[0:1]
	v_cndmask_b32_e64 v28, v30, v28, s[0:1]
	s_waitcnt lgkmcnt(0)
	global_store_dword v[28:29], v27, off
	s_or_b64 exec, exec, s[18:19]
	s_and_saveexec_b64 s[18:19], s[38:39]
	s_cbranch_execz .LBB67_19
.LBB67_40:                              ;   in Loop: Header=BB67_7 Depth=1
	ds_read_b32 v27, v22 offset:32
	v_lshl_add_u64 v[28:29], v[14:15], 0, 32
	v_lshl_add_u64 v[30:31], v[8:9], 2, v[12:13]
	v_cndmask_b32_e64 v29, v31, v29, s[0:1]
	v_cndmask_b32_e64 v28, v30, v28, s[0:1]
	s_waitcnt lgkmcnt(0)
	global_store_dword v[28:29], v27, off
	s_or_b64 exec, exec, s[18:19]
	s_and_saveexec_b64 s[18:19], s[40:41]
	s_cbranch_execnz .LBB67_20
	s_branch .LBB67_21
.LBB67_41:
	s_endpgm
	.section	.rodata,"a",@progbits
	.p2align	6, 0x0
	.amdhsa_kernel _ZN9rocsparseL40csr2gebsr_block_per_row_multipass_kernelILj256ELj64ELj16EfEEv20rocsparse_direction_iiiiii21rocsparse_index_base_PKT2_PKiS7_S2_PS3_PiS9_
		.amdhsa_group_segment_fixed_size 4100
		.amdhsa_private_segment_fixed_size 0
		.amdhsa_kernarg_size 88
		.amdhsa_user_sgpr_count 2
		.amdhsa_user_sgpr_dispatch_ptr 0
		.amdhsa_user_sgpr_queue_ptr 0
		.amdhsa_user_sgpr_kernarg_segment_ptr 1
		.amdhsa_user_sgpr_dispatch_id 0
		.amdhsa_user_sgpr_kernarg_preload_length 0
		.amdhsa_user_sgpr_kernarg_preload_offset 0
		.amdhsa_user_sgpr_private_segment_size 0
		.amdhsa_uses_dynamic_stack 0
		.amdhsa_enable_private_segment 0
		.amdhsa_system_sgpr_workgroup_id_x 1
		.amdhsa_system_sgpr_workgroup_id_y 0
		.amdhsa_system_sgpr_workgroup_id_z 0
		.amdhsa_system_sgpr_workgroup_info 0
		.amdhsa_system_vgpr_workitem_id 0
		.amdhsa_next_free_vgpr 33
		.amdhsa_next_free_sgpr 52
		.amdhsa_accum_offset 36
		.amdhsa_reserve_vcc 1
		.amdhsa_float_round_mode_32 0
		.amdhsa_float_round_mode_16_64 0
		.amdhsa_float_denorm_mode_32 3
		.amdhsa_float_denorm_mode_16_64 3
		.amdhsa_dx10_clamp 1
		.amdhsa_ieee_mode 1
		.amdhsa_fp16_overflow 0
		.amdhsa_tg_split 0
		.amdhsa_exception_fp_ieee_invalid_op 0
		.amdhsa_exception_fp_denorm_src 0
		.amdhsa_exception_fp_ieee_div_zero 0
		.amdhsa_exception_fp_ieee_overflow 0
		.amdhsa_exception_fp_ieee_underflow 0
		.amdhsa_exception_fp_ieee_inexact 0
		.amdhsa_exception_int_div_zero 0
	.end_amdhsa_kernel
	.section	.text._ZN9rocsparseL40csr2gebsr_block_per_row_multipass_kernelILj256ELj64ELj16EfEEv20rocsparse_direction_iiiiii21rocsparse_index_base_PKT2_PKiS7_S2_PS3_PiS9_,"axG",@progbits,_ZN9rocsparseL40csr2gebsr_block_per_row_multipass_kernelILj256ELj64ELj16EfEEv20rocsparse_direction_iiiiii21rocsparse_index_base_PKT2_PKiS7_S2_PS3_PiS9_,comdat
.Lfunc_end67:
	.size	_ZN9rocsparseL40csr2gebsr_block_per_row_multipass_kernelILj256ELj64ELj16EfEEv20rocsparse_direction_iiiiii21rocsparse_index_base_PKT2_PKiS7_S2_PS3_PiS9_, .Lfunc_end67-_ZN9rocsparseL40csr2gebsr_block_per_row_multipass_kernelILj256ELj64ELj16EfEEv20rocsparse_direction_iiiiii21rocsparse_index_base_PKT2_PKiS7_S2_PS3_PiS9_
                                        ; -- End function
	.section	.AMDGPU.csdata,"",@progbits
; Kernel info:
; codeLenInByte = 1780
; NumSgprs: 58
; NumVgprs: 33
; NumAgprs: 0
; TotalNumVgprs: 33
; ScratchSize: 0
; MemoryBound: 0
; FloatMode: 240
; IeeeMode: 1
; LDSByteSize: 4100 bytes/workgroup (compile time only)
; SGPRBlocks: 7
; VGPRBlocks: 4
; NumSGPRsForWavesPerEU: 58
; NumVGPRsForWavesPerEU: 33
; AccumOffset: 36
; Occupancy: 8
; WaveLimiterHint : 0
; COMPUTE_PGM_RSRC2:SCRATCH_EN: 0
; COMPUTE_PGM_RSRC2:USER_SGPR: 2
; COMPUTE_PGM_RSRC2:TRAP_HANDLER: 0
; COMPUTE_PGM_RSRC2:TGID_X_EN: 1
; COMPUTE_PGM_RSRC2:TGID_Y_EN: 0
; COMPUTE_PGM_RSRC2:TGID_Z_EN: 0
; COMPUTE_PGM_RSRC2:TIDIG_COMP_CNT: 0
; COMPUTE_PGM_RSRC3_GFX90A:ACCUM_OFFSET: 8
; COMPUTE_PGM_RSRC3_GFX90A:TG_SPLIT: 0
	.section	.text._ZN9rocsparseL40csr2gebsr_block_per_row_multipass_kernelILj256ELj64ELj32EfEEv20rocsparse_direction_iiiiii21rocsparse_index_base_PKT2_PKiS7_S2_PS3_PiS9_,"axG",@progbits,_ZN9rocsparseL40csr2gebsr_block_per_row_multipass_kernelILj256ELj64ELj32EfEEv20rocsparse_direction_iiiiii21rocsparse_index_base_PKT2_PKiS7_S2_PS3_PiS9_,comdat
	.globl	_ZN9rocsparseL40csr2gebsr_block_per_row_multipass_kernelILj256ELj64ELj32EfEEv20rocsparse_direction_iiiiii21rocsparse_index_base_PKT2_PKiS7_S2_PS3_PiS9_ ; -- Begin function _ZN9rocsparseL40csr2gebsr_block_per_row_multipass_kernelILj256ELj64ELj32EfEEv20rocsparse_direction_iiiiii21rocsparse_index_base_PKT2_PKiS7_S2_PS3_PiS9_
	.p2align	8
	.type	_ZN9rocsparseL40csr2gebsr_block_per_row_multipass_kernelILj256ELj64ELj32EfEEv20rocsparse_direction_iiiiii21rocsparse_index_base_PKT2_PKiS7_S2_PS3_PiS9_,@function
_ZN9rocsparseL40csr2gebsr_block_per_row_multipass_kernelILj256ELj64ELj32EfEEv20rocsparse_direction_iiiiii21rocsparse_index_base_PKT2_PKiS7_S2_PS3_PiS9_: ; @_ZN9rocsparseL40csr2gebsr_block_per_row_multipass_kernelILj256ELj64ELj32EfEEv20rocsparse_direction_iiiiii21rocsparse_index_base_PKT2_PKiS7_S2_PS3_PiS9_
; %bb.0:
	s_load_dwordx4 s[20:23], s[0:1], 0x10
	s_load_dwordx2 s[6:7], s[0:1], 0x0
	s_load_dwordx2 s[8:9], s[0:1], 0x28
	v_lshrrev_b32_e32 v1, 2, v0
	v_mov_b32_e32 v24, 0
	s_waitcnt lgkmcnt(0)
	s_mul_i32 s3, s2, s21
	v_add_u32_e32 v2, s3, v1
	v_cmp_gt_i32_e64 s[4:5], s7, v2
	v_cmp_gt_i32_e32 vcc, s21, v1
	s_and_b64 s[4:5], vcc, s[4:5]
	v_mov_b32_e32 v31, 0
	s_and_saveexec_b64 s[10:11], s[4:5]
	s_cbranch_execnz .LBB68_3
; %bb.1:
	s_or_b64 exec, exec, s[10:11]
	s_and_saveexec_b64 s[10:11], s[4:5]
	s_cbranch_execnz .LBB68_4
.LBB68_2:
	s_or_b64 exec, exec, s[10:11]
	s_cmp_lt_i32 s20, 1
	s_cbranch_scc0 .LBB68_5
	s_branch .LBB68_49
.LBB68_3:
	v_ashrrev_i32_e32 v3, 31, v2
	v_lshl_add_u64 v[4:5], v[2:3], 2, s[8:9]
	global_load_dword v3, v[4:5], off
	s_waitcnt vmcnt(0)
	v_subrev_u32_e32 v31, s23, v3
	s_or_b64 exec, exec, s[10:11]
	s_and_saveexec_b64 s[10:11], s[4:5]
	s_cbranch_execz .LBB68_2
.LBB68_4:
	v_ashrrev_i32_e32 v3, 31, v2
	v_lshl_add_u64 v[2:3], v[2:3], 2, s[8:9]
	global_load_dword v2, v[2:3], off offset:4
	s_waitcnt vmcnt(0)
	v_subrev_u32_e32 v24, s23, v2
	s_or_b64 exec, exec, s[10:11]
	s_cmp_lt_i32 s20, 1
	s_cbranch_scc1 .LBB68_49
.LBB68_5:
	s_load_dwordx4 s[8:11], s[0:1], 0x40
	s_load_dwordx2 s[24:25], s[0:1], 0x50
	s_load_dword s33, s[0:1], 0x38
	s_ashr_i32 s3, s2, 31
	s_lshl_b64 s[2:3], s[2:3], 2
	s_waitcnt lgkmcnt(0)
	s_add_u32 s2, s10, s2
	s_addc_u32 s3, s11, s3
	s_load_dword s4, s[2:3], 0x0
	s_load_dwordx2 s[26:27], s[0:1], 0x20
	s_load_dwordx2 s[28:29], s[0:1], 0x30
	v_mbcnt_lo_u32_b32 v2, -1, 0
	v_mbcnt_hi_u32_b32 v2, -1, v2
	s_waitcnt lgkmcnt(0)
	s_sub_i32 s30, s4, s33
	v_mul_lo_u32 v6, v1, s22
	v_and_b32_e32 v25, 3, v0
	v_lshl_or_b32 v28, v2, 2, 12
	s_cmp_eq_u32 s6, 0
	v_lshlrev_b32_e32 v2, 2, v1
	v_mov_b32_e32 v3, 0
	v_ashrrev_i32_e32 v7, 31, v6
	s_cselect_b64 s[0:1], -1, 0
	s_ashr_i32 s60, s22, 31
	v_lshl_add_u64 v[4:5], s[8:9], 0, v[2:3]
	v_lshl_add_u64 v[6:7], v[6:7], 2, s[8:9]
	v_lshlrev_b32_e32 v2, 2, v25
	s_mul_hi_u32 s2, s22, s21
	s_mul_i32 s3, s60, s21
	s_mul_i32 s62, s22, s21
	v_lshl_add_u64 v[6:7], v[6:7], 0, v[2:3]
	v_mul_lo_u32 v2, v25, s21
	s_lshl_b32 s31, s21, 2
	s_abs_i32 s21, s22
	v_cvt_f32_u32_e32 v18, s21
	v_lshlrev_b32_e32 v26, 5, v1
	s_add_i32 s61, s2, s3
	s_movk_i32 s2, 0x80
	v_lshlrev_b32_e32 v29, 2, v0
	v_cmp_gt_u32_e64 s[2:3], s2, v0
	v_cmp_gt_u32_e64 s[4:5], 64, v0
	;; [unrolled: 1-line block ×7, first 2 shown]
	v_cmp_eq_u32_e64 s[16:17], 0, v0
	v_or_b32_e32 v0, v26, v25
	v_lshlrev_b32_e32 v30, 2, v0
	v_cmp_gt_u32_e64 s[18:19], s22, v25
	v_or_b32_e32 v0, 4, v25
	v_rcp_iflag_f32_e32 v18, v18
	s_and_b64 s[34:35], vcc, s[18:19]
	v_cmp_gt_u32_e64 s[18:19], s22, v0
	v_or_b32_e32 v8, 8, v25
	s_and_b64 s[36:37], vcc, s[18:19]
	v_cmp_gt_u32_e64 s[18:19], s22, v8
	v_or_b32_e32 v10, 12, v25
	;; [unrolled: 3-line block ×4, first 2 shown]
	v_mul_f32_e32 v18, 0x4f7ffffe, v18
	v_add_u32_e32 v0, s31, v2
	s_and_b64 s[42:43], vcc, s[18:19]
	v_cmp_gt_u32_e64 s[18:19], s22, v14
	v_or_b32_e32 v16, 24, v25
	v_cvt_u32_f32_e32 v20, v18
	v_add_u32_e32 v8, s31, v0
	s_and_b64 s[44:45], vcc, s[18:19]
	v_cmp_gt_u32_e64 s[18:19], s22, v16
	v_or_b32_e32 v19, 28, v25
	v_add_u32_e32 v10, s31, v8
	s_and_b64 s[46:47], vcc, s[18:19]
	v_cmp_gt_u32_e64 s[18:19], s22, v19
	v_add_u32_e32 v12, s31, v10
	s_and_b64 s[48:49], vcc, s[18:19]
	s_sub_i32 s18, 0, s21
	v_add_u32_e32 v14, s31, v12
	v_mul_lo_u32 v21, s18, v20
	v_add_u32_e32 v16, s31, v14
	v_mul_hi_u32 v21, v20, v21
	v_mov_b32_e32 v27, 0
	v_mov_b32_e32 v1, v3
	;; [unrolled: 1-line block ×7, first 2 shown]
	v_add_u32_e32 v18, s31, v16
	v_mov_b32_e32 v19, v3
	v_add_u32_e32 v32, v20, v21
	s_mov_b64 s[50:51], 0x50
	s_mov_b64 s[52:53], 0x60
	;; [unrolled: 1-line block ×3, first 2 shown]
	v_mov_b32_e32 v33, 1
	v_mov_b32_e32 v22, 0
	s_branch .LBB68_7
.LBB68_6:                               ;   in Loop: Header=BB68_7 Depth=1
	s_or_b64 exec, exec, s[18:19]
	s_waitcnt lgkmcnt(0)
	s_barrier
	ds_read_b32 v22, v3
	s_add_i32 s30, s31, s30
	s_waitcnt lgkmcnt(0)
	s_barrier
	v_cmp_gt_i32_e32 vcc, s20, v22
	s_cbranch_vccz .LBB68_49
.LBB68_7:                               ; =>This Loop Header: Depth=1
                                        ;     Child Loop BB68_10 Depth 2
	v_add_u32_e32 v20, v31, v25
	v_cmp_lt_i32_e32 vcc, v20, v24
	v_mov_b32_e32 v34, s20
	v_mov_b32_e32 v31, v24
	ds_write_b8 v3, v27 offset:8192
	ds_write2_b32 v30, v3, v3 offset1:4
	ds_write2_b32 v30, v3, v3 offset0:8 offset1:12
	ds_write2_b32 v30, v3, v3 offset0:16 offset1:20
	;; [unrolled: 1-line block ×3, first 2 shown]
	s_waitcnt lgkmcnt(0)
	s_barrier
	s_and_saveexec_b64 s[56:57], vcc
	s_cbranch_execz .LBB68_15
; %bb.8:                                ;   in Loop: Header=BB68_7 Depth=1
	v_mul_lo_u32 v23, v22, s22
	s_mov_b64 s[58:59], 0
	v_mov_b32_e32 v34, s20
	v_mov_b32_e32 v31, v24
	s_branch .LBB68_10
.LBB68_9:                               ;   in Loop: Header=BB68_10 Depth=2
	s_or_b64 exec, exec, s[18:19]
	v_add_u32_e32 v20, 4, v20
	v_cmp_ge_i32_e64 s[18:19], v20, v24
	s_xor_b64 s[64:65], vcc, -1
	s_or_b64 s[18:19], s[64:65], s[18:19]
	s_and_b64 s[18:19], exec, s[18:19]
	s_or_b64 s[58:59], s[18:19], s[58:59]
	s_andn2_b64 exec, exec, s[58:59]
	s_cbranch_execz .LBB68_14
.LBB68_10:                              ;   Parent Loop BB68_7 Depth=1
                                        ; =>  This Inner Loop Header: Depth=2
	v_ashrrev_i32_e32 v21, 31, v20
	v_lshl_add_u64 v[36:37], v[20:21], 2, s[28:29]
	global_load_dword v35, v[36:37], off
	s_waitcnt vmcnt(0)
	v_subrev_u32_e32 v35, s23, v35
	v_sub_u32_e32 v37, 0, v35
	v_max_i32_e32 v37, v35, v37
	v_mul_hi_u32 v38, v37, v32
	v_mul_lo_u32 v39, v38, s21
	v_sub_u32_e32 v37, v37, v39
	v_add_u32_e32 v40, 1, v38
	v_cmp_le_u32_e32 vcc, s21, v37
	v_subrev_u32_e32 v39, s21, v37
	v_ashrrev_i32_e32 v36, 31, v35
	v_cndmask_b32_e32 v38, v38, v40, vcc
	v_cndmask_b32_e32 v37, v37, v39, vcc
	v_add_u32_e32 v39, 1, v38
	v_cmp_le_u32_e32 vcc, s21, v37
	v_xor_b32_e32 v36, s60, v36
	s_nop 0
	v_cndmask_b32_e32 v37, v38, v39, vcc
	v_xor_b32_e32 v37, v37, v36
	v_sub_u32_e32 v37, v37, v36
	v_cmp_eq_u32_e32 vcc, v37, v22
	v_cmp_ne_u32_e64 s[18:19], v37, v22
	v_mov_b32_e32 v36, v31
	s_and_saveexec_b64 s[64:65], s[18:19]
	s_xor_b64 s[18:19], exec, s[64:65]
; %bb.11:                               ;   in Loop: Header=BB68_10 Depth=2
	v_min_i32_e32 v34, v37, v34
                                        ; implicit-def: $vgpr35
                                        ; implicit-def: $vgpr36
; %bb.12:                               ;   in Loop: Header=BB68_10 Depth=2
	s_or_saveexec_b64 s[18:19], s[18:19]
	v_mov_b32_e32 v31, v20
	s_xor_b64 exec, exec, s[18:19]
	s_cbranch_execz .LBB68_9
; %bb.13:                               ;   in Loop: Header=BB68_10 Depth=2
	v_lshl_add_u64 v[38:39], v[20:21], 2, s[26:27]
	global_load_dword v21, v[38:39], off
	v_sub_u32_e32 v31, v35, v23
	v_add_lshl_u32 v31, v31, v26, 2
	ds_write_b8 v3, v33 offset:8192
	s_waitcnt vmcnt(0)
	ds_write_b32 v31, v21
	v_mov_b32_e32 v31, v36
	s_branch .LBB68_9
.LBB68_14:                              ;   in Loop: Header=BB68_7 Depth=1
	s_or_b64 exec, exec, s[58:59]
.LBB68_15:                              ;   in Loop: Header=BB68_7 Depth=1
	s_or_b64 exec, exec, s[56:57]
	v_mov_b32_dpp v20, v31 row_shr:1 row_mask:0xf bank_mask:0xf
	v_min_i32_e32 v20, v20, v31
	s_waitcnt lgkmcnt(0)
	s_barrier
	ds_read_u8 v21, v3 offset:8192
	v_mov_b32_dpp v23, v20 row_shr:2 row_mask:0xf bank_mask:0xf
	v_min_i32_e32 v20, v23, v20
	ds_bpermute_b32 v31, v28, v20
	s_mov_b32 s31, 0
	s_waitcnt lgkmcnt(1)
	v_cmp_eq_u32_e32 vcc, 0, v21
	s_cbranch_vccnz .LBB68_26
; %bb.16:                               ;   in Loop: Header=BB68_7 Depth=1
	s_ashr_i32 s31, s30, 31
	s_lshl_b64 s[18:19], s[30:31], 2
	s_add_u32 s18, s24, s18
	v_add_u32_e32 v20, s33, v22
	s_addc_u32 s19, s25, s19
	global_store_dword v3, v20, s[18:19]
	s_mul_hi_u32 s18, s62, s30
	s_mul_i32 s19, s62, s31
	s_add_i32 s18, s18, s19
	s_mul_i32 s19, s61, s30
	s_add_i32 s19, s18, s19
	s_mul_i32 s18, s62, s30
	s_lshl_b64 s[18:19], s[18:19], 2
	v_lshl_add_u64 v[20:21], v[4:5], 0, s[18:19]
	v_lshl_add_u64 v[22:23], v[6:7], 0, s[18:19]
	s_and_saveexec_b64 s[18:19], s[34:35]
	s_cbranch_execnz .LBB68_42
; %bb.17:                               ;   in Loop: Header=BB68_7 Depth=1
	s_or_b64 exec, exec, s[18:19]
	s_and_saveexec_b64 s[18:19], s[36:37]
	s_cbranch_execnz .LBB68_43
.LBB68_18:                              ;   in Loop: Header=BB68_7 Depth=1
	s_or_b64 exec, exec, s[18:19]
	s_and_saveexec_b64 s[18:19], s[38:39]
	s_cbranch_execnz .LBB68_44
.LBB68_19:                              ;   in Loop: Header=BB68_7 Depth=1
	s_or_b64 exec, exec, s[18:19]
	s_and_saveexec_b64 s[18:19], s[40:41]
	s_cbranch_execnz .LBB68_45
.LBB68_20:                              ;   in Loop: Header=BB68_7 Depth=1
	s_or_b64 exec, exec, s[18:19]
	s_and_saveexec_b64 s[18:19], s[42:43]
	s_cbranch_execnz .LBB68_46
.LBB68_21:                              ;   in Loop: Header=BB68_7 Depth=1
	s_or_b64 exec, exec, s[18:19]
	s_and_saveexec_b64 s[18:19], s[44:45]
	s_cbranch_execnz .LBB68_47
.LBB68_22:                              ;   in Loop: Header=BB68_7 Depth=1
	s_or_b64 exec, exec, s[18:19]
	s_and_saveexec_b64 s[18:19], s[46:47]
	s_cbranch_execnz .LBB68_48
.LBB68_23:                              ;   in Loop: Header=BB68_7 Depth=1
	s_or_b64 exec, exec, s[18:19]
	s_and_saveexec_b64 s[18:19], s[48:49]
	s_cbranch_execz .LBB68_25
.LBB68_24:                              ;   in Loop: Header=BB68_7 Depth=1
	ds_read_b32 v35, v30 offset:112
	v_lshl_add_u64 v[22:23], v[22:23], 0, s[54:55]
	v_lshl_add_u64 v[20:21], v[18:19], 2, v[20:21]
	v_cndmask_b32_e64 v21, v21, v23, s[0:1]
	v_cndmask_b32_e64 v20, v20, v22, s[0:1]
	s_waitcnt lgkmcnt(0)
	global_store_dword v[20:21], v35, off
.LBB68_25:                              ;   in Loop: Header=BB68_7 Depth=1
	s_or_b64 exec, exec, s[18:19]
	s_mov_b32 s31, 1
.LBB68_26:                              ;   in Loop: Header=BB68_7 Depth=1
	s_waitcnt lgkmcnt(0)
	s_barrier
	ds_write_b32 v29, v34
	s_waitcnt lgkmcnt(0)
	s_barrier
	s_and_saveexec_b64 s[18:19], s[2:3]
	s_cbranch_execz .LBB68_28
; %bb.27:                               ;   in Loop: Header=BB68_7 Depth=1
	ds_read2st64_b32 v[20:21], v29 offset1:2
	s_waitcnt lgkmcnt(0)
	v_min_i32_e32 v20, v21, v20
	ds_write_b32 v29, v20
.LBB68_28:                              ;   in Loop: Header=BB68_7 Depth=1
	s_or_b64 exec, exec, s[18:19]
	s_waitcnt lgkmcnt(0)
	s_barrier
	s_and_saveexec_b64 s[18:19], s[4:5]
	s_cbranch_execz .LBB68_30
; %bb.29:                               ;   in Loop: Header=BB68_7 Depth=1
	ds_read2st64_b32 v[20:21], v29 offset1:1
	s_waitcnt lgkmcnt(0)
	v_min_i32_e32 v20, v21, v20
	ds_write_b32 v29, v20
.LBB68_30:                              ;   in Loop: Header=BB68_7 Depth=1
	s_or_b64 exec, exec, s[18:19]
	s_waitcnt lgkmcnt(0)
	s_barrier
	s_and_saveexec_b64 s[18:19], s[6:7]
	s_cbranch_execz .LBB68_32
; %bb.31:                               ;   in Loop: Header=BB68_7 Depth=1
	ds_read2_b32 v[20:21], v29 offset1:32
	s_waitcnt lgkmcnt(0)
	v_min_i32_e32 v20, v21, v20
	ds_write_b32 v29, v20
.LBB68_32:                              ;   in Loop: Header=BB68_7 Depth=1
	s_or_b64 exec, exec, s[18:19]
	s_waitcnt lgkmcnt(0)
	s_barrier
	s_and_saveexec_b64 s[18:19], s[8:9]
	s_cbranch_execz .LBB68_34
; %bb.33:                               ;   in Loop: Header=BB68_7 Depth=1
	ds_read2_b32 v[20:21], v29 offset1:16
	s_waitcnt lgkmcnt(0)
	v_min_i32_e32 v20, v21, v20
	ds_write_b32 v29, v20
.LBB68_34:                              ;   in Loop: Header=BB68_7 Depth=1
	s_or_b64 exec, exec, s[18:19]
	s_waitcnt lgkmcnt(0)
	s_barrier
	s_and_saveexec_b64 s[18:19], s[10:11]
	s_cbranch_execz .LBB68_36
; %bb.35:                               ;   in Loop: Header=BB68_7 Depth=1
	ds_read2_b32 v[20:21], v29 offset1:8
	s_waitcnt lgkmcnt(0)
	v_min_i32_e32 v20, v21, v20
	ds_write_b32 v29, v20
.LBB68_36:                              ;   in Loop: Header=BB68_7 Depth=1
	s_or_b64 exec, exec, s[18:19]
	s_waitcnt lgkmcnt(0)
	s_barrier
	s_and_saveexec_b64 s[18:19], s[12:13]
	s_cbranch_execz .LBB68_38
; %bb.37:                               ;   in Loop: Header=BB68_7 Depth=1
	ds_read2_b32 v[20:21], v29 offset1:4
	s_waitcnt lgkmcnt(0)
	v_min_i32_e32 v20, v21, v20
	ds_write_b32 v29, v20
.LBB68_38:                              ;   in Loop: Header=BB68_7 Depth=1
	s_or_b64 exec, exec, s[18:19]
	s_waitcnt lgkmcnt(0)
	s_barrier
	s_and_saveexec_b64 s[18:19], s[14:15]
	s_cbranch_execz .LBB68_40
; %bb.39:                               ;   in Loop: Header=BB68_7 Depth=1
	ds_read2_b32 v[20:21], v29 offset1:2
	s_waitcnt lgkmcnt(0)
	v_min_i32_e32 v20, v21, v20
	ds_write_b32 v29, v20
.LBB68_40:                              ;   in Loop: Header=BB68_7 Depth=1
	s_or_b64 exec, exec, s[18:19]
	s_waitcnt lgkmcnt(0)
	s_barrier
	s_and_saveexec_b64 s[18:19], s[16:17]
	s_cbranch_execz .LBB68_6
; %bb.41:                               ;   in Loop: Header=BB68_7 Depth=1
	ds_read_b64 v[20:21], v3
	s_waitcnt lgkmcnt(0)
	v_min_i32_e32 v20, v21, v20
	ds_write_b32 v3, v20
	s_branch .LBB68_6
.LBB68_42:                              ;   in Loop: Header=BB68_7 Depth=1
	ds_read_b32 v35, v30
	v_lshl_add_u64 v[36:37], v[2:3], 2, v[20:21]
	v_cndmask_b32_e64 v37, v37, v23, s[0:1]
	v_cndmask_b32_e64 v36, v36, v22, s[0:1]
	s_waitcnt lgkmcnt(0)
	global_store_dword v[36:37], v35, off
	s_or_b64 exec, exec, s[18:19]
	s_and_saveexec_b64 s[18:19], s[36:37]
	s_cbranch_execz .LBB68_18
.LBB68_43:                              ;   in Loop: Header=BB68_7 Depth=1
	ds_read_b32 v35, v30 offset:16
	v_lshl_add_u64 v[36:37], v[22:23], 0, 16
	v_lshl_add_u64 v[38:39], v[0:1], 2, v[20:21]
	v_cndmask_b32_e64 v37, v39, v37, s[0:1]
	v_cndmask_b32_e64 v36, v38, v36, s[0:1]
	s_waitcnt lgkmcnt(0)
	global_store_dword v[36:37], v35, off
	s_or_b64 exec, exec, s[18:19]
	s_and_saveexec_b64 s[18:19], s[38:39]
	s_cbranch_execz .LBB68_19
.LBB68_44:                              ;   in Loop: Header=BB68_7 Depth=1
	ds_read_b32 v35, v30 offset:32
	v_lshl_add_u64 v[36:37], v[22:23], 0, 32
	v_lshl_add_u64 v[38:39], v[8:9], 2, v[20:21]
	v_cndmask_b32_e64 v37, v39, v37, s[0:1]
	v_cndmask_b32_e64 v36, v38, v36, s[0:1]
	s_waitcnt lgkmcnt(0)
	global_store_dword v[36:37], v35, off
	s_or_b64 exec, exec, s[18:19]
	s_and_saveexec_b64 s[18:19], s[40:41]
	s_cbranch_execz .LBB68_20
.LBB68_45:                              ;   in Loop: Header=BB68_7 Depth=1
	ds_read_b32 v35, v30 offset:48
	v_lshl_add_u64 v[36:37], v[22:23], 0, 48
	v_lshl_add_u64 v[38:39], v[10:11], 2, v[20:21]
	v_cndmask_b32_e64 v37, v39, v37, s[0:1]
	v_cndmask_b32_e64 v36, v38, v36, s[0:1]
	s_waitcnt lgkmcnt(0)
	global_store_dword v[36:37], v35, off
	s_or_b64 exec, exec, s[18:19]
	s_and_saveexec_b64 s[18:19], s[42:43]
	s_cbranch_execz .LBB68_21
.LBB68_46:                              ;   in Loop: Header=BB68_7 Depth=1
	ds_read_b32 v35, v30 offset:64
	v_lshl_add_u64 v[36:37], v[22:23], 0, 64
	v_lshl_add_u64 v[38:39], v[12:13], 2, v[20:21]
	v_cndmask_b32_e64 v37, v39, v37, s[0:1]
	v_cndmask_b32_e64 v36, v38, v36, s[0:1]
	s_waitcnt lgkmcnt(0)
	global_store_dword v[36:37], v35, off
	s_or_b64 exec, exec, s[18:19]
	s_and_saveexec_b64 s[18:19], s[44:45]
	s_cbranch_execz .LBB68_22
.LBB68_47:                              ;   in Loop: Header=BB68_7 Depth=1
	ds_read_b32 v35, v30 offset:80
	v_lshl_add_u64 v[36:37], v[22:23], 0, s[50:51]
	v_lshl_add_u64 v[38:39], v[14:15], 2, v[20:21]
	v_cndmask_b32_e64 v37, v39, v37, s[0:1]
	v_cndmask_b32_e64 v36, v38, v36, s[0:1]
	s_waitcnt lgkmcnt(0)
	global_store_dword v[36:37], v35, off
	s_or_b64 exec, exec, s[18:19]
	s_and_saveexec_b64 s[18:19], s[46:47]
	s_cbranch_execz .LBB68_23
.LBB68_48:                              ;   in Loop: Header=BB68_7 Depth=1
	ds_read_b32 v35, v30 offset:96
	v_lshl_add_u64 v[36:37], v[22:23], 0, s[52:53]
	v_lshl_add_u64 v[38:39], v[16:17], 2, v[20:21]
	v_cndmask_b32_e64 v37, v39, v37, s[0:1]
	v_cndmask_b32_e64 v36, v38, v36, s[0:1]
	s_waitcnt lgkmcnt(0)
	global_store_dword v[36:37], v35, off
	s_or_b64 exec, exec, s[18:19]
	s_and_saveexec_b64 s[18:19], s[48:49]
	s_cbranch_execnz .LBB68_24
	s_branch .LBB68_25
.LBB68_49:
	s_endpgm
	.section	.rodata,"a",@progbits
	.p2align	6, 0x0
	.amdhsa_kernel _ZN9rocsparseL40csr2gebsr_block_per_row_multipass_kernelILj256ELj64ELj32EfEEv20rocsparse_direction_iiiiii21rocsparse_index_base_PKT2_PKiS7_S2_PS3_PiS9_
		.amdhsa_group_segment_fixed_size 8196
		.amdhsa_private_segment_fixed_size 0
		.amdhsa_kernarg_size 88
		.amdhsa_user_sgpr_count 2
		.amdhsa_user_sgpr_dispatch_ptr 0
		.amdhsa_user_sgpr_queue_ptr 0
		.amdhsa_user_sgpr_kernarg_segment_ptr 1
		.amdhsa_user_sgpr_dispatch_id 0
		.amdhsa_user_sgpr_kernarg_preload_length 0
		.amdhsa_user_sgpr_kernarg_preload_offset 0
		.amdhsa_user_sgpr_private_segment_size 0
		.amdhsa_uses_dynamic_stack 0
		.amdhsa_enable_private_segment 0
		.amdhsa_system_sgpr_workgroup_id_x 1
		.amdhsa_system_sgpr_workgroup_id_y 0
		.amdhsa_system_sgpr_workgroup_id_z 0
		.amdhsa_system_sgpr_workgroup_info 0
		.amdhsa_system_vgpr_workitem_id 0
		.amdhsa_next_free_vgpr 41
		.amdhsa_next_free_sgpr 66
		.amdhsa_accum_offset 44
		.amdhsa_reserve_vcc 1
		.amdhsa_float_round_mode_32 0
		.amdhsa_float_round_mode_16_64 0
		.amdhsa_float_denorm_mode_32 3
		.amdhsa_float_denorm_mode_16_64 3
		.amdhsa_dx10_clamp 1
		.amdhsa_ieee_mode 1
		.amdhsa_fp16_overflow 0
		.amdhsa_tg_split 0
		.amdhsa_exception_fp_ieee_invalid_op 0
		.amdhsa_exception_fp_denorm_src 0
		.amdhsa_exception_fp_ieee_div_zero 0
		.amdhsa_exception_fp_ieee_overflow 0
		.amdhsa_exception_fp_ieee_underflow 0
		.amdhsa_exception_fp_ieee_inexact 0
		.amdhsa_exception_int_div_zero 0
	.end_amdhsa_kernel
	.section	.text._ZN9rocsparseL40csr2gebsr_block_per_row_multipass_kernelILj256ELj64ELj32EfEEv20rocsparse_direction_iiiiii21rocsparse_index_base_PKT2_PKiS7_S2_PS3_PiS9_,"axG",@progbits,_ZN9rocsparseL40csr2gebsr_block_per_row_multipass_kernelILj256ELj64ELj32EfEEv20rocsparse_direction_iiiiii21rocsparse_index_base_PKT2_PKiS7_S2_PS3_PiS9_,comdat
.Lfunc_end68:
	.size	_ZN9rocsparseL40csr2gebsr_block_per_row_multipass_kernelILj256ELj64ELj32EfEEv20rocsparse_direction_iiiiii21rocsparse_index_base_PKT2_PKiS7_S2_PS3_PiS9_, .Lfunc_end68-_ZN9rocsparseL40csr2gebsr_block_per_row_multipass_kernelILj256ELj64ELj32EfEEv20rocsparse_direction_iiiiii21rocsparse_index_base_PKT2_PKiS7_S2_PS3_PiS9_
                                        ; -- End function
	.section	.AMDGPU.csdata,"",@progbits
; Kernel info:
; codeLenInByte = 2220
; NumSgprs: 72
; NumVgprs: 41
; NumAgprs: 0
; TotalNumVgprs: 41
; ScratchSize: 0
; MemoryBound: 0
; FloatMode: 240
; IeeeMode: 1
; LDSByteSize: 8196 bytes/workgroup (compile time only)
; SGPRBlocks: 8
; VGPRBlocks: 5
; NumSGPRsForWavesPerEU: 72
; NumVGPRsForWavesPerEU: 41
; AccumOffset: 44
; Occupancy: 7
; WaveLimiterHint : 0
; COMPUTE_PGM_RSRC2:SCRATCH_EN: 0
; COMPUTE_PGM_RSRC2:USER_SGPR: 2
; COMPUTE_PGM_RSRC2:TRAP_HANDLER: 0
; COMPUTE_PGM_RSRC2:TGID_X_EN: 1
; COMPUTE_PGM_RSRC2:TGID_Y_EN: 0
; COMPUTE_PGM_RSRC2:TGID_Z_EN: 0
; COMPUTE_PGM_RSRC2:TIDIG_COMP_CNT: 0
; COMPUTE_PGM_RSRC3_GFX90A:ACCUM_OFFSET: 10
; COMPUTE_PGM_RSRC3_GFX90A:TG_SPLIT: 0
	.section	.text._ZN9rocsparseL40csr2gebsr_block_per_row_multipass_kernelILj256ELj64ELj64EfEEv20rocsparse_direction_iiiiii21rocsparse_index_base_PKT2_PKiS7_S2_PS3_PiS9_,"axG",@progbits,_ZN9rocsparseL40csr2gebsr_block_per_row_multipass_kernelILj256ELj64ELj64EfEEv20rocsparse_direction_iiiiii21rocsparse_index_base_PKT2_PKiS7_S2_PS3_PiS9_,comdat
	.globl	_ZN9rocsparseL40csr2gebsr_block_per_row_multipass_kernelILj256ELj64ELj64EfEEv20rocsparse_direction_iiiiii21rocsparse_index_base_PKT2_PKiS7_S2_PS3_PiS9_ ; -- Begin function _ZN9rocsparseL40csr2gebsr_block_per_row_multipass_kernelILj256ELj64ELj64EfEEv20rocsparse_direction_iiiiii21rocsparse_index_base_PKT2_PKiS7_S2_PS3_PiS9_
	.p2align	8
	.type	_ZN9rocsparseL40csr2gebsr_block_per_row_multipass_kernelILj256ELj64ELj64EfEEv20rocsparse_direction_iiiiii21rocsparse_index_base_PKT2_PKiS7_S2_PS3_PiS9_,@function
_ZN9rocsparseL40csr2gebsr_block_per_row_multipass_kernelILj256ELj64ELj64EfEEv20rocsparse_direction_iiiiii21rocsparse_index_base_PKT2_PKiS7_S2_PS3_PiS9_: ; @_ZN9rocsparseL40csr2gebsr_block_per_row_multipass_kernelILj256ELj64ELj64EfEEv20rocsparse_direction_iiiiii21rocsparse_index_base_PKT2_PKiS7_S2_PS3_PiS9_
; %bb.0:
	s_load_dwordx4 s[20:23], s[0:1], 0x10
	s_load_dwordx2 s[6:7], s[0:1], 0x0
	s_load_dwordx2 s[8:9], s[0:1], 0x28
	v_lshrrev_b32_e32 v1, 2, v0
	v_mov_b32_e32 v40, 0
	s_waitcnt lgkmcnt(0)
	s_mul_i32 s3, s2, s21
	v_add_u32_e32 v2, s3, v1
	v_cmp_gt_i32_e64 s[4:5], s7, v2
	v_cmp_gt_i32_e32 vcc, s21, v1
	s_and_b64 s[4:5], vcc, s[4:5]
	v_mov_b32_e32 v47, 0
	s_and_saveexec_b64 s[10:11], s[4:5]
	s_cbranch_execnz .LBB69_3
; %bb.1:
	s_or_b64 exec, exec, s[10:11]
	s_and_saveexec_b64 s[10:11], s[4:5]
	s_cbranch_execnz .LBB69_4
.LBB69_2:
	s_or_b64 exec, exec, s[10:11]
	s_cmp_lt_i32 s20, 1
	s_cbranch_scc0 .LBB69_5
	s_branch .LBB69_65
.LBB69_3:
	v_ashrrev_i32_e32 v3, 31, v2
	v_lshl_add_u64 v[4:5], v[2:3], 2, s[8:9]
	global_load_dword v3, v[4:5], off
	s_waitcnt vmcnt(0)
	v_subrev_u32_e32 v47, s23, v3
	s_or_b64 exec, exec, s[10:11]
	s_and_saveexec_b64 s[10:11], s[4:5]
	s_cbranch_execz .LBB69_2
.LBB69_4:
	v_ashrrev_i32_e32 v3, 31, v2
	v_lshl_add_u64 v[2:3], v[2:3], 2, s[8:9]
	global_load_dword v2, v[2:3], off offset:4
	s_waitcnt vmcnt(0)
	v_subrev_u32_e32 v40, s23, v2
	s_or_b64 exec, exec, s[10:11]
	s_cmp_lt_i32 s20, 1
	s_cbranch_scc1 .LBB69_65
.LBB69_5:
	s_load_dwordx4 s[8:11], s[0:1], 0x40
	s_load_dwordx2 s[24:25], s[0:1], 0x50
	s_load_dword s33, s[0:1], 0x38
	s_ashr_i32 s3, s2, 31
	s_lshl_b64 s[2:3], s[2:3], 2
	s_waitcnt lgkmcnt(0)
	s_add_u32 s2, s10, s2
	s_addc_u32 s3, s11, s3
	s_load_dword s4, s[2:3], 0x0
	s_load_dwordx2 s[26:27], s[0:1], 0x20
	s_load_dwordx2 s[28:29], s[0:1], 0x30
	v_mbcnt_lo_u32_b32 v2, -1, 0
	v_mbcnt_hi_u32_b32 v2, -1, v2
	s_waitcnt lgkmcnt(0)
	s_sub_i32 s30, s4, s33
	s_cmp_eq_u32 s6, 0
	s_cselect_b64 s[0:1], -1, 0
	s_ashr_i32 s92, s22, 31
	s_mul_hi_u32 s2, s22, s21
	s_mul_i32 s3, s92, s21
	v_mul_lo_u32 v6, v1, s22
	v_and_b32_e32 v41, 3, v0
	v_lshlrev_b32_e32 v42, 6, v1
	v_lshl_or_b32 v44, v2, 2, 12
	s_add_i32 s93, s2, s3
	v_lshlrev_b32_e32 v2, 2, v1
	v_mov_b32_e32 v3, 0
	v_ashrrev_i32_e32 v7, 31, v6
	s_movk_i32 s2, 0x80
	v_lshl_add_u64 v[4:5], s[8:9], 0, v[2:3]
	v_lshl_add_u64 v[6:7], v[6:7], 2, s[8:9]
	v_lshlrev_b32_e32 v45, 2, v0
	v_cmp_gt_u32_e64 s[2:3], s2, v0
	v_cmp_gt_u32_e64 s[4:5], 64, v0
	;; [unrolled: 1-line block ×7, first 2 shown]
	v_cmp_eq_u32_e64 s[16:17], 0, v0
	v_or_b32_e32 v0, v42, v41
	v_lshlrev_b32_e32 v46, 2, v0
	v_cmp_gt_u32_e64 s[18:19], s22, v41
	v_or_b32_e32 v0, 4, v41
	s_and_b64 s[34:35], vcc, s[18:19]
	v_cmp_gt_u32_e64 s[18:19], s22, v0
	v_or_b32_e32 v8, 8, v41
	v_lshlrev_b32_e32 v2, 2, v41
	s_and_b64 s[36:37], vcc, s[18:19]
	v_cmp_gt_u32_e64 s[18:19], s22, v8
	v_or_b32_e32 v10, 12, v41
	s_mul_i32 s94, s22, s21
	v_lshl_add_u64 v[6:7], v[6:7], 0, v[2:3]
	v_mul_lo_u32 v2, v41, s21
	s_lshl_b32 s31, s21, 2
	s_and_b64 s[38:39], vcc, s[18:19]
	v_cmp_gt_u32_e64 s[18:19], s22, v10
	v_or_b32_e32 v12, 16, v41
	s_abs_i32 s21, s22
	s_and_b64 s[40:41], vcc, s[18:19]
	v_cmp_gt_u32_e64 s[18:19], s22, v12
	v_or_b32_e32 v14, 20, v41
	v_cvt_f32_u32_e32 v34, s21
	v_add_u32_e32 v0, s31, v2
	s_and_b64 s[42:43], vcc, s[18:19]
	v_cmp_gt_u32_e64 s[18:19], s22, v14
	v_or_b32_e32 v16, 24, v41
	v_add_u32_e32 v8, s31, v0
	s_and_b64 s[44:45], vcc, s[18:19]
	v_cmp_gt_u32_e64 s[18:19], s22, v16
	v_or_b32_e32 v18, 28, v41
	;; [unrolled: 4-line block ×4, first 2 shown]
	v_rcp_iflag_f32_e32 v34, v34
	v_add_u32_e32 v14, s31, v12
	s_and_b64 s[50:51], vcc, s[18:19]
	v_cmp_gt_u32_e64 s[18:19], s22, v22
	v_or_b32_e32 v24, 40, v41
	v_add_u32_e32 v16, s31, v14
	s_and_b64 s[52:53], vcc, s[18:19]
	v_cmp_gt_u32_e64 s[18:19], s22, v24
	v_or_b32_e32 v26, 44, v41
	v_add_u32_e32 v18, s31, v16
	s_and_b64 s[54:55], vcc, s[18:19]
	v_cmp_gt_u32_e64 s[18:19], s22, v26
	v_or_b32_e32 v28, 48, v41
	v_add_u32_e32 v20, s31, v18
	s_and_b64 s[56:57], vcc, s[18:19]
	v_cmp_gt_u32_e64 s[18:19], s22, v28
	v_or_b32_e32 v30, 52, v41
	v_mul_f32_e32 v34, 0x4f7ffffe, v34
	v_add_u32_e32 v22, s31, v20
	s_and_b64 s[58:59], vcc, s[18:19]
	v_cmp_gt_u32_e64 s[18:19], s22, v30
	v_or_b32_e32 v32, 56, v41
	v_cvt_u32_f32_e32 v36, v34
	v_add_u32_e32 v24, s31, v22
	s_and_b64 s[60:61], vcc, s[18:19]
	v_cmp_gt_u32_e64 s[18:19], s22, v32
	v_or_b32_e32 v35, 60, v41
	v_add_u32_e32 v26, s31, v24
	s_and_b64 s[62:63], vcc, s[18:19]
	v_cmp_gt_u32_e64 s[18:19], s22, v35
	v_add_u32_e32 v28, s31, v26
	s_and_b64 s[64:65], vcc, s[18:19]
	s_sub_i32 s18, 0, s21
	v_add_u32_e32 v30, s31, v28
	v_mul_lo_u32 v37, s18, v36
	v_add_u32_e32 v32, s31, v30
	v_mul_hi_u32 v37, v36, v37
	v_mov_b32_e32 v43, 0
	v_mov_b32_e32 v1, v3
	;; [unrolled: 1-line block ×15, first 2 shown]
	v_add_u32_e32 v34, s31, v32
	v_mov_b32_e32 v35, v3
	v_add_u32_e32 v48, v36, v37
	s_mov_b64 s[66:67], 0x50
	s_mov_b64 s[68:69], 0x60
	;; [unrolled: 1-line block ×11, first 2 shown]
	v_mov_b32_e32 v49, 1
	v_mov_b32_e32 v38, 0
	s_branch .LBB69_7
.LBB69_6:                               ;   in Loop: Header=BB69_7 Depth=1
	s_or_b64 exec, exec, s[18:19]
	s_waitcnt lgkmcnt(0)
	s_barrier
	ds_read_b32 v38, v3
	s_add_i32 s30, s31, s30
	s_waitcnt lgkmcnt(0)
	s_barrier
	v_cmp_gt_i32_e32 vcc, s20, v38
	s_cbranch_vccz .LBB69_65
.LBB69_7:                               ; =>This Loop Header: Depth=1
                                        ;     Child Loop BB69_10 Depth 2
	v_add_u32_e32 v36, v47, v41
	v_cmp_lt_i32_e32 vcc, v36, v40
	v_mov_b32_e32 v50, s20
	v_mov_b32_e32 v47, v40
	ds_write_b8 v3, v43 offset:16384
	ds_write2_b32 v46, v3, v3 offset1:4
	ds_write2_b32 v46, v3, v3 offset0:8 offset1:12
	ds_write2_b32 v46, v3, v3 offset0:16 offset1:20
	;; [unrolled: 1-line block ×7, first 2 shown]
	s_waitcnt lgkmcnt(0)
	s_barrier
	s_and_saveexec_b64 s[88:89], vcc
	s_cbranch_execz .LBB69_15
; %bb.8:                                ;   in Loop: Header=BB69_7 Depth=1
	v_mul_lo_u32 v39, v38, s22
	s_mov_b64 s[90:91], 0
	v_mov_b32_e32 v50, s20
	v_mov_b32_e32 v47, v40
	s_branch .LBB69_10
.LBB69_9:                               ;   in Loop: Header=BB69_10 Depth=2
	s_or_b64 exec, exec, s[18:19]
	v_add_u32_e32 v36, 4, v36
	v_cmp_ge_i32_e64 s[18:19], v36, v40
	s_xor_b64 s[96:97], vcc, -1
	s_or_b64 s[18:19], s[96:97], s[18:19]
	s_and_b64 s[18:19], exec, s[18:19]
	s_or_b64 s[90:91], s[18:19], s[90:91]
	s_andn2_b64 exec, exec, s[90:91]
	s_cbranch_execz .LBB69_14
.LBB69_10:                              ;   Parent Loop BB69_7 Depth=1
                                        ; =>  This Inner Loop Header: Depth=2
	v_ashrrev_i32_e32 v37, 31, v36
	v_lshl_add_u64 v[52:53], v[36:37], 2, s[28:29]
	global_load_dword v51, v[52:53], off
	s_waitcnt vmcnt(0)
	v_subrev_u32_e32 v51, s23, v51
	v_sub_u32_e32 v53, 0, v51
	v_max_i32_e32 v53, v51, v53
	v_mul_hi_u32 v54, v53, v48
	v_mul_lo_u32 v55, v54, s21
	v_sub_u32_e32 v53, v53, v55
	v_add_u32_e32 v56, 1, v54
	v_cmp_le_u32_e32 vcc, s21, v53
	v_subrev_u32_e32 v55, s21, v53
	v_ashrrev_i32_e32 v52, 31, v51
	v_cndmask_b32_e32 v54, v54, v56, vcc
	v_cndmask_b32_e32 v53, v53, v55, vcc
	v_add_u32_e32 v55, 1, v54
	v_cmp_le_u32_e32 vcc, s21, v53
	v_xor_b32_e32 v52, s92, v52
	s_nop 0
	v_cndmask_b32_e32 v53, v54, v55, vcc
	v_xor_b32_e32 v53, v53, v52
	v_sub_u32_e32 v53, v53, v52
	v_cmp_eq_u32_e32 vcc, v53, v38
	v_cmp_ne_u32_e64 s[18:19], v53, v38
	v_mov_b32_e32 v52, v47
	s_and_saveexec_b64 s[96:97], s[18:19]
	s_xor_b64 s[18:19], exec, s[96:97]
; %bb.11:                               ;   in Loop: Header=BB69_10 Depth=2
	v_min_i32_e32 v50, v53, v50
                                        ; implicit-def: $vgpr51
                                        ; implicit-def: $vgpr52
; %bb.12:                               ;   in Loop: Header=BB69_10 Depth=2
	s_or_saveexec_b64 s[18:19], s[18:19]
	v_mov_b32_e32 v47, v36
	s_xor_b64 exec, exec, s[18:19]
	s_cbranch_execz .LBB69_9
; %bb.13:                               ;   in Loop: Header=BB69_10 Depth=2
	v_lshl_add_u64 v[54:55], v[36:37], 2, s[26:27]
	global_load_dword v37, v[54:55], off
	v_sub_u32_e32 v47, v51, v39
	v_add_lshl_u32 v47, v47, v42, 2
	ds_write_b8 v3, v49 offset:16384
	s_waitcnt vmcnt(0)
	ds_write_b32 v47, v37
	v_mov_b32_e32 v47, v52
	s_branch .LBB69_9
.LBB69_14:                              ;   in Loop: Header=BB69_7 Depth=1
	s_or_b64 exec, exec, s[90:91]
.LBB69_15:                              ;   in Loop: Header=BB69_7 Depth=1
	s_or_b64 exec, exec, s[88:89]
	v_mov_b32_dpp v36, v47 row_shr:1 row_mask:0xf bank_mask:0xf
	v_min_i32_e32 v36, v36, v47
	s_waitcnt lgkmcnt(0)
	s_barrier
	ds_read_u8 v37, v3 offset:16384
	v_mov_b32_dpp v39, v36 row_shr:2 row_mask:0xf bank_mask:0xf
	v_min_i32_e32 v36, v39, v36
	ds_bpermute_b32 v47, v44, v36
	s_mov_b32 s31, 0
	s_waitcnt lgkmcnt(1)
	v_cmp_eq_u32_e32 vcc, 0, v37
	s_cbranch_vccnz .LBB69_34
; %bb.16:                               ;   in Loop: Header=BB69_7 Depth=1
	s_ashr_i32 s31, s30, 31
	s_lshl_b64 s[18:19], s[30:31], 2
	s_add_u32 s18, s24, s18
	v_add_u32_e32 v36, s33, v38
	s_addc_u32 s19, s25, s19
	global_store_dword v3, v36, s[18:19]
	s_mul_hi_u32 s18, s94, s30
	s_mul_i32 s19, s94, s31
	s_add_i32 s18, s18, s19
	s_mul_i32 s19, s93, s30
	s_add_i32 s19, s18, s19
	s_mul_i32 s18, s94, s30
	s_lshl_b64 s[18:19], s[18:19], 2
	v_lshl_add_u64 v[36:37], v[4:5], 0, s[18:19]
	v_lshl_add_u64 v[38:39], v[6:7], 0, s[18:19]
	s_and_saveexec_b64 s[18:19], s[34:35]
	s_cbranch_execnz .LBB69_50
; %bb.17:                               ;   in Loop: Header=BB69_7 Depth=1
	s_or_b64 exec, exec, s[18:19]
	s_and_saveexec_b64 s[18:19], s[36:37]
	s_cbranch_execnz .LBB69_51
.LBB69_18:                              ;   in Loop: Header=BB69_7 Depth=1
	s_or_b64 exec, exec, s[18:19]
	s_and_saveexec_b64 s[18:19], s[38:39]
	s_cbranch_execnz .LBB69_52
.LBB69_19:                              ;   in Loop: Header=BB69_7 Depth=1
	s_or_b64 exec, exec, s[18:19]
	s_and_saveexec_b64 s[18:19], s[40:41]
	s_cbranch_execnz .LBB69_53
.LBB69_20:                              ;   in Loop: Header=BB69_7 Depth=1
	s_or_b64 exec, exec, s[18:19]
	s_and_saveexec_b64 s[18:19], s[42:43]
	s_cbranch_execnz .LBB69_54
.LBB69_21:                              ;   in Loop: Header=BB69_7 Depth=1
	s_or_b64 exec, exec, s[18:19]
	s_and_saveexec_b64 s[18:19], s[44:45]
	s_cbranch_execnz .LBB69_55
.LBB69_22:                              ;   in Loop: Header=BB69_7 Depth=1
	s_or_b64 exec, exec, s[18:19]
	s_and_saveexec_b64 s[18:19], s[46:47]
	s_cbranch_execnz .LBB69_56
.LBB69_23:                              ;   in Loop: Header=BB69_7 Depth=1
	s_or_b64 exec, exec, s[18:19]
	s_and_saveexec_b64 s[18:19], s[48:49]
	s_cbranch_execnz .LBB69_57
.LBB69_24:                              ;   in Loop: Header=BB69_7 Depth=1
	s_or_b64 exec, exec, s[18:19]
	s_and_saveexec_b64 s[18:19], s[50:51]
	s_cbranch_execnz .LBB69_58
.LBB69_25:                              ;   in Loop: Header=BB69_7 Depth=1
	s_or_b64 exec, exec, s[18:19]
	s_and_saveexec_b64 s[18:19], s[52:53]
	s_cbranch_execnz .LBB69_59
.LBB69_26:                              ;   in Loop: Header=BB69_7 Depth=1
	s_or_b64 exec, exec, s[18:19]
	s_and_saveexec_b64 s[18:19], s[54:55]
	s_cbranch_execnz .LBB69_60
.LBB69_27:                              ;   in Loop: Header=BB69_7 Depth=1
	s_or_b64 exec, exec, s[18:19]
	s_and_saveexec_b64 s[18:19], s[56:57]
	s_cbranch_execnz .LBB69_61
.LBB69_28:                              ;   in Loop: Header=BB69_7 Depth=1
	s_or_b64 exec, exec, s[18:19]
	s_and_saveexec_b64 s[18:19], s[58:59]
	s_cbranch_execnz .LBB69_62
.LBB69_29:                              ;   in Loop: Header=BB69_7 Depth=1
	s_or_b64 exec, exec, s[18:19]
	s_and_saveexec_b64 s[18:19], s[60:61]
	s_cbranch_execnz .LBB69_63
.LBB69_30:                              ;   in Loop: Header=BB69_7 Depth=1
	s_or_b64 exec, exec, s[18:19]
	s_and_saveexec_b64 s[18:19], s[62:63]
	s_cbranch_execnz .LBB69_64
.LBB69_31:                              ;   in Loop: Header=BB69_7 Depth=1
	s_or_b64 exec, exec, s[18:19]
	s_and_saveexec_b64 s[18:19], s[64:65]
	s_cbranch_execz .LBB69_33
.LBB69_32:                              ;   in Loop: Header=BB69_7 Depth=1
	ds_read_b32 v51, v46 offset:240
	v_lshl_add_u64 v[38:39], v[38:39], 0, s[86:87]
	v_lshl_add_u64 v[36:37], v[34:35], 2, v[36:37]
	v_cndmask_b32_e64 v37, v37, v39, s[0:1]
	v_cndmask_b32_e64 v36, v36, v38, s[0:1]
	s_waitcnt lgkmcnt(0)
	global_store_dword v[36:37], v51, off
.LBB69_33:                              ;   in Loop: Header=BB69_7 Depth=1
	s_or_b64 exec, exec, s[18:19]
	s_mov_b32 s31, 1
.LBB69_34:                              ;   in Loop: Header=BB69_7 Depth=1
	s_waitcnt lgkmcnt(0)
	s_barrier
	ds_write_b32 v45, v50
	s_waitcnt lgkmcnt(0)
	s_barrier
	s_and_saveexec_b64 s[18:19], s[2:3]
	s_cbranch_execz .LBB69_36
; %bb.35:                               ;   in Loop: Header=BB69_7 Depth=1
	ds_read2st64_b32 v[36:37], v45 offset1:2
	s_waitcnt lgkmcnt(0)
	v_min_i32_e32 v36, v37, v36
	ds_write_b32 v45, v36
.LBB69_36:                              ;   in Loop: Header=BB69_7 Depth=1
	s_or_b64 exec, exec, s[18:19]
	s_waitcnt lgkmcnt(0)
	s_barrier
	s_and_saveexec_b64 s[18:19], s[4:5]
	s_cbranch_execz .LBB69_38
; %bb.37:                               ;   in Loop: Header=BB69_7 Depth=1
	ds_read2st64_b32 v[36:37], v45 offset1:1
	s_waitcnt lgkmcnt(0)
	v_min_i32_e32 v36, v37, v36
	ds_write_b32 v45, v36
.LBB69_38:                              ;   in Loop: Header=BB69_7 Depth=1
	s_or_b64 exec, exec, s[18:19]
	s_waitcnt lgkmcnt(0)
	s_barrier
	s_and_saveexec_b64 s[18:19], s[6:7]
	s_cbranch_execz .LBB69_40
; %bb.39:                               ;   in Loop: Header=BB69_7 Depth=1
	ds_read2_b32 v[36:37], v45 offset1:32
	s_waitcnt lgkmcnt(0)
	v_min_i32_e32 v36, v37, v36
	ds_write_b32 v45, v36
.LBB69_40:                              ;   in Loop: Header=BB69_7 Depth=1
	s_or_b64 exec, exec, s[18:19]
	s_waitcnt lgkmcnt(0)
	s_barrier
	s_and_saveexec_b64 s[18:19], s[8:9]
	s_cbranch_execz .LBB69_42
; %bb.41:                               ;   in Loop: Header=BB69_7 Depth=1
	ds_read2_b32 v[36:37], v45 offset1:16
	s_waitcnt lgkmcnt(0)
	v_min_i32_e32 v36, v37, v36
	ds_write_b32 v45, v36
.LBB69_42:                              ;   in Loop: Header=BB69_7 Depth=1
	;; [unrolled: 11-line block ×5, first 2 shown]
	s_or_b64 exec, exec, s[18:19]
	s_waitcnt lgkmcnt(0)
	s_barrier
	s_and_saveexec_b64 s[18:19], s[16:17]
	s_cbranch_execz .LBB69_6
; %bb.49:                               ;   in Loop: Header=BB69_7 Depth=1
	ds_read_b64 v[36:37], v3
	s_waitcnt lgkmcnt(0)
	v_min_i32_e32 v36, v37, v36
	ds_write_b32 v3, v36
	s_branch .LBB69_6
.LBB69_50:                              ;   in Loop: Header=BB69_7 Depth=1
	ds_read_b32 v51, v46
	v_lshl_add_u64 v[52:53], v[2:3], 2, v[36:37]
	v_cndmask_b32_e64 v53, v53, v39, s[0:1]
	v_cndmask_b32_e64 v52, v52, v38, s[0:1]
	s_waitcnt lgkmcnt(0)
	global_store_dword v[52:53], v51, off
	s_or_b64 exec, exec, s[18:19]
	s_and_saveexec_b64 s[18:19], s[36:37]
	s_cbranch_execz .LBB69_18
.LBB69_51:                              ;   in Loop: Header=BB69_7 Depth=1
	ds_read_b32 v51, v46 offset:16
	v_lshl_add_u64 v[52:53], v[38:39], 0, 16
	v_lshl_add_u64 v[54:55], v[0:1], 2, v[36:37]
	v_cndmask_b32_e64 v53, v55, v53, s[0:1]
	v_cndmask_b32_e64 v52, v54, v52, s[0:1]
	s_waitcnt lgkmcnt(0)
	global_store_dword v[52:53], v51, off
	s_or_b64 exec, exec, s[18:19]
	s_and_saveexec_b64 s[18:19], s[38:39]
	s_cbranch_execz .LBB69_19
.LBB69_52:                              ;   in Loop: Header=BB69_7 Depth=1
	ds_read_b32 v51, v46 offset:32
	v_lshl_add_u64 v[52:53], v[38:39], 0, 32
	v_lshl_add_u64 v[54:55], v[8:9], 2, v[36:37]
	v_cndmask_b32_e64 v53, v55, v53, s[0:1]
	v_cndmask_b32_e64 v52, v54, v52, s[0:1]
	s_waitcnt lgkmcnt(0)
	global_store_dword v[52:53], v51, off
	s_or_b64 exec, exec, s[18:19]
	s_and_saveexec_b64 s[18:19], s[40:41]
	s_cbranch_execz .LBB69_20
.LBB69_53:                              ;   in Loop: Header=BB69_7 Depth=1
	ds_read_b32 v51, v46 offset:48
	v_lshl_add_u64 v[52:53], v[38:39], 0, 48
	v_lshl_add_u64 v[54:55], v[10:11], 2, v[36:37]
	v_cndmask_b32_e64 v53, v55, v53, s[0:1]
	v_cndmask_b32_e64 v52, v54, v52, s[0:1]
	s_waitcnt lgkmcnt(0)
	global_store_dword v[52:53], v51, off
	s_or_b64 exec, exec, s[18:19]
	s_and_saveexec_b64 s[18:19], s[42:43]
	s_cbranch_execz .LBB69_21
.LBB69_54:                              ;   in Loop: Header=BB69_7 Depth=1
	ds_read_b32 v51, v46 offset:64
	v_lshl_add_u64 v[52:53], v[38:39], 0, 64
	v_lshl_add_u64 v[54:55], v[12:13], 2, v[36:37]
	v_cndmask_b32_e64 v53, v55, v53, s[0:1]
	v_cndmask_b32_e64 v52, v54, v52, s[0:1]
	s_waitcnt lgkmcnt(0)
	global_store_dword v[52:53], v51, off
	s_or_b64 exec, exec, s[18:19]
	s_and_saveexec_b64 s[18:19], s[44:45]
	s_cbranch_execz .LBB69_22
.LBB69_55:                              ;   in Loop: Header=BB69_7 Depth=1
	ds_read_b32 v51, v46 offset:80
	v_lshl_add_u64 v[52:53], v[38:39], 0, s[66:67]
	v_lshl_add_u64 v[54:55], v[14:15], 2, v[36:37]
	v_cndmask_b32_e64 v53, v55, v53, s[0:1]
	v_cndmask_b32_e64 v52, v54, v52, s[0:1]
	s_waitcnt lgkmcnt(0)
	global_store_dword v[52:53], v51, off
	s_or_b64 exec, exec, s[18:19]
	s_and_saveexec_b64 s[18:19], s[46:47]
	s_cbranch_execz .LBB69_23
.LBB69_56:                              ;   in Loop: Header=BB69_7 Depth=1
	ds_read_b32 v51, v46 offset:96
	v_lshl_add_u64 v[52:53], v[38:39], 0, s[68:69]
	v_lshl_add_u64 v[54:55], v[16:17], 2, v[36:37]
	v_cndmask_b32_e64 v53, v55, v53, s[0:1]
	v_cndmask_b32_e64 v52, v54, v52, s[0:1]
	s_waitcnt lgkmcnt(0)
	global_store_dword v[52:53], v51, off
	s_or_b64 exec, exec, s[18:19]
	s_and_saveexec_b64 s[18:19], s[48:49]
	s_cbranch_execz .LBB69_24
.LBB69_57:                              ;   in Loop: Header=BB69_7 Depth=1
	ds_read_b32 v51, v46 offset:112
	v_lshl_add_u64 v[52:53], v[38:39], 0, s[70:71]
	v_lshl_add_u64 v[54:55], v[18:19], 2, v[36:37]
	v_cndmask_b32_e64 v53, v55, v53, s[0:1]
	v_cndmask_b32_e64 v52, v54, v52, s[0:1]
	s_waitcnt lgkmcnt(0)
	global_store_dword v[52:53], v51, off
	s_or_b64 exec, exec, s[18:19]
	s_and_saveexec_b64 s[18:19], s[50:51]
	s_cbranch_execz .LBB69_25
.LBB69_58:                              ;   in Loop: Header=BB69_7 Depth=1
	ds_read_b32 v51, v46 offset:128
	v_lshl_add_u64 v[52:53], v[38:39], 0, s[72:73]
	v_lshl_add_u64 v[54:55], v[20:21], 2, v[36:37]
	v_cndmask_b32_e64 v53, v55, v53, s[0:1]
	v_cndmask_b32_e64 v52, v54, v52, s[0:1]
	s_waitcnt lgkmcnt(0)
	global_store_dword v[52:53], v51, off
	s_or_b64 exec, exec, s[18:19]
	s_and_saveexec_b64 s[18:19], s[52:53]
	s_cbranch_execz .LBB69_26
.LBB69_59:                              ;   in Loop: Header=BB69_7 Depth=1
	ds_read_b32 v51, v46 offset:144
	v_lshl_add_u64 v[52:53], v[38:39], 0, s[74:75]
	v_lshl_add_u64 v[54:55], v[22:23], 2, v[36:37]
	v_cndmask_b32_e64 v53, v55, v53, s[0:1]
	v_cndmask_b32_e64 v52, v54, v52, s[0:1]
	s_waitcnt lgkmcnt(0)
	global_store_dword v[52:53], v51, off
	s_or_b64 exec, exec, s[18:19]
	s_and_saveexec_b64 s[18:19], s[54:55]
	s_cbranch_execz .LBB69_27
.LBB69_60:                              ;   in Loop: Header=BB69_7 Depth=1
	ds_read_b32 v51, v46 offset:160
	v_lshl_add_u64 v[52:53], v[38:39], 0, s[76:77]
	v_lshl_add_u64 v[54:55], v[24:25], 2, v[36:37]
	v_cndmask_b32_e64 v53, v55, v53, s[0:1]
	v_cndmask_b32_e64 v52, v54, v52, s[0:1]
	s_waitcnt lgkmcnt(0)
	global_store_dword v[52:53], v51, off
	s_or_b64 exec, exec, s[18:19]
	s_and_saveexec_b64 s[18:19], s[56:57]
	s_cbranch_execz .LBB69_28
.LBB69_61:                              ;   in Loop: Header=BB69_7 Depth=1
	ds_read_b32 v51, v46 offset:176
	v_lshl_add_u64 v[52:53], v[38:39], 0, s[78:79]
	v_lshl_add_u64 v[54:55], v[26:27], 2, v[36:37]
	v_cndmask_b32_e64 v53, v55, v53, s[0:1]
	v_cndmask_b32_e64 v52, v54, v52, s[0:1]
	s_waitcnt lgkmcnt(0)
	global_store_dword v[52:53], v51, off
	s_or_b64 exec, exec, s[18:19]
	s_and_saveexec_b64 s[18:19], s[58:59]
	s_cbranch_execz .LBB69_29
.LBB69_62:                              ;   in Loop: Header=BB69_7 Depth=1
	ds_read_b32 v51, v46 offset:192
	v_lshl_add_u64 v[52:53], v[38:39], 0, s[80:81]
	v_lshl_add_u64 v[54:55], v[28:29], 2, v[36:37]
	v_cndmask_b32_e64 v53, v55, v53, s[0:1]
	v_cndmask_b32_e64 v52, v54, v52, s[0:1]
	s_waitcnt lgkmcnt(0)
	global_store_dword v[52:53], v51, off
	s_or_b64 exec, exec, s[18:19]
	s_and_saveexec_b64 s[18:19], s[60:61]
	s_cbranch_execz .LBB69_30
.LBB69_63:                              ;   in Loop: Header=BB69_7 Depth=1
	ds_read_b32 v51, v46 offset:208
	v_lshl_add_u64 v[52:53], v[38:39], 0, s[82:83]
	v_lshl_add_u64 v[54:55], v[30:31], 2, v[36:37]
	v_cndmask_b32_e64 v53, v55, v53, s[0:1]
	v_cndmask_b32_e64 v52, v54, v52, s[0:1]
	s_waitcnt lgkmcnt(0)
	global_store_dword v[52:53], v51, off
	s_or_b64 exec, exec, s[18:19]
	s_and_saveexec_b64 s[18:19], s[62:63]
	s_cbranch_execz .LBB69_31
.LBB69_64:                              ;   in Loop: Header=BB69_7 Depth=1
	ds_read_b32 v51, v46 offset:224
	v_lshl_add_u64 v[52:53], v[38:39], 0, s[84:85]
	v_lshl_add_u64 v[54:55], v[32:33], 2, v[36:37]
	v_cndmask_b32_e64 v53, v55, v53, s[0:1]
	v_cndmask_b32_e64 v52, v54, v52, s[0:1]
	s_waitcnt lgkmcnt(0)
	global_store_dword v[52:53], v51, off
	s_or_b64 exec, exec, s[18:19]
	s_and_saveexec_b64 s[18:19], s[64:65]
	s_cbranch_execnz .LBB69_32
	s_branch .LBB69_33
.LBB69_65:
	s_endpgm
	.section	.rodata,"a",@progbits
	.p2align	6, 0x0
	.amdhsa_kernel _ZN9rocsparseL40csr2gebsr_block_per_row_multipass_kernelILj256ELj64ELj64EfEEv20rocsparse_direction_iiiiii21rocsparse_index_base_PKT2_PKiS7_S2_PS3_PiS9_
		.amdhsa_group_segment_fixed_size 16388
		.amdhsa_private_segment_fixed_size 0
		.amdhsa_kernarg_size 88
		.amdhsa_user_sgpr_count 2
		.amdhsa_user_sgpr_dispatch_ptr 0
		.amdhsa_user_sgpr_queue_ptr 0
		.amdhsa_user_sgpr_kernarg_segment_ptr 1
		.amdhsa_user_sgpr_dispatch_id 0
		.amdhsa_user_sgpr_kernarg_preload_length 0
		.amdhsa_user_sgpr_kernarg_preload_offset 0
		.amdhsa_user_sgpr_private_segment_size 0
		.amdhsa_uses_dynamic_stack 0
		.amdhsa_enable_private_segment 0
		.amdhsa_system_sgpr_workgroup_id_x 1
		.amdhsa_system_sgpr_workgroup_id_y 0
		.amdhsa_system_sgpr_workgroup_id_z 0
		.amdhsa_system_sgpr_workgroup_info 0
		.amdhsa_system_vgpr_workitem_id 0
		.amdhsa_next_free_vgpr 57
		.amdhsa_next_free_sgpr 98
		.amdhsa_accum_offset 60
		.amdhsa_reserve_vcc 1
		.amdhsa_float_round_mode_32 0
		.amdhsa_float_round_mode_16_64 0
		.amdhsa_float_denorm_mode_32 3
		.amdhsa_float_denorm_mode_16_64 3
		.amdhsa_dx10_clamp 1
		.amdhsa_ieee_mode 1
		.amdhsa_fp16_overflow 0
		.amdhsa_tg_split 0
		.amdhsa_exception_fp_ieee_invalid_op 0
		.amdhsa_exception_fp_denorm_src 0
		.amdhsa_exception_fp_ieee_div_zero 0
		.amdhsa_exception_fp_ieee_overflow 0
		.amdhsa_exception_fp_ieee_underflow 0
		.amdhsa_exception_fp_ieee_inexact 0
		.amdhsa_exception_int_div_zero 0
	.end_amdhsa_kernel
	.section	.text._ZN9rocsparseL40csr2gebsr_block_per_row_multipass_kernelILj256ELj64ELj64EfEEv20rocsparse_direction_iiiiii21rocsparse_index_base_PKT2_PKiS7_S2_PS3_PiS9_,"axG",@progbits,_ZN9rocsparseL40csr2gebsr_block_per_row_multipass_kernelILj256ELj64ELj64EfEEv20rocsparse_direction_iiiiii21rocsparse_index_base_PKT2_PKiS7_S2_PS3_PiS9_,comdat
.Lfunc_end69:
	.size	_ZN9rocsparseL40csr2gebsr_block_per_row_multipass_kernelILj256ELj64ELj64EfEEv20rocsparse_direction_iiiiii21rocsparse_index_base_PKT2_PKiS7_S2_PS3_PiS9_, .Lfunc_end69-_ZN9rocsparseL40csr2gebsr_block_per_row_multipass_kernelILj256ELj64ELj64EfEEv20rocsparse_direction_iiiiii21rocsparse_index_base_PKT2_PKiS7_S2_PS3_PiS9_
                                        ; -- End function
	.section	.AMDGPU.csdata,"",@progbits
; Kernel info:
; codeLenInByte = 3116
; NumSgprs: 104
; NumVgprs: 57
; NumAgprs: 0
; TotalNumVgprs: 57
; ScratchSize: 0
; MemoryBound: 0
; FloatMode: 240
; IeeeMode: 1
; LDSByteSize: 16388 bytes/workgroup (compile time only)
; SGPRBlocks: 12
; VGPRBlocks: 7
; NumSGPRsForWavesPerEU: 104
; NumVGPRsForWavesPerEU: 57
; AccumOffset: 60
; Occupancy: 3
; WaveLimiterHint : 0
; COMPUTE_PGM_RSRC2:SCRATCH_EN: 0
; COMPUTE_PGM_RSRC2:USER_SGPR: 2
; COMPUTE_PGM_RSRC2:TRAP_HANDLER: 0
; COMPUTE_PGM_RSRC2:TGID_X_EN: 1
; COMPUTE_PGM_RSRC2:TGID_Y_EN: 0
; COMPUTE_PGM_RSRC2:TGID_Z_EN: 0
; COMPUTE_PGM_RSRC2:TIDIG_COMP_CNT: 0
; COMPUTE_PGM_RSRC3_GFX90A:ACCUM_OFFSET: 14
; COMPUTE_PGM_RSRC3_GFX90A:TG_SPLIT: 0
	.section	.text._ZN9rocsparseL23csr2gebsr_65_inf_kernelILi32EfEEv20rocsparse_direction_iiiiiii21rocsparse_index_base_PKT0_PKiS7_S2_PS3_PiS9_S9_S8_,"axG",@progbits,_ZN9rocsparseL23csr2gebsr_65_inf_kernelILi32EfEEv20rocsparse_direction_iiiiiii21rocsparse_index_base_PKT0_PKiS7_S2_PS3_PiS9_S9_S8_,comdat
	.globl	_ZN9rocsparseL23csr2gebsr_65_inf_kernelILi32EfEEv20rocsparse_direction_iiiiiii21rocsparse_index_base_PKT0_PKiS7_S2_PS3_PiS9_S9_S8_ ; -- Begin function _ZN9rocsparseL23csr2gebsr_65_inf_kernelILi32EfEEv20rocsparse_direction_iiiiiii21rocsparse_index_base_PKT0_PKiS7_S2_PS3_PiS9_S9_S8_
	.p2align	8
	.type	_ZN9rocsparseL23csr2gebsr_65_inf_kernelILi32EfEEv20rocsparse_direction_iiiiiii21rocsparse_index_base_PKT0_PKiS7_S2_PS3_PiS9_S9_S8_,@function
_ZN9rocsparseL23csr2gebsr_65_inf_kernelILi32EfEEv20rocsparse_direction_iiiiiii21rocsparse_index_base_PKT0_PKiS7_S2_PS3_PiS9_S9_S8_: ; @_ZN9rocsparseL23csr2gebsr_65_inf_kernelILi32EfEEv20rocsparse_direction_iiiiiii21rocsparse_index_base_PKT0_PKiS7_S2_PS3_PiS9_S9_S8_
; %bb.0:
	s_load_dwordx4 s[8:11], s[0:1], 0x0
	s_load_dwordx2 s[4:5], s[0:1], 0x60
	s_load_dword s33, s[0:1], 0x40
	s_waitcnt lgkmcnt(0)
	s_cmp_ge_i32 s2, s11
	s_mov_b32 s11, 0
	s_cbranch_scc1 .LBB70_2
; %bb.1:
	s_load_dwordx2 s[6:7], s[0:1], 0x50
	s_ashr_i32 s3, s2, 31
	s_lshl_b64 s[12:13], s[2:3], 2
	s_waitcnt lgkmcnt(0)
	s_add_u32 s6, s6, s12
	s_addc_u32 s7, s7, s13
	s_load_dword s3, s[6:7], 0x0
	s_waitcnt lgkmcnt(0)
	s_sub_i32 s11, s3, s33
.LBB70_2:
	s_load_dwordx4 s[12:15], s[0:1], 0x14
	s_waitcnt lgkmcnt(0)
	s_mul_i32 s3, s2, s14
	s_mul_i32 s6, s3, 0x60
	s_ashr_i32 s7, s6, 31
	s_lshl_b64 s[6:7], s[6:7], 2
	s_add_u32 s22, s4, s6
	s_addc_u32 s23, s5, s7
	s_lshl_b32 s20, s14, 5
	v_mul_lo_u32 v4, v0, s14
	s_ashr_i32 s21, s20, 31
	v_ashrrev_i32_e32 v5, 31, v4
	s_cmp_gt_i32 s14, 0
	s_cselect_b64 s[24:25], -1, 0
	s_cmp_lt_i32 s14, 1
	v_lshl_add_u64 v[2:3], v[4:5], 2, s[22:23]
	s_cbranch_scc1 .LBB70_7
; %bb.3:
	s_load_dwordx2 s[6:7], s[0:1], 0x30
	s_mul_i32 s3, s2, s12
	s_lshl_b64 s[16:17], s[20:21], 2
	v_mov_b32_e32 v1, 0
	v_mov_b32_e32 v12, v0
	v_mov_b64_e32 v[6:7], v[2:3]
	s_mov_b32 s18, s14
	s_branch .LBB70_5
.LBB70_4:                               ;   in Loop: Header=BB70_5 Depth=1
	s_or_b64 exec, exec, s[4:5]
	s_add_i32 s18, s18, -1
	v_lshl_add_u64 v[6:7], v[6:7], 0, 4
	s_cmp_eq_u32 s18, 0
	v_add_u32_e32 v12, 32, v12
	s_cbranch_scc1 .LBB70_7
.LBB70_5:                               ; =>This Inner Loop Header: Depth=1
	v_add_u32_e32 v10, s3, v12
	v_cmp_gt_i32_e32 vcc, s9, v10
	v_cmp_gt_i32_e64 s[4:5], s12, v12
	v_lshl_add_u64 v[8:9], v[6:7], 0, s[16:17]
	s_and_b64 s[26:27], vcc, s[4:5]
	global_store_dword v[6:7], v1, off
	global_store_dword v[8:9], v1, off
	s_and_saveexec_b64 s[4:5], s[26:27]
	s_cbranch_execz .LBB70_4
; %bb.6:                                ;   in Loop: Header=BB70_5 Depth=1
	v_ashrrev_i32_e32 v11, 31, v10
	s_waitcnt lgkmcnt(0)
	v_lshl_add_u64 v[10:11], v[10:11], 2, s[6:7]
	global_load_dwordx2 v[10:11], v[10:11], off
	s_waitcnt vmcnt(0)
	v_subrev_u32_e32 v10, s15, v10
	v_subrev_u32_e32 v11, s15, v11
	global_store_dword v[6:7], v10, off
	global_store_dword v[8:9], v11, off
	s_branch .LBB70_4
.LBB70_7:
	s_cmp_lt_i32 s10, 1
	s_cbranch_scc1 .LBB70_37
; %bb.8:
	s_load_dwordx2 s[26:27], s[0:1], 0x68
	s_load_dwordx2 s[4:5], s[0:1], 0x28
	s_waitcnt lgkmcnt(0)
	s_load_dwordx2 s[6:7], s[0:1], 0x58
	s_load_dwordx2 s[16:17], s[0:1], 0x48
	;; [unrolled: 1-line block ×3, first 2 shown]
	s_lshl_b64 s[0:1], s[20:21], 2
	s_add_u32 s0, s22, s0
	s_addc_u32 s1, s23, s1
	s_ashr_i32 s23, s14, 31
	s_mov_b32 s22, s14
	v_lshlrev_b64 v[8:9], 2, v[4:5]
	s_lshl_b64 s[22:23], s[22:23], 7
	v_lshl_add_u64 v[4:5], s[0:1], 0, v[8:9]
	s_add_u32 s0, s0, s22
	s_addc_u32 s1, s1, s23
	v_lshl_add_u64 v[6:7], s[0:1], 0, v[8:9]
	s_mul_i32 s0, s20, s2
	s_ashr_i32 s1, s0, 31
	s_lshl_b64 s[0:1], s[0:1], 2
	s_add_u32 s0, s26, s0
	s_addc_u32 s1, s27, s1
	s_cmp_lg_u32 s8, 0
	s_cselect_b64 s[20:21], -1, 0
	s_abs_i32 s38, s13
	v_cvt_f32_u32_e32 v1, s38
	v_mbcnt_lo_u32_b32 v11, -1, 0
	v_mbcnt_hi_u32_b32 v11, -1, v11
	v_mov_b32_e32 v12, 0x7c
	v_rcp_iflag_f32_e32 v13, v1
	v_lshl_or_b32 v1, v11, 2, v12
	s_sub_i32 s2, 0, s38
	v_lshl_add_u64 v[8:9], s[0:1], 0, v[8:9]
	v_mul_f32_e32 v11, 0x4f7ffffe, v13
	v_cvt_u32_f32_e32 v11, v11
	v_cmp_eq_u32_e64 s[0:1], 31, v0
	s_mov_b32 s9, 0
	v_mov_b32_e32 v10, 0
	v_mul_lo_u32 v12, s2, v11
	v_mul_hi_u32 v12, v11, v12
	v_add_u32_e32 v24, v11, v12
	v_cndmask_b32_e64 v12, 0, 1, s[24:25]
	s_add_i32 s39, s11, -1
	s_mul_hi_i32 s40, s13, s12
	s_mul_i32 s41, s13, s12
	s_ashr_i32 s42, s13, 31
	v_mov_b32_e32 v11, 0
	v_mul_lo_u32 v25, v0, s13
	s_lshl_b32 s43, s13, 5
	s_mov_b64 s[22:23], 0
	v_cmp_ne_u32_e64 s[2:3], 1, v12
	v_mov_b32_e32 v26, 0
	v_mov_b32_e32 v27, 0
	s_branch .LBB70_10
.LBB70_9:                               ;   in Loop: Header=BB70_10 Depth=1
	s_waitcnt lgkmcnt(0)
	v_add_u32_e32 v10, 1, v22
	v_cmp_le_i32_e32 vcc, s10, v10
	s_or_b64 s[22:23], vcc, s[22:23]
	s_andn2_b64 exec, exec, s[22:23]
	s_cbranch_execz .LBB70_37
.LBB70_10:                              ; =>This Loop Header: Depth=1
                                        ;     Child Loop BB70_14 Depth 2
                                        ;       Child Loop BB70_17 Depth 3
                                        ;     Child Loop BB70_31 Depth 2
	s_and_b64 vcc, exec, s[2:3]
	v_mov_b32_e32 v28, s10
	s_cbranch_vccnz .LBB70_23
; %bb.11:                               ;   in Loop: Header=BB70_10 Depth=1
	s_mov_b32 s8, 0
	v_mov_b32_e32 v28, s10
	s_branch .LBB70_14
.LBB70_12:                              ;   in Loop: Header=BB70_14 Depth=2
	s_or_b64 exec, exec, s[26:27]
.LBB70_13:                              ;   in Loop: Header=BB70_14 Depth=2
	s_or_b64 exec, exec, s[24:25]
	s_add_i32 s8, s8, 1
	s_cmp_eq_u32 s8, s14
	s_cbranch_scc1 .LBB70_23
.LBB70_14:                              ;   Parent Loop BB70_10 Depth=1
                                        ; =>  This Loop Header: Depth=2
                                        ;       Child Loop BB70_17 Depth 3
	s_lshl_b64 s[24:25], s[8:9], 2
	v_lshl_add_u64 v[12:13], v[6:7], 0, s[24:25]
	v_mov_b32_e32 v14, s10
	global_store_dword v[12:13], v14, off
	v_lshl_add_u64 v[14:15], v[2:3], 0, s[24:25]
	v_lshl_add_u64 v[16:17], v[4:5], 0, s[24:25]
	global_load_dword v20, v[14:15], off
	global_load_dword v30, v[16:17], off
	v_lshl_add_u64 v[16:17], v[8:9], 0, s[24:25]
	global_store_dword v[16:17], v11, off
	s_waitcnt vmcnt(1)
	v_cmp_lt_i32_e32 vcc, v20, v30
	s_and_saveexec_b64 s[24:25], vcc
	s_cbranch_execz .LBB70_13
; %bb.15:                               ;   in Loop: Header=BB70_14 Depth=2
	v_ashrrev_i32_e32 v21, 31, v20
	s_waitcnt lgkmcnt(0)
	v_lshl_add_u64 v[22:23], v[20:21], 2, s[18:19]
	s_mov_b64 s[26:27], 0
                                        ; implicit-def: $sgpr28_sgpr29
                                        ; implicit-def: $sgpr34_sgpr35
                                        ; implicit-def: $sgpr30_sgpr31
	s_branch .LBB70_17
.LBB70_16:                              ;   in Loop: Header=BB70_17 Depth=3
	s_or_b64 exec, exec, s[36:37]
	s_and_b64 s[36:37], exec, s[34:35]
	s_or_b64 s[26:27], s[36:37], s[26:27]
	s_andn2_b64 s[28:29], s[28:29], exec
	s_and_b64 s[36:37], s[30:31], exec
	s_or_b64 s[28:29], s[28:29], s[36:37]
	s_andn2_b64 exec, exec, s[26:27]
	s_cbranch_execz .LBB70_19
.LBB70_17:                              ;   Parent Loop BB70_10 Depth=1
                                        ;     Parent Loop BB70_14 Depth=2
                                        ; =>    This Inner Loop Header: Depth=3
	global_load_dword v29, v[22:23], off
	v_mov_b64_e32 v[18:19], v[20:21]
	s_or_b64 s[30:31], s[30:31], exec
	s_or_b64 s[34:35], s[34:35], exec
                                        ; implicit-def: $vgpr20_vgpr21
	s_waitcnt vmcnt(0)
	v_subrev_u32_e32 v29, s15, v29
	v_cmp_lt_i32_e32 vcc, v29, v10
	s_and_saveexec_b64 s[36:37], vcc
	s_cbranch_execz .LBB70_16
; %bb.18:                               ;   in Loop: Header=BB70_17 Depth=3
	v_lshl_add_u64 v[20:21], v[18:19], 0, 1
	v_cmp_ge_i32_e32 vcc, v20, v30
	s_andn2_b64 s[34:35], s[34:35], exec
	s_and_b64 s[44:45], vcc, exec
	v_lshl_add_u64 v[22:23], v[22:23], 0, 4
	s_andn2_b64 s[30:31], s[30:31], exec
	s_or_b64 s[34:35], s[34:35], s[44:45]
	s_branch .LBB70_16
.LBB70_19:                              ;   in Loop: Header=BB70_14 Depth=2
	s_or_b64 exec, exec, s[26:27]
	s_xor_b64 s[26:27], s[28:29], -1
	v_lshl_add_u64 v[20:21], v[18:19], 2, s[4:5]
	s_and_saveexec_b64 s[28:29], s[26:27]
	s_xor_b64 s[26:27], exec, s[28:29]
	s_cbranch_execz .LBB70_21
; %bb.20:                               ;   in Loop: Header=BB70_14 Depth=2
	global_load_dword v14, v[20:21], off
                                        ; implicit-def: $vgpr20_vgpr21
	s_nop 0
	global_store_dword v[12:13], v29, off
	s_waitcnt vmcnt(1)
	global_store_dword v[16:17], v14, off
                                        ; implicit-def: $vgpr12_vgpr13
                                        ; implicit-def: $vgpr16_vgpr17
                                        ; implicit-def: $vgpr14_vgpr15
.LBB70_21:                              ;   in Loop: Header=BB70_14 Depth=2
	s_andn2_saveexec_b64 s[26:27], s[26:27]
	s_cbranch_execz .LBB70_12
; %bb.22:                               ;   in Loop: Header=BB70_14 Depth=2
	global_load_dword v19, v[20:21], off
	v_min_i32_e32 v28, v29, v28
	global_store_dword v[12:13], v29, off
	s_waitcnt vmcnt(1)
	global_store_dword v[16:17], v19, off
	global_store_dword v[14:15], v18, off
	s_branch .LBB70_12
.LBB70_23:                              ;   in Loop: Header=BB70_10 Depth=1
	s_nop 0
	v_mov_b32_dpp v10, v28 row_shr:1 row_mask:0xf bank_mask:0xf
	v_min_i32_e32 v10, v10, v28
	s_nop 1
	v_mov_b32_dpp v12, v10 row_shr:2 row_mask:0xf bank_mask:0xf
	v_min_i32_e32 v10, v12, v10
	;; [unrolled: 3-line block ×4, first 2 shown]
	s_nop 1
	v_mov_b32_dpp v12, v10 row_bcast:15 row_mask:0xa bank_mask:0xf
	v_min_i32_e32 v10, v12, v10
	v_cmp_gt_i32_e32 vcc, s10, v10
	s_and_b64 s[26:27], s[0:1], vcc
	s_and_saveexec_b64 s[24:25], s[26:27]
	s_cbranch_execz .LBB70_27
; %bb.24:                               ;   in Loop: Header=BB70_10 Depth=1
	v_sub_u32_e32 v13, 0, v10
	v_max_i32_e32 v13, v10, v13
	v_mul_hi_u32 v14, v13, v24
	v_mul_lo_u32 v15, v14, s38
	v_sub_u32_e32 v13, v13, v15
	v_add_u32_e32 v15, 1, v14
	v_cmp_le_u32_e32 vcc, s38, v13
	v_ashrrev_i32_e32 v12, 31, v10
	v_xor_b32_e32 v12, s42, v12
	v_cndmask_b32_e32 v14, v14, v15, vcc
	v_subrev_u32_e32 v15, s38, v13
	v_cndmask_b32_e32 v13, v13, v15, vcc
	v_add_u32_e32 v15, 1, v14
	v_cmp_le_u32_e32 vcc, s38, v13
	s_nop 1
	v_cndmask_b32_e32 v13, v14, v15, vcc
	v_xor_b32_e32 v13, v13, v12
	v_sub_u32_e32 v12, v13, v12
	v_cmp_ge_i32_e32 vcc, v12, v26
	s_and_saveexec_b64 s[26:27], vcc
	s_cbranch_execz .LBB70_26
; %bb.25:                               ;   in Loop: Header=BB70_10 Depth=1
	v_add_u32_e32 v14, s11, v27
	v_add_u32_e32 v13, 1, v27
	v_ashrrev_i32_e32 v15, 31, v14
	v_add_u32_e32 v26, 1, v12
	s_waitcnt lgkmcnt(0)
	v_lshl_add_u64 v[14:15], v[14:15], 2, s[6:7]
	v_add_u32_e32 v12, s33, v12
	v_mov_b32_e32 v27, v13
	global_store_dword v[14:15], v12, off
.LBB70_26:                              ;   in Loop: Header=BB70_10 Depth=1
	s_or_b64 exec, exec, s[26:27]
.LBB70_27:                              ;   in Loop: Header=BB70_10 Depth=1
	s_or_b64 exec, exec, s[24:25]
	ds_bpermute_b32 v22, v1, v10
	ds_bpermute_b32 v27, v1, v27
	s_and_b64 vcc, exec, s[2:3]
	s_cbranch_vccnz .LBB70_9
; %bb.28:                               ;   in Loop: Header=BB70_10 Depth=1
	s_waitcnt lgkmcnt(0)
	v_add_u32_e32 v10, s39, v27
	v_ashrrev_i32_e32 v12, 31, v10
	v_mul_lo_u32 v14, s41, v12
	v_mul_lo_u32 v15, s40, v10
	v_mad_u64_u32 v[12:13], s[24:25], s41, v10, 0
	v_add3_u32 v13, v13, v14, v15
	v_sub_u32_e32 v14, 0, v22
	v_max_i32_e32 v14, v22, v14
	v_mul_hi_u32 v15, v14, v24
	v_mul_lo_u32 v16, v15, s38
	v_sub_u32_e32 v14, v14, v16
	v_add_u32_e32 v16, 1, v15
	v_cmp_le_u32_e32 vcc, s38, v14
	v_ashrrev_i32_e32 v10, 31, v22
	v_xor_b32_e32 v10, s42, v10
	v_cndmask_b32_e32 v15, v15, v16, vcc
	v_subrev_u32_e32 v16, s38, v14
	v_cndmask_b32_e32 v14, v14, v16, vcc
	v_add_u32_e32 v16, 1, v15
	v_cmp_le_u32_e32 vcc, s38, v14
	v_lshl_add_u64 v[12:13], v[12:13], 2, s[16:17]
	s_mov_b32 s8, s14
	v_cndmask_b32_e32 v14, v15, v16, vcc
	v_xor_b32_e32 v14, v14, v10
	v_sub_u32_e32 v23, v14, v10
	v_mov_b64_e32 v[14:15], v[8:9]
	v_mov_b64_e32 v[16:17], v[6:7]
	v_mov_b32_e32 v10, v0
	v_mov_b32_e32 v28, v25
	s_branch .LBB70_31
.LBB70_29:                              ;   in Loop: Header=BB70_31 Depth=2
	v_ashrrev_i32_e32 v21, 31, v20
	v_lshl_add_u64 v[20:21], v[20:21], 2, v[12:13]
	v_lshl_add_u64 v[18:19], v[18:19], 2, v[20:21]
	s_waitcnt vmcnt(0)
	global_store_dword v[18:19], v29, off
.LBB70_30:                              ;   in Loop: Header=BB70_31 Depth=2
	s_or_b64 exec, exec, s[24:25]
	s_add_i32 s8, s8, -1
	v_add_u32_e32 v28, s43, v28
	v_add_u32_e32 v10, 32, v10
	v_lshl_add_u64 v[16:17], v[16:17], 0, 4
	s_cmp_eq_u32 s8, 0
	v_lshl_add_u64 v[14:15], v[14:15], 0, 4
	s_cbranch_scc1 .LBB70_9
.LBB70_31:                              ;   Parent Loop BB70_10 Depth=1
                                        ; =>  This Inner Loop Header: Depth=2
	global_load_dword v18, v[16:17], off
	s_waitcnt vmcnt(0)
	v_cmp_gt_i32_e32 vcc, s10, v18
	s_and_saveexec_b64 s[24:25], vcc
	s_cbranch_execz .LBB70_30
; %bb.32:                               ;   in Loop: Header=BB70_31 Depth=2
	v_sub_u32_e32 v20, 0, v18
	v_max_i32_e32 v20, v18, v20
	v_mul_hi_u32 v29, v20, v24
	v_mul_lo_u32 v30, v29, s38
	v_sub_u32_e32 v30, v20, v30
	v_add_u32_e32 v20, 1, v29
	v_cmp_le_u32_e32 vcc, s38, v30
	v_subrev_u32_e32 v31, s38, v30
	v_ashrrev_i32_e32 v21, 31, v18
	v_cndmask_b32_e32 v20, v29, v20, vcc
	v_cndmask_b32_e32 v29, v30, v31, vcc
	v_add_u32_e32 v32, 1, v20
	v_cmp_le_u32_e32 vcc, s38, v29
	v_xor_b32_e32 v19, s42, v21
	s_nop 0
	v_cndmask_b32_e32 v20, v20, v32, vcc
	v_xor_b32_e32 v20, v20, v19
	v_sub_u32_e32 v19, v20, v19
	v_cmp_eq_u32_e32 vcc, v19, v23
	s_and_b64 exec, exec, vcc
	s_cbranch_execz .LBB70_30
; %bb.33:                               ;   in Loop: Header=BB70_31 Depth=2
	global_load_dword v29, v[14:15], off
	s_and_b64 vcc, exec, s[20:21]
	s_cbranch_vccz .LBB70_35
; %bb.34:                               ;   in Loop: Header=BB70_31 Depth=2
	v_mul_lo_u32 v19, v23, s13
	v_sub_u32_e32 v18, v18, v19
	v_mul_lo_u32 v20, v18, s12
	v_mov_b64_e32 v[18:19], v[10:11]
	s_cbranch_execnz .LBB70_29
	s_branch .LBB70_36
.LBB70_35:                              ;   in Loop: Header=BB70_31 Depth=2
                                        ; implicit-def: $vgpr18_vgpr19
                                        ; implicit-def: $vgpr20
.LBB70_36:                              ;   in Loop: Header=BB70_31 Depth=2
	v_cmp_le_u32_e32 vcc, s38, v30
	v_mov_b32_e32 v20, v28
	s_nop 0
	v_cndmask_b32_e32 v18, v30, v31, vcc
	v_subrev_u32_e32 v19, s38, v18
	v_cmp_le_u32_e32 vcc, s38, v18
	s_nop 1
	v_cndmask_b32_e32 v18, v18, v19, vcc
	v_xor_b32_e32 v18, v18, v21
	v_sub_u32_e32 v18, v18, v21
	v_ashrrev_i32_e32 v19, 31, v18
	s_branch .LBB70_29
.LBB70_37:
	s_endpgm
	.section	.rodata,"a",@progbits
	.p2align	6, 0x0
	.amdhsa_kernel _ZN9rocsparseL23csr2gebsr_65_inf_kernelILi32EfEEv20rocsparse_direction_iiiiiii21rocsparse_index_base_PKT0_PKiS7_S2_PS3_PiS9_S9_S8_
		.amdhsa_group_segment_fixed_size 0
		.amdhsa_private_segment_fixed_size 0
		.amdhsa_kernarg_size 112
		.amdhsa_user_sgpr_count 2
		.amdhsa_user_sgpr_dispatch_ptr 0
		.amdhsa_user_sgpr_queue_ptr 0
		.amdhsa_user_sgpr_kernarg_segment_ptr 1
		.amdhsa_user_sgpr_dispatch_id 0
		.amdhsa_user_sgpr_kernarg_preload_length 0
		.amdhsa_user_sgpr_kernarg_preload_offset 0
		.amdhsa_user_sgpr_private_segment_size 0
		.amdhsa_uses_dynamic_stack 0
		.amdhsa_enable_private_segment 0
		.amdhsa_system_sgpr_workgroup_id_x 1
		.amdhsa_system_sgpr_workgroup_id_y 0
		.amdhsa_system_sgpr_workgroup_id_z 0
		.amdhsa_system_sgpr_workgroup_info 0
		.amdhsa_system_vgpr_workitem_id 0
		.amdhsa_next_free_vgpr 33
		.amdhsa_next_free_sgpr 46
		.amdhsa_accum_offset 36
		.amdhsa_reserve_vcc 1
		.amdhsa_float_round_mode_32 0
		.amdhsa_float_round_mode_16_64 0
		.amdhsa_float_denorm_mode_32 3
		.amdhsa_float_denorm_mode_16_64 3
		.amdhsa_dx10_clamp 1
		.amdhsa_ieee_mode 1
		.amdhsa_fp16_overflow 0
		.amdhsa_tg_split 0
		.amdhsa_exception_fp_ieee_invalid_op 0
		.amdhsa_exception_fp_denorm_src 0
		.amdhsa_exception_fp_ieee_div_zero 0
		.amdhsa_exception_fp_ieee_overflow 0
		.amdhsa_exception_fp_ieee_underflow 0
		.amdhsa_exception_fp_ieee_inexact 0
		.amdhsa_exception_int_div_zero 0
	.end_amdhsa_kernel
	.section	.text._ZN9rocsparseL23csr2gebsr_65_inf_kernelILi32EfEEv20rocsparse_direction_iiiiiii21rocsparse_index_base_PKT0_PKiS7_S2_PS3_PiS9_S9_S8_,"axG",@progbits,_ZN9rocsparseL23csr2gebsr_65_inf_kernelILi32EfEEv20rocsparse_direction_iiiiiii21rocsparse_index_base_PKT0_PKiS7_S2_PS3_PiS9_S9_S8_,comdat
.Lfunc_end70:
	.size	_ZN9rocsparseL23csr2gebsr_65_inf_kernelILi32EfEEv20rocsparse_direction_iiiiiii21rocsparse_index_base_PKT0_PKiS7_S2_PS3_PiS9_S9_S8_, .Lfunc_end70-_ZN9rocsparseL23csr2gebsr_65_inf_kernelILi32EfEEv20rocsparse_direction_iiiiiii21rocsparse_index_base_PKT0_PKiS7_S2_PS3_PiS9_S9_S8_
                                        ; -- End function
	.section	.AMDGPU.csdata,"",@progbits
; Kernel info:
; codeLenInByte = 1752
; NumSgprs: 52
; NumVgprs: 33
; NumAgprs: 0
; TotalNumVgprs: 33
; ScratchSize: 0
; MemoryBound: 0
; FloatMode: 240
; IeeeMode: 1
; LDSByteSize: 0 bytes/workgroup (compile time only)
; SGPRBlocks: 6
; VGPRBlocks: 4
; NumSGPRsForWavesPerEU: 52
; NumVGPRsForWavesPerEU: 33
; AccumOffset: 36
; Occupancy: 8
; WaveLimiterHint : 0
; COMPUTE_PGM_RSRC2:SCRATCH_EN: 0
; COMPUTE_PGM_RSRC2:USER_SGPR: 2
; COMPUTE_PGM_RSRC2:TRAP_HANDLER: 0
; COMPUTE_PGM_RSRC2:TGID_X_EN: 1
; COMPUTE_PGM_RSRC2:TGID_Y_EN: 0
; COMPUTE_PGM_RSRC2:TGID_Z_EN: 0
; COMPUTE_PGM_RSRC2:TIDIG_COMP_CNT: 0
; COMPUTE_PGM_RSRC3_GFX90A:ACCUM_OFFSET: 8
; COMPUTE_PGM_RSRC3_GFX90A:TG_SPLIT: 0
	.section	.text._ZN9rocsparseL20csr2gebsr_kernel_bm1ILi256EdEEviiii21rocsparse_index_base_PKT0_PKiS6_20rocsparse_direction_S1_PS2_S6_Piii,"axG",@progbits,_ZN9rocsparseL20csr2gebsr_kernel_bm1ILi256EdEEviiii21rocsparse_index_base_PKT0_PKiS6_20rocsparse_direction_S1_PS2_S6_Piii,comdat
	.globl	_ZN9rocsparseL20csr2gebsr_kernel_bm1ILi256EdEEviiii21rocsparse_index_base_PKT0_PKiS6_20rocsparse_direction_S1_PS2_S6_Piii ; -- Begin function _ZN9rocsparseL20csr2gebsr_kernel_bm1ILi256EdEEviiii21rocsparse_index_base_PKT0_PKiS6_20rocsparse_direction_S1_PS2_S6_Piii
	.p2align	8
	.type	_ZN9rocsparseL20csr2gebsr_kernel_bm1ILi256EdEEviiii21rocsparse_index_base_PKT0_PKiS6_20rocsparse_direction_S1_PS2_S6_Piii,@function
_ZN9rocsparseL20csr2gebsr_kernel_bm1ILi256EdEEviiii21rocsparse_index_base_PKT0_PKiS6_20rocsparse_direction_S1_PS2_S6_Piii: ; @_ZN9rocsparseL20csr2gebsr_kernel_bm1ILi256EdEEviiii21rocsparse_index_base_PKT0_PKiS6_20rocsparse_direction_S1_PS2_S6_Piii
; %bb.0:
	s_load_dword s3, s[0:1], 0x0
	v_lshl_or_b32 v4, s2, 8, v0
	s_waitcnt lgkmcnt(0)
	v_cmp_gt_i32_e32 vcc, s3, v4
	s_and_saveexec_b64 s[2:3], vcc
	s_cbranch_execz .LBB71_6
; %bb.1:
	s_load_dwordx4 s[16:19], s[0:1], 0x18
	v_ashrrev_i32_e32 v5, 31, v4
	s_waitcnt lgkmcnt(0)
	v_mov_b32_e32 v0, s18
	v_mov_b32_e32 v1, s19
	v_lshl_add_u64 v[0:1], v[4:5], 2, v[0:1]
	global_load_dwordx2 v[2:3], v[0:1], off
	s_waitcnt vmcnt(0)
	v_cmp_lt_i32_e32 vcc, v2, v3
	s_and_b64 exec, exec, vcc
	s_cbranch_execz .LBB71_6
; %bb.2:
	s_load_dwordx8 s[4:11], s[0:1], 0x28
	v_mov_b32_e32 v8, s16
	v_mov_b32_e32 v9, s17
	v_mov_b32_e32 v10, -1
	s_waitcnt lgkmcnt(0)
	v_mov_b32_e32 v6, s10
	v_mov_b32_e32 v7, s11
	v_lshl_add_u64 v[4:5], v[4:5], 2, v[6:7]
	global_load_dword v11, v[4:5], off
	s_load_dword s10, s[0:1], 0x10
	s_load_dwordx4 s[12:15], s[0:1], 0x48
	s_cmp_eq_u32 s6, 0
	v_mov_b32_e32 v6, s4
	v_mov_b32_e32 v7, s5
	s_waitcnt lgkmcnt(0)
	v_subrev_u32_e32 v4, s10, v2
	s_cselect_b32 s6, s14, 1
	s_abs_i32 s11, s15
	v_cvt_f32_u32_e32 v2, s11
	v_ashrrev_i32_e32 v5, 31, v4
	s_sub_i32 s2, 0, s11
	v_lshl_add_u64 v[6:7], v[4:5], 2, v[6:7]
	v_rcp_iflag_f32_e32 v2, v2
	v_lshl_add_u64 v[8:9], v[4:5], 3, v[8:9]
	s_ashr_i32 s17, s15, 31
	s_add_u32 s0, s12, 4
	v_mul_f32_e32 v2, 0x4f7ffffe, v2
	v_cvt_u32_f32_e32 v2, v2
	s_mul_hi_i32 s16, s15, s14
	s_mul_i32 s14, s15, s14
	s_addc_u32 s1, s13, 0
	v_mul_lo_u32 v5, s2, v2
	v_mul_hi_u32 v5, v2, v5
	v_add_u32_e32 v5, v2, v5
	s_mov_b64 s[2:3], 0
	s_waitcnt vmcnt(0)
	v_xad_u32 v2, s7, -1, v11
	v_mov_b32_e32 v11, v2
	s_branch .LBB71_4
.LBB71_3:                               ;   in Loop: Header=BB71_4 Depth=1
	s_or_b64 exec, exec, s[4:5]
	global_load_dwordx2 v[14:15], v[8:9], off
	v_mul_lo_u32 v13, v13, s15
	v_ashrrev_i32_e32 v18, 31, v11
	v_mul_lo_u32 v19, s16, v11
	v_mad_u64_u32 v[16:17], s[4:5], s14, v11, 0
	v_sub_u32_e32 v12, v12, v13
	v_mul_lo_u32 v13, s14, v18
	v_add_u32_e32 v4, 1, v4
	s_waitcnt vmcnt(1)
	v_subrev_u32_e32 v20, s10, v3
	v_add3_u32 v17, v17, v13, v19
	v_mul_lo_u32 v12, v12, s6
	v_cmp_ge_i32_e32 vcc, v4, v20
	v_ashrrev_i32_e32 v13, 31, v12
	v_lshl_add_u64 v[16:17], v[16:17], 3, s[8:9]
	v_lshl_add_u64 v[6:7], v[6:7], 0, 4
	s_or_b64 s[2:3], vcc, s[2:3]
	v_lshl_add_u64 v[12:13], v[12:13], 3, v[16:17]
	v_lshl_add_u64 v[8:9], v[8:9], 0, 8
	s_waitcnt vmcnt(0)
	global_store_dwordx2 v[12:13], v[14:15], off
	s_andn2_b64 exec, exec, s[2:3]
	s_cbranch_execz .LBB71_6
.LBB71_4:                               ; =>This Inner Loop Header: Depth=1
	global_load_dword v12, v[6:7], off
	s_waitcnt vmcnt(0)
	v_subrev_u32_e32 v12, s10, v12
	v_sub_u32_e32 v14, 0, v12
	v_max_i32_e32 v14, v12, v14
	v_mul_hi_u32 v15, v14, v5
	v_mul_lo_u32 v16, v15, s11
	v_sub_u32_e32 v14, v14, v16
	v_add_u32_e32 v17, 1, v15
	v_cmp_le_u32_e32 vcc, s11, v14
	v_subrev_u32_e32 v16, s11, v14
	v_ashrrev_i32_e32 v13, 31, v12
	v_cndmask_b32_e32 v15, v15, v17, vcc
	v_cndmask_b32_e32 v14, v14, v16, vcc
	v_add_u32_e32 v16, 1, v15
	v_cmp_le_u32_e32 vcc, s11, v14
	v_xor_b32_e32 v13, s17, v13
	s_nop 0
	v_cndmask_b32_e32 v14, v15, v16, vcc
	v_xor_b32_e32 v14, v14, v13
	v_sub_u32_e32 v13, v14, v13
	v_cmp_ne_u32_e32 vcc, v13, v10
	s_and_saveexec_b64 s[4:5], vcc
	s_cbranch_execz .LBB71_3
; %bb.5:                                ;   in Loop: Header=BB71_4 Depth=1
	v_ashrrev_i32_e32 v3, 31, v2
	v_lshl_add_u64 v[14:15], v[2:3], 2, s[0:1]
	v_add_u32_e32 v3, s7, v13
	global_store_dword v[14:15], v3, off
	global_load_dword v3, v[0:1], off offset:4
	v_add_u32_e32 v11, 1, v11
	v_add_u32_e32 v2, 1, v2
	v_mov_b32_e32 v10, v13
	s_branch .LBB71_3
.LBB71_6:
	s_endpgm
	.section	.rodata,"a",@progbits
	.p2align	6, 0x0
	.amdhsa_kernel _ZN9rocsparseL20csr2gebsr_kernel_bm1ILi256EdEEviiii21rocsparse_index_base_PKT0_PKiS6_20rocsparse_direction_S1_PS2_S6_Piii
		.amdhsa_group_segment_fixed_size 0
		.amdhsa_private_segment_fixed_size 0
		.amdhsa_kernarg_size 88
		.amdhsa_user_sgpr_count 2
		.amdhsa_user_sgpr_dispatch_ptr 0
		.amdhsa_user_sgpr_queue_ptr 0
		.amdhsa_user_sgpr_kernarg_segment_ptr 1
		.amdhsa_user_sgpr_dispatch_id 0
		.amdhsa_user_sgpr_kernarg_preload_length 0
		.amdhsa_user_sgpr_kernarg_preload_offset 0
		.amdhsa_user_sgpr_private_segment_size 0
		.amdhsa_uses_dynamic_stack 0
		.amdhsa_enable_private_segment 0
		.amdhsa_system_sgpr_workgroup_id_x 1
		.amdhsa_system_sgpr_workgroup_id_y 0
		.amdhsa_system_sgpr_workgroup_id_z 0
		.amdhsa_system_sgpr_workgroup_info 0
		.amdhsa_system_vgpr_workitem_id 0
		.amdhsa_next_free_vgpr 21
		.amdhsa_next_free_sgpr 20
		.amdhsa_accum_offset 24
		.amdhsa_reserve_vcc 1
		.amdhsa_float_round_mode_32 0
		.amdhsa_float_round_mode_16_64 0
		.amdhsa_float_denorm_mode_32 3
		.amdhsa_float_denorm_mode_16_64 3
		.amdhsa_dx10_clamp 1
		.amdhsa_ieee_mode 1
		.amdhsa_fp16_overflow 0
		.amdhsa_tg_split 0
		.amdhsa_exception_fp_ieee_invalid_op 0
		.amdhsa_exception_fp_denorm_src 0
		.amdhsa_exception_fp_ieee_div_zero 0
		.amdhsa_exception_fp_ieee_overflow 0
		.amdhsa_exception_fp_ieee_underflow 0
		.amdhsa_exception_fp_ieee_inexact 0
		.amdhsa_exception_int_div_zero 0
	.end_amdhsa_kernel
	.section	.text._ZN9rocsparseL20csr2gebsr_kernel_bm1ILi256EdEEviiii21rocsparse_index_base_PKT0_PKiS6_20rocsparse_direction_S1_PS2_S6_Piii,"axG",@progbits,_ZN9rocsparseL20csr2gebsr_kernel_bm1ILi256EdEEviiii21rocsparse_index_base_PKT0_PKiS6_20rocsparse_direction_S1_PS2_S6_Piii,comdat
.Lfunc_end71:
	.size	_ZN9rocsparseL20csr2gebsr_kernel_bm1ILi256EdEEviiii21rocsparse_index_base_PKT0_PKiS6_20rocsparse_direction_S1_PS2_S6_Piii, .Lfunc_end71-_ZN9rocsparseL20csr2gebsr_kernel_bm1ILi256EdEEviiii21rocsparse_index_base_PKT0_PKiS6_20rocsparse_direction_S1_PS2_S6_Piii
                                        ; -- End function
	.section	.AMDGPU.csdata,"",@progbits
; Kernel info:
; codeLenInByte = 592
; NumSgprs: 26
; NumVgprs: 21
; NumAgprs: 0
; TotalNumVgprs: 21
; ScratchSize: 0
; MemoryBound: 0
; FloatMode: 240
; IeeeMode: 1
; LDSByteSize: 0 bytes/workgroup (compile time only)
; SGPRBlocks: 3
; VGPRBlocks: 2
; NumSGPRsForWavesPerEU: 26
; NumVGPRsForWavesPerEU: 21
; AccumOffset: 24
; Occupancy: 8
; WaveLimiterHint : 0
; COMPUTE_PGM_RSRC2:SCRATCH_EN: 0
; COMPUTE_PGM_RSRC2:USER_SGPR: 2
; COMPUTE_PGM_RSRC2:TRAP_HANDLER: 0
; COMPUTE_PGM_RSRC2:TGID_X_EN: 1
; COMPUTE_PGM_RSRC2:TGID_Y_EN: 0
; COMPUTE_PGM_RSRC2:TGID_Z_EN: 0
; COMPUTE_PGM_RSRC2:TIDIG_COMP_CNT: 0
; COMPUTE_PGM_RSRC3_GFX90A:ACCUM_OFFSET: 5
; COMPUTE_PGM_RSRC3_GFX90A:TG_SPLIT: 0
	.section	.text._ZN9rocsparseL44csr2gebsr_wavefront_per_row_multipass_kernelILi256ELi2ELi2ELi4EdEEv20rocsparse_direction_iiiiii21rocsparse_index_base_PKT3_PKiS7_S2_PS3_PiS9_,"axG",@progbits,_ZN9rocsparseL44csr2gebsr_wavefront_per_row_multipass_kernelILi256ELi2ELi2ELi4EdEEv20rocsparse_direction_iiiiii21rocsparse_index_base_PKT3_PKiS7_S2_PS3_PiS9_,comdat
	.globl	_ZN9rocsparseL44csr2gebsr_wavefront_per_row_multipass_kernelILi256ELi2ELi2ELi4EdEEv20rocsparse_direction_iiiiii21rocsparse_index_base_PKT3_PKiS7_S2_PS3_PiS9_ ; -- Begin function _ZN9rocsparseL44csr2gebsr_wavefront_per_row_multipass_kernelILi256ELi2ELi2ELi4EdEEv20rocsparse_direction_iiiiii21rocsparse_index_base_PKT3_PKiS7_S2_PS3_PiS9_
	.p2align	8
	.type	_ZN9rocsparseL44csr2gebsr_wavefront_per_row_multipass_kernelILi256ELi2ELi2ELi4EdEEv20rocsparse_direction_iiiiii21rocsparse_index_base_PKT3_PKiS7_S2_PS3_PiS9_,@function
_ZN9rocsparseL44csr2gebsr_wavefront_per_row_multipass_kernelILi256ELi2ELi2ELi4EdEEv20rocsparse_direction_iiiiii21rocsparse_index_base_PKT3_PKiS7_S2_PS3_PiS9_: ; @_ZN9rocsparseL44csr2gebsr_wavefront_per_row_multipass_kernelILi256ELi2ELi2ELi4EdEEv20rocsparse_direction_iiiiii21rocsparse_index_base_PKT3_PKiS7_S2_PS3_PiS9_
; %bb.0:
	s_load_dwordx2 s[14:15], s[0:1], 0x0
	s_load_dwordx4 s[4:7], s[0:1], 0xc
	s_load_dword s20, s[0:1], 0x1c
	s_load_dwordx2 s[8:9], s[0:1], 0x28
	v_lshrrev_b32_e32 v12, 2, v0
	v_bfe_u32 v6, v0, 1, 1
	v_lshl_or_b32 v4, s2, 6, v12
	s_waitcnt lgkmcnt(0)
	v_mad_u64_u32 v[2:3], s[2:3], v4, s6, v[6:7]
	v_cmp_gt_i32_e64 s[2:3], s15, v2
	v_cmp_gt_i32_e32 vcc, s6, v6
	s_and_b64 s[2:3], vcc, s[2:3]
	v_mov_b32_e32 v13, 0
	v_mov_b32_e32 v8, 0
	s_and_saveexec_b64 s[10:11], s[2:3]
	s_cbranch_execz .LBB72_2
; %bb.1:
	v_ashrrev_i32_e32 v3, 31, v2
	v_lshl_add_u64 v[8:9], v[2:3], 2, s[8:9]
	global_load_dword v1, v[8:9], off
	s_waitcnt vmcnt(0)
	v_subrev_u32_e32 v8, s20, v1
.LBB72_2:
	s_or_b64 exec, exec, s[10:11]
	s_and_saveexec_b64 s[10:11], s[2:3]
	s_cbranch_execz .LBB72_4
; %bb.3:
	v_ashrrev_i32_e32 v3, 31, v2
	v_lshl_add_u64 v[2:3], v[2:3], 2, s[8:9]
	global_load_dword v1, v[2:3], off offset:4
	s_waitcnt vmcnt(0)
	v_subrev_u32_e32 v13, s20, v1
.LBB72_4:
	s_or_b64 exec, exec, s[10:11]
	s_load_dword s21, s[0:1], 0x38
	v_cmp_gt_i32_e64 s[2:3], s4, v4
	v_mov_b32_e32 v2, 0
	s_and_saveexec_b64 s[8:9], s[2:3]
	s_cbranch_execz .LBB72_6
; %bb.5:
	s_load_dwordx2 s[2:3], s[0:1], 0x48
	v_ashrrev_i32_e32 v5, 31, v4
	s_waitcnt lgkmcnt(0)
	v_lshl_add_u64 v[2:3], v[4:5], 2, s[2:3]
	global_load_dword v1, v[2:3], off
	s_waitcnt vmcnt(0)
	v_subrev_u32_e32 v2, s21, v1
.LBB72_6:
	s_or_b64 exec, exec, s[8:9]
	s_cmp_lt_i32 s5, 1
	s_cbranch_scc1 .LBB72_21
; %bb.7:
	v_and_b32_e32 v4, 1, v0
	s_load_dwordx2 s[2:3], s[0:1], 0x20
	s_load_dwordx2 s[8:9], s[0:1], 0x50
	;; [unrolled: 1-line block ×4, first 2 shown]
	v_cmp_gt_u32_e64 s[0:1], s7, v4
	s_and_b64 s[12:13], vcc, s[0:1]
	s_cmp_eq_u32 s14, 0
	s_cselect_b64 vcc, -1, 0
	s_abs_i32 s4, s7
	v_cvt_f32_u32_e32 v9, s4
	v_and_b32_e32 v0, 0xfc, v0
	v_lshl_or_b32 v14, v6, 1, v0
	v_mbcnt_lo_u32_b32 v0, -1, 0
	v_rcp_iflag_f32_e32 v9, v9
	v_mbcnt_hi_u32_b32 v0, -1, v0
	v_lshlrev_b32_e32 v3, 2, v0
	v_mov_b32_e32 v5, 0
	v_or_b32_e32 v15, 4, v3
	v_or_b32_e32 v0, v14, v4
	;; [unrolled: 1-line block ×3, first 2 shown]
	v_mul_f32_e32 v3, 0x4f7ffffe, v9
	v_lshlrev_b32_e32 v16, 3, v0
	v_mul_lo_u32 v0, v4, s6
	v_mov_b32_e32 v1, v5
	v_lshlrev_b32_e32 v10, 3, v6
	v_mul_lo_u32 v6, v6, s7
	v_cvt_u32_f32_e32 v3, v3
	s_waitcnt lgkmcnt(0)
	v_lshl_add_u64 v[0:1], v[0:1], 3, s[16:17]
	v_mov_b32_e32 v11, v5
	v_ashrrev_i32_e32 v7, 31, v6
	s_ashr_i32 s22, s7, 31
	v_lshl_add_u64 v[0:1], v[0:1], 0, v[10:11]
	v_lshl_add_u64 v[6:7], v[6:7], 3, s[16:17]
	v_lshlrev_b32_e32 v10, 3, v4
	s_mul_hi_u32 s0, s7, s6
	s_mul_i32 s1, s22, s6
	v_lshl_add_u64 v[6:7], v[6:7], 0, v[10:11]
	s_add_i32 s23, s0, s1
	s_sub_i32 s0, 0, s4
	v_cndmask_b32_e32 v0, v0, v6, vcc
	v_mul_lo_u32 v6, s0, v3
	v_mul_hi_u32 v6, v3, v6
	s_mul_i32 s6, s7, s6
	v_cndmask_b32_e32 v1, v1, v7, vcc
	v_add_u32_e32 v18, v3, v6
	s_mov_b64 s[14:15], 0
	v_mov_b32_e32 v6, v5
	v_mov_b32_e32 v7, v5
	;; [unrolled: 1-line block ×4, first 2 shown]
	s_branch .LBB72_10
.LBB72_8:                               ;   in Loop: Header=BB72_10 Depth=1
	s_or_b64 exec, exec, s[16:17]
	v_mov_b32_e32 v9, 1
.LBB72_9:                               ;   in Loop: Header=BB72_10 Depth=1
	s_or_b64 exec, exec, s[0:1]
	v_mov_b32_dpp v3, v20 row_shr:1 row_mask:0xf bank_mask:0xf
	v_min_i32_e32 v3, v3, v20
	v_add_u32_e32 v2, v9, v2
	s_waitcnt lgkmcnt(0)
	v_mov_b32_dpp v10, v3 row_shr:2 row_mask:0xf bank_mask:0xf
	v_min_i32_e32 v3, v10, v3
	ds_bpermute_b32 v3, v17, v3
	s_waitcnt lgkmcnt(0)
	v_cmp_le_i32_e32 vcc, s5, v3
	s_or_b64 s[14:15], vcc, s[14:15]
	s_andn2_b64 exec, exec, s[14:15]
	s_cbranch_execz .LBB72_21
.LBB72_10:                              ; =>This Loop Header: Depth=1
                                        ;     Child Loop BB72_13 Depth 2
	v_add_u32_e32 v21, v8, v4
	v_cmp_lt_i32_e32 vcc, v21, v13
	v_mov_b32_e32 v20, s5
	v_mov_b32_e32 v23, v13
	ds_write_b8 v12, v5 offset:2048
	ds_write_b64 v16, v[6:7]
	s_waitcnt lgkmcnt(0)
	s_and_saveexec_b64 s[16:17], vcc
	s_cbranch_execz .LBB72_18
; %bb.11:                               ;   in Loop: Header=BB72_10 Depth=1
	v_ashrrev_i32_e32 v9, 31, v8
	v_lshl_add_u64 v[10:11], v[4:5], 0, v[8:9]
	v_mul_lo_u32 v22, v3, s7
	v_lshl_add_u64 v[8:9], v[10:11], 2, s[10:11]
	v_lshl_add_u64 v[10:11], v[10:11], 3, s[2:3]
	s_mov_b64 s[18:19], 0
	v_mov_b32_e32 v20, s5
	v_mov_b32_e32 v23, v13
	s_branch .LBB72_13
.LBB72_12:                              ;   in Loop: Header=BB72_13 Depth=2
	s_or_b64 exec, exec, s[0:1]
	v_add_u32_e32 v21, 2, v21
	v_cmp_ge_i32_e64 s[0:1], v21, v13
	s_xor_b64 s[24:25], vcc, -1
	s_or_b64 s[0:1], s[24:25], s[0:1]
	s_and_b64 s[0:1], exec, s[0:1]
	v_lshl_add_u64 v[8:9], v[8:9], 0, 8
	s_or_b64 s[18:19], s[0:1], s[18:19]
	v_lshl_add_u64 v[10:11], v[10:11], 0, 16
	s_andn2_b64 exec, exec, s[18:19]
	s_cbranch_execz .LBB72_17
.LBB72_13:                              ;   Parent Loop BB72_10 Depth=1
                                        ; =>  This Inner Loop Header: Depth=2
	global_load_dword v24, v[8:9], off
	s_waitcnt vmcnt(0)
	v_subrev_u32_e32 v24, s20, v24
	v_sub_u32_e32 v26, 0, v24
	v_max_i32_e32 v26, v24, v26
	v_mul_hi_u32 v27, v26, v18
	v_mul_lo_u32 v28, v27, s4
	v_sub_u32_e32 v26, v26, v28
	v_add_u32_e32 v29, 1, v27
	v_cmp_le_u32_e32 vcc, s4, v26
	v_subrev_u32_e32 v28, s4, v26
	v_ashrrev_i32_e32 v25, 31, v24
	v_cndmask_b32_e32 v27, v27, v29, vcc
	v_cndmask_b32_e32 v26, v26, v28, vcc
	v_add_u32_e32 v28, 1, v27
	v_cmp_le_u32_e32 vcc, s4, v26
	v_xor_b32_e32 v25, s22, v25
	s_nop 0
	v_cndmask_b32_e32 v26, v27, v28, vcc
	v_xor_b32_e32 v26, v26, v25
	v_sub_u32_e32 v26, v26, v25
	v_cmp_eq_u32_e32 vcc, v26, v3
	v_cmp_ne_u32_e64 s[0:1], v26, v3
	v_mov_b32_e32 v25, v23
	s_and_saveexec_b64 s[24:25], s[0:1]
	s_xor_b64 s[0:1], exec, s[24:25]
; %bb.14:                               ;   in Loop: Header=BB72_13 Depth=2
	v_min_i32_e32 v20, v26, v20
                                        ; implicit-def: $vgpr24
                                        ; implicit-def: $vgpr25
; %bb.15:                               ;   in Loop: Header=BB72_13 Depth=2
	s_or_saveexec_b64 s[0:1], s[0:1]
	v_mov_b32_e32 v23, v21
	s_xor_b64 exec, exec, s[0:1]
	s_cbranch_execz .LBB72_12
; %bb.16:                               ;   in Loop: Header=BB72_13 Depth=2
	global_load_dwordx2 v[26:27], v[10:11], off
	v_sub_u32_e32 v23, v24, v22
	v_add_lshl_u32 v23, v14, v23, 3
	ds_write_b8 v12, v19 offset:2048
	s_waitcnt vmcnt(0)
	ds_write_b64 v23, v[26:27]
	v_mov_b32_e32 v23, v25
	s_branch .LBB72_12
.LBB72_17:                              ;   in Loop: Header=BB72_10 Depth=1
	s_or_b64 exec, exec, s[18:19]
.LBB72_18:                              ;   in Loop: Header=BB72_10 Depth=1
	s_or_b64 exec, exec, s[16:17]
	s_waitcnt lgkmcnt(0)
	ds_read_u8 v9, v12 offset:2048
	v_mov_b32_dpp v8, v23 row_shr:1 row_mask:0xf bank_mask:0xf
	v_min_i32_e32 v8, v8, v23
	ds_bpermute_b32 v8, v15, v8
	s_waitcnt lgkmcnt(1)
	v_and_b32_e32 v9, 1, v9
	v_cmp_eq_u32_e32 vcc, 1, v9
	v_mov_b32_e32 v9, 0
	s_and_saveexec_b64 s[0:1], vcc
	s_cbranch_execz .LBB72_9
; %bb.19:                               ;   in Loop: Header=BB72_10 Depth=1
	v_add_u32_e32 v9, s21, v3
	v_ashrrev_i32_e32 v3, 31, v2
	v_lshl_add_u64 v[10:11], v[2:3], 2, s[8:9]
	global_store_dword v[10:11], v9, off
	s_and_saveexec_b64 s[16:17], s[12:13]
	s_cbranch_execz .LBB72_8
; %bb.20:                               ;   in Loop: Header=BB72_10 Depth=1
	ds_read_b64 v[10:11], v16
	v_mul_lo_u32 v9, s23, v2
	v_mul_lo_u32 v3, s6, v3
	v_mad_u64_u32 v[22:23], s[18:19], s6, v2, 0
	v_add3_u32 v23, v23, v3, v9
	v_lshl_add_u64 v[22:23], v[22:23], 3, v[0:1]
	s_waitcnt lgkmcnt(0)
	global_store_dwordx2 v[22:23], v[10:11], off
	s_branch .LBB72_8
.LBB72_21:
	s_endpgm
	.section	.rodata,"a",@progbits
	.p2align	6, 0x0
	.amdhsa_kernel _ZN9rocsparseL44csr2gebsr_wavefront_per_row_multipass_kernelILi256ELi2ELi2ELi4EdEEv20rocsparse_direction_iiiiii21rocsparse_index_base_PKT3_PKiS7_S2_PS3_PiS9_
		.amdhsa_group_segment_fixed_size 2112
		.amdhsa_private_segment_fixed_size 0
		.amdhsa_kernarg_size 88
		.amdhsa_user_sgpr_count 2
		.amdhsa_user_sgpr_dispatch_ptr 0
		.amdhsa_user_sgpr_queue_ptr 0
		.amdhsa_user_sgpr_kernarg_segment_ptr 1
		.amdhsa_user_sgpr_dispatch_id 0
		.amdhsa_user_sgpr_kernarg_preload_length 0
		.amdhsa_user_sgpr_kernarg_preload_offset 0
		.amdhsa_user_sgpr_private_segment_size 0
		.amdhsa_uses_dynamic_stack 0
		.amdhsa_enable_private_segment 0
		.amdhsa_system_sgpr_workgroup_id_x 1
		.amdhsa_system_sgpr_workgroup_id_y 0
		.amdhsa_system_sgpr_workgroup_id_z 0
		.amdhsa_system_sgpr_workgroup_info 0
		.amdhsa_system_vgpr_workitem_id 0
		.amdhsa_next_free_vgpr 30
		.amdhsa_next_free_sgpr 26
		.amdhsa_accum_offset 32
		.amdhsa_reserve_vcc 1
		.amdhsa_float_round_mode_32 0
		.amdhsa_float_round_mode_16_64 0
		.amdhsa_float_denorm_mode_32 3
		.amdhsa_float_denorm_mode_16_64 3
		.amdhsa_dx10_clamp 1
		.amdhsa_ieee_mode 1
		.amdhsa_fp16_overflow 0
		.amdhsa_tg_split 0
		.amdhsa_exception_fp_ieee_invalid_op 0
		.amdhsa_exception_fp_denorm_src 0
		.amdhsa_exception_fp_ieee_div_zero 0
		.amdhsa_exception_fp_ieee_overflow 0
		.amdhsa_exception_fp_ieee_underflow 0
		.amdhsa_exception_fp_ieee_inexact 0
		.amdhsa_exception_int_div_zero 0
	.end_amdhsa_kernel
	.section	.text._ZN9rocsparseL44csr2gebsr_wavefront_per_row_multipass_kernelILi256ELi2ELi2ELi4EdEEv20rocsparse_direction_iiiiii21rocsparse_index_base_PKT3_PKiS7_S2_PS3_PiS9_,"axG",@progbits,_ZN9rocsparseL44csr2gebsr_wavefront_per_row_multipass_kernelILi256ELi2ELi2ELi4EdEEv20rocsparse_direction_iiiiii21rocsparse_index_base_PKT3_PKiS7_S2_PS3_PiS9_,comdat
.Lfunc_end72:
	.size	_ZN9rocsparseL44csr2gebsr_wavefront_per_row_multipass_kernelILi256ELi2ELi2ELi4EdEEv20rocsparse_direction_iiiiii21rocsparse_index_base_PKT3_PKiS7_S2_PS3_PiS9_, .Lfunc_end72-_ZN9rocsparseL44csr2gebsr_wavefront_per_row_multipass_kernelILi256ELi2ELi2ELi4EdEEv20rocsparse_direction_iiiiii21rocsparse_index_base_PKT3_PKiS7_S2_PS3_PiS9_
                                        ; -- End function
	.section	.AMDGPU.csdata,"",@progbits
; Kernel info:
; codeLenInByte = 1108
; NumSgprs: 32
; NumVgprs: 30
; NumAgprs: 0
; TotalNumVgprs: 30
; ScratchSize: 0
; MemoryBound: 0
; FloatMode: 240
; IeeeMode: 1
; LDSByteSize: 2112 bytes/workgroup (compile time only)
; SGPRBlocks: 3
; VGPRBlocks: 3
; NumSGPRsForWavesPerEU: 32
; NumVGPRsForWavesPerEU: 30
; AccumOffset: 32
; Occupancy: 8
; WaveLimiterHint : 0
; COMPUTE_PGM_RSRC2:SCRATCH_EN: 0
; COMPUTE_PGM_RSRC2:USER_SGPR: 2
; COMPUTE_PGM_RSRC2:TRAP_HANDLER: 0
; COMPUTE_PGM_RSRC2:TGID_X_EN: 1
; COMPUTE_PGM_RSRC2:TGID_Y_EN: 0
; COMPUTE_PGM_RSRC2:TGID_Z_EN: 0
; COMPUTE_PGM_RSRC2:TIDIG_COMP_CNT: 0
; COMPUTE_PGM_RSRC3_GFX90A:ACCUM_OFFSET: 7
; COMPUTE_PGM_RSRC3_GFX90A:TG_SPLIT: 0
	.section	.text._ZN9rocsparseL44csr2gebsr_wavefront_per_row_multipass_kernelILi256ELi2ELi4ELi8EdEEv20rocsparse_direction_iiiiii21rocsparse_index_base_PKT3_PKiS7_S2_PS3_PiS9_,"axG",@progbits,_ZN9rocsparseL44csr2gebsr_wavefront_per_row_multipass_kernelILi256ELi2ELi4ELi8EdEEv20rocsparse_direction_iiiiii21rocsparse_index_base_PKT3_PKiS7_S2_PS3_PiS9_,comdat
	.globl	_ZN9rocsparseL44csr2gebsr_wavefront_per_row_multipass_kernelILi256ELi2ELi4ELi8EdEEv20rocsparse_direction_iiiiii21rocsparse_index_base_PKT3_PKiS7_S2_PS3_PiS9_ ; -- Begin function _ZN9rocsparseL44csr2gebsr_wavefront_per_row_multipass_kernelILi256ELi2ELi4ELi8EdEEv20rocsparse_direction_iiiiii21rocsparse_index_base_PKT3_PKiS7_S2_PS3_PiS9_
	.p2align	8
	.type	_ZN9rocsparseL44csr2gebsr_wavefront_per_row_multipass_kernelILi256ELi2ELi4ELi8EdEEv20rocsparse_direction_iiiiii21rocsparse_index_base_PKT3_PKiS7_S2_PS3_PiS9_,@function
_ZN9rocsparseL44csr2gebsr_wavefront_per_row_multipass_kernelILi256ELi2ELi4ELi8EdEEv20rocsparse_direction_iiiiii21rocsparse_index_base_PKT3_PKiS7_S2_PS3_PiS9_: ; @_ZN9rocsparseL44csr2gebsr_wavefront_per_row_multipass_kernelILi256ELi2ELi4ELi8EdEEv20rocsparse_direction_iiiiii21rocsparse_index_base_PKT3_PKiS7_S2_PS3_PiS9_
; %bb.0:
	s_load_dwordx2 s[14:15], s[0:1], 0x0
	s_load_dwordx4 s[4:7], s[0:1], 0xc
	s_load_dword s20, s[0:1], 0x1c
	s_load_dwordx2 s[8:9], s[0:1], 0x28
	v_lshrrev_b32_e32 v12, 3, v0
	v_bfe_u32 v6, v0, 2, 1
	v_lshl_or_b32 v4, s2, 5, v12
	s_waitcnt lgkmcnt(0)
	v_mad_u64_u32 v[2:3], s[2:3], v4, s6, v[6:7]
	v_cmp_gt_i32_e64 s[2:3], s15, v2
	v_cmp_gt_i32_e32 vcc, s6, v6
	s_and_b64 s[2:3], vcc, s[2:3]
	v_mov_b32_e32 v13, 0
	v_mov_b32_e32 v8, 0
	s_and_saveexec_b64 s[10:11], s[2:3]
	s_cbranch_execz .LBB73_2
; %bb.1:
	v_ashrrev_i32_e32 v3, 31, v2
	v_lshl_add_u64 v[8:9], v[2:3], 2, s[8:9]
	global_load_dword v1, v[8:9], off
	s_waitcnt vmcnt(0)
	v_subrev_u32_e32 v8, s20, v1
.LBB73_2:
	s_or_b64 exec, exec, s[10:11]
	s_and_saveexec_b64 s[10:11], s[2:3]
	s_cbranch_execz .LBB73_4
; %bb.3:
	v_ashrrev_i32_e32 v3, 31, v2
	v_lshl_add_u64 v[2:3], v[2:3], 2, s[8:9]
	global_load_dword v1, v[2:3], off offset:4
	s_waitcnt vmcnt(0)
	v_subrev_u32_e32 v13, s20, v1
.LBB73_4:
	s_or_b64 exec, exec, s[10:11]
	s_load_dword s21, s[0:1], 0x38
	v_cmp_gt_i32_e64 s[2:3], s4, v4
	v_mov_b32_e32 v2, 0
	s_and_saveexec_b64 s[8:9], s[2:3]
	s_cbranch_execz .LBB73_6
; %bb.5:
	s_load_dwordx2 s[2:3], s[0:1], 0x48
	v_ashrrev_i32_e32 v5, 31, v4
	s_waitcnt lgkmcnt(0)
	v_lshl_add_u64 v[2:3], v[4:5], 2, s[2:3]
	global_load_dword v1, v[2:3], off
	s_waitcnt vmcnt(0)
	v_subrev_u32_e32 v2, s21, v1
.LBB73_6:
	s_or_b64 exec, exec, s[8:9]
	s_cmp_lt_i32 s5, 1
	s_cbranch_scc1 .LBB73_21
; %bb.7:
	v_and_b32_e32 v4, 3, v0
	s_load_dwordx2 s[2:3], s[0:1], 0x20
	s_load_dwordx2 s[8:9], s[0:1], 0x50
	;; [unrolled: 1-line block ×4, first 2 shown]
	v_cmp_gt_u32_e64 s[0:1], s7, v4
	s_and_b64 s[12:13], vcc, s[0:1]
	s_cmp_eq_u32 s14, 0
	s_cselect_b64 vcc, -1, 0
	s_abs_i32 s4, s7
	v_cvt_f32_u32_e32 v9, s4
	v_and_b32_e32 v0, 0xf8, v0
	v_lshl_or_b32 v14, v6, 2, v0
	v_mbcnt_lo_u32_b32 v0, -1, 0
	v_rcp_iflag_f32_e32 v9, v9
	v_mbcnt_hi_u32_b32 v0, -1, v0
	v_lshlrev_b32_e32 v3, 2, v0
	v_mov_b32_e32 v5, 0
	v_or_b32_e32 v15, 12, v3
	v_or_b32_e32 v0, v14, v4
	;; [unrolled: 1-line block ×3, first 2 shown]
	v_mul_f32_e32 v3, 0x4f7ffffe, v9
	v_lshlrev_b32_e32 v16, 3, v0
	v_mul_lo_u32 v0, v4, s6
	v_mov_b32_e32 v1, v5
	v_lshlrev_b32_e32 v10, 3, v6
	v_mul_lo_u32 v6, v6, s7
	v_cvt_u32_f32_e32 v3, v3
	s_waitcnt lgkmcnt(0)
	v_lshl_add_u64 v[0:1], v[0:1], 3, s[16:17]
	v_mov_b32_e32 v11, v5
	v_ashrrev_i32_e32 v7, 31, v6
	s_ashr_i32 s22, s7, 31
	v_lshl_add_u64 v[0:1], v[0:1], 0, v[10:11]
	v_lshl_add_u64 v[6:7], v[6:7], 3, s[16:17]
	v_lshlrev_b32_e32 v10, 3, v4
	s_mul_hi_u32 s0, s7, s6
	s_mul_i32 s1, s22, s6
	v_lshl_add_u64 v[6:7], v[6:7], 0, v[10:11]
	s_add_i32 s23, s0, s1
	s_sub_i32 s0, 0, s4
	v_cndmask_b32_e32 v0, v0, v6, vcc
	v_mul_lo_u32 v6, s0, v3
	v_mul_hi_u32 v6, v3, v6
	s_mul_i32 s6, s7, s6
	v_cndmask_b32_e32 v1, v1, v7, vcc
	v_add_u32_e32 v18, v3, v6
	s_mov_b64 s[14:15], 0
	v_mov_b32_e32 v6, v5
	v_mov_b32_e32 v7, v5
	v_mov_b32_e32 v19, 1
	v_mov_b32_e32 v3, v5
	s_branch .LBB73_10
.LBB73_8:                               ;   in Loop: Header=BB73_10 Depth=1
	s_or_b64 exec, exec, s[16:17]
	v_mov_b32_e32 v9, 1
.LBB73_9:                               ;   in Loop: Header=BB73_10 Depth=1
	s_or_b64 exec, exec, s[0:1]
	v_mov_b32_dpp v3, v20 row_shr:1 row_mask:0xf bank_mask:0xf
	v_min_i32_e32 v3, v3, v20
	v_add_u32_e32 v2, v9, v2
	s_waitcnt lgkmcnt(0)
	v_mov_b32_dpp v10, v3 row_shr:2 row_mask:0xf bank_mask:0xf
	v_min_i32_e32 v3, v10, v3
	s_nop 1
	v_mov_b32_dpp v10, v3 row_shr:4 row_mask:0xf bank_mask:0xe
	v_min_i32_e32 v3, v10, v3
	ds_bpermute_b32 v3, v17, v3
	s_waitcnt lgkmcnt(0)
	v_cmp_le_i32_e32 vcc, s5, v3
	s_or_b64 s[14:15], vcc, s[14:15]
	s_andn2_b64 exec, exec, s[14:15]
	s_cbranch_execz .LBB73_21
.LBB73_10:                              ; =>This Loop Header: Depth=1
                                        ;     Child Loop BB73_13 Depth 2
	v_add_u32_e32 v21, v8, v4
	v_cmp_lt_i32_e32 vcc, v21, v13
	v_mov_b32_e32 v20, s5
	v_mov_b32_e32 v23, v13
	ds_write_b8 v12, v5 offset:2048
	ds_write_b64 v16, v[6:7]
	s_waitcnt lgkmcnt(0)
	s_and_saveexec_b64 s[16:17], vcc
	s_cbranch_execz .LBB73_18
; %bb.11:                               ;   in Loop: Header=BB73_10 Depth=1
	v_ashrrev_i32_e32 v9, 31, v8
	v_lshl_add_u64 v[10:11], v[4:5], 0, v[8:9]
	v_mul_lo_u32 v22, v3, s7
	v_lshl_add_u64 v[8:9], v[10:11], 2, s[10:11]
	v_lshl_add_u64 v[10:11], v[10:11], 3, s[2:3]
	s_mov_b64 s[18:19], 0
	v_mov_b32_e32 v20, s5
	v_mov_b32_e32 v23, v13
	s_branch .LBB73_13
.LBB73_12:                              ;   in Loop: Header=BB73_13 Depth=2
	s_or_b64 exec, exec, s[0:1]
	v_add_u32_e32 v21, 4, v21
	v_cmp_ge_i32_e64 s[0:1], v21, v13
	s_xor_b64 s[24:25], vcc, -1
	s_or_b64 s[0:1], s[24:25], s[0:1]
	s_and_b64 s[0:1], exec, s[0:1]
	v_lshl_add_u64 v[8:9], v[8:9], 0, 16
	s_or_b64 s[18:19], s[0:1], s[18:19]
	v_lshl_add_u64 v[10:11], v[10:11], 0, 32
	s_andn2_b64 exec, exec, s[18:19]
	s_cbranch_execz .LBB73_17
.LBB73_13:                              ;   Parent Loop BB73_10 Depth=1
                                        ; =>  This Inner Loop Header: Depth=2
	global_load_dword v24, v[8:9], off
	s_waitcnt vmcnt(0)
	v_subrev_u32_e32 v24, s20, v24
	v_sub_u32_e32 v26, 0, v24
	v_max_i32_e32 v26, v24, v26
	v_mul_hi_u32 v27, v26, v18
	v_mul_lo_u32 v28, v27, s4
	v_sub_u32_e32 v26, v26, v28
	v_add_u32_e32 v29, 1, v27
	v_cmp_le_u32_e32 vcc, s4, v26
	v_subrev_u32_e32 v28, s4, v26
	v_ashrrev_i32_e32 v25, 31, v24
	v_cndmask_b32_e32 v27, v27, v29, vcc
	v_cndmask_b32_e32 v26, v26, v28, vcc
	v_add_u32_e32 v28, 1, v27
	v_cmp_le_u32_e32 vcc, s4, v26
	v_xor_b32_e32 v25, s22, v25
	s_nop 0
	v_cndmask_b32_e32 v26, v27, v28, vcc
	v_xor_b32_e32 v26, v26, v25
	v_sub_u32_e32 v26, v26, v25
	v_cmp_eq_u32_e32 vcc, v26, v3
	v_cmp_ne_u32_e64 s[0:1], v26, v3
	v_mov_b32_e32 v25, v23
	s_and_saveexec_b64 s[24:25], s[0:1]
	s_xor_b64 s[0:1], exec, s[24:25]
; %bb.14:                               ;   in Loop: Header=BB73_13 Depth=2
	v_min_i32_e32 v20, v26, v20
                                        ; implicit-def: $vgpr24
                                        ; implicit-def: $vgpr25
; %bb.15:                               ;   in Loop: Header=BB73_13 Depth=2
	s_or_saveexec_b64 s[0:1], s[0:1]
	v_mov_b32_e32 v23, v21
	s_xor_b64 exec, exec, s[0:1]
	s_cbranch_execz .LBB73_12
; %bb.16:                               ;   in Loop: Header=BB73_13 Depth=2
	global_load_dwordx2 v[26:27], v[10:11], off
	v_sub_u32_e32 v23, v24, v22
	v_add_lshl_u32 v23, v14, v23, 3
	ds_write_b8 v12, v19 offset:2048
	s_waitcnt vmcnt(0)
	ds_write_b64 v23, v[26:27]
	v_mov_b32_e32 v23, v25
	s_branch .LBB73_12
.LBB73_17:                              ;   in Loop: Header=BB73_10 Depth=1
	s_or_b64 exec, exec, s[18:19]
.LBB73_18:                              ;   in Loop: Header=BB73_10 Depth=1
	s_or_b64 exec, exec, s[16:17]
	v_mov_b32_dpp v8, v23 row_shr:1 row_mask:0xf bank_mask:0xf
	v_min_i32_e32 v8, v8, v23
	s_waitcnt lgkmcnt(0)
	ds_read_u8 v9, v12 offset:2048
	v_mov_b32_dpp v10, v8 row_shr:2 row_mask:0xf bank_mask:0xf
	v_min_i32_e32 v8, v10, v8
	ds_bpermute_b32 v8, v15, v8
	s_waitcnt lgkmcnt(1)
	v_and_b32_e32 v9, 1, v9
	v_cmp_eq_u32_e32 vcc, 1, v9
	v_mov_b32_e32 v9, 0
	s_and_saveexec_b64 s[0:1], vcc
	s_cbranch_execz .LBB73_9
; %bb.19:                               ;   in Loop: Header=BB73_10 Depth=1
	v_add_u32_e32 v9, s21, v3
	v_ashrrev_i32_e32 v3, 31, v2
	v_lshl_add_u64 v[10:11], v[2:3], 2, s[8:9]
	global_store_dword v[10:11], v9, off
	s_and_saveexec_b64 s[16:17], s[12:13]
	s_cbranch_execz .LBB73_8
; %bb.20:                               ;   in Loop: Header=BB73_10 Depth=1
	ds_read_b64 v[10:11], v16
	v_mul_lo_u32 v9, s23, v2
	v_mul_lo_u32 v3, s6, v3
	v_mad_u64_u32 v[22:23], s[18:19], s6, v2, 0
	v_add3_u32 v23, v23, v3, v9
	v_lshl_add_u64 v[22:23], v[22:23], 3, v[0:1]
	s_waitcnt lgkmcnt(0)
	global_store_dwordx2 v[22:23], v[10:11], off
	s_branch .LBB73_8
.LBB73_21:
	s_endpgm
	.section	.rodata,"a",@progbits
	.p2align	6, 0x0
	.amdhsa_kernel _ZN9rocsparseL44csr2gebsr_wavefront_per_row_multipass_kernelILi256ELi2ELi4ELi8EdEEv20rocsparse_direction_iiiiii21rocsparse_index_base_PKT3_PKiS7_S2_PS3_PiS9_
		.amdhsa_group_segment_fixed_size 2080
		.amdhsa_private_segment_fixed_size 0
		.amdhsa_kernarg_size 88
		.amdhsa_user_sgpr_count 2
		.amdhsa_user_sgpr_dispatch_ptr 0
		.amdhsa_user_sgpr_queue_ptr 0
		.amdhsa_user_sgpr_kernarg_segment_ptr 1
		.amdhsa_user_sgpr_dispatch_id 0
		.amdhsa_user_sgpr_kernarg_preload_length 0
		.amdhsa_user_sgpr_kernarg_preload_offset 0
		.amdhsa_user_sgpr_private_segment_size 0
		.amdhsa_uses_dynamic_stack 0
		.amdhsa_enable_private_segment 0
		.amdhsa_system_sgpr_workgroup_id_x 1
		.amdhsa_system_sgpr_workgroup_id_y 0
		.amdhsa_system_sgpr_workgroup_id_z 0
		.amdhsa_system_sgpr_workgroup_info 0
		.amdhsa_system_vgpr_workitem_id 0
		.amdhsa_next_free_vgpr 30
		.amdhsa_next_free_sgpr 26
		.amdhsa_accum_offset 32
		.amdhsa_reserve_vcc 1
		.amdhsa_float_round_mode_32 0
		.amdhsa_float_round_mode_16_64 0
		.amdhsa_float_denorm_mode_32 3
		.amdhsa_float_denorm_mode_16_64 3
		.amdhsa_dx10_clamp 1
		.amdhsa_ieee_mode 1
		.amdhsa_fp16_overflow 0
		.amdhsa_tg_split 0
		.amdhsa_exception_fp_ieee_invalid_op 0
		.amdhsa_exception_fp_denorm_src 0
		.amdhsa_exception_fp_ieee_div_zero 0
		.amdhsa_exception_fp_ieee_overflow 0
		.amdhsa_exception_fp_ieee_underflow 0
		.amdhsa_exception_fp_ieee_inexact 0
		.amdhsa_exception_int_div_zero 0
	.end_amdhsa_kernel
	.section	.text._ZN9rocsparseL44csr2gebsr_wavefront_per_row_multipass_kernelILi256ELi2ELi4ELi8EdEEv20rocsparse_direction_iiiiii21rocsparse_index_base_PKT3_PKiS7_S2_PS3_PiS9_,"axG",@progbits,_ZN9rocsparseL44csr2gebsr_wavefront_per_row_multipass_kernelILi256ELi2ELi4ELi8EdEEv20rocsparse_direction_iiiiii21rocsparse_index_base_PKT3_PKiS7_S2_PS3_PiS9_,comdat
.Lfunc_end73:
	.size	_ZN9rocsparseL44csr2gebsr_wavefront_per_row_multipass_kernelILi256ELi2ELi4ELi8EdEEv20rocsparse_direction_iiiiii21rocsparse_index_base_PKT3_PKiS7_S2_PS3_PiS9_, .Lfunc_end73-_ZN9rocsparseL44csr2gebsr_wavefront_per_row_multipass_kernelILi256ELi2ELi4ELi8EdEEv20rocsparse_direction_iiiiii21rocsparse_index_base_PKT3_PKiS7_S2_PS3_PiS9_
                                        ; -- End function
	.section	.AMDGPU.csdata,"",@progbits
; Kernel info:
; codeLenInByte = 1136
; NumSgprs: 32
; NumVgprs: 30
; NumAgprs: 0
; TotalNumVgprs: 30
; ScratchSize: 0
; MemoryBound: 0
; FloatMode: 240
; IeeeMode: 1
; LDSByteSize: 2080 bytes/workgroup (compile time only)
; SGPRBlocks: 3
; VGPRBlocks: 3
; NumSGPRsForWavesPerEU: 32
; NumVGPRsForWavesPerEU: 30
; AccumOffset: 32
; Occupancy: 8
; WaveLimiterHint : 0
; COMPUTE_PGM_RSRC2:SCRATCH_EN: 0
; COMPUTE_PGM_RSRC2:USER_SGPR: 2
; COMPUTE_PGM_RSRC2:TRAP_HANDLER: 0
; COMPUTE_PGM_RSRC2:TGID_X_EN: 1
; COMPUTE_PGM_RSRC2:TGID_Y_EN: 0
; COMPUTE_PGM_RSRC2:TGID_Z_EN: 0
; COMPUTE_PGM_RSRC2:TIDIG_COMP_CNT: 0
; COMPUTE_PGM_RSRC3_GFX90A:ACCUM_OFFSET: 7
; COMPUTE_PGM_RSRC3_GFX90A:TG_SPLIT: 0
	.section	.text._ZN9rocsparseL44csr2gebsr_wavefront_per_row_multipass_kernelILi256ELi2ELi8ELi16EdEEv20rocsparse_direction_iiiiii21rocsparse_index_base_PKT3_PKiS7_S2_PS3_PiS9_,"axG",@progbits,_ZN9rocsparseL44csr2gebsr_wavefront_per_row_multipass_kernelILi256ELi2ELi8ELi16EdEEv20rocsparse_direction_iiiiii21rocsparse_index_base_PKT3_PKiS7_S2_PS3_PiS9_,comdat
	.globl	_ZN9rocsparseL44csr2gebsr_wavefront_per_row_multipass_kernelILi256ELi2ELi8ELi16EdEEv20rocsparse_direction_iiiiii21rocsparse_index_base_PKT3_PKiS7_S2_PS3_PiS9_ ; -- Begin function _ZN9rocsparseL44csr2gebsr_wavefront_per_row_multipass_kernelILi256ELi2ELi8ELi16EdEEv20rocsparse_direction_iiiiii21rocsparse_index_base_PKT3_PKiS7_S2_PS3_PiS9_
	.p2align	8
	.type	_ZN9rocsparseL44csr2gebsr_wavefront_per_row_multipass_kernelILi256ELi2ELi8ELi16EdEEv20rocsparse_direction_iiiiii21rocsparse_index_base_PKT3_PKiS7_S2_PS3_PiS9_,@function
_ZN9rocsparseL44csr2gebsr_wavefront_per_row_multipass_kernelILi256ELi2ELi8ELi16EdEEv20rocsparse_direction_iiiiii21rocsparse_index_base_PKT3_PKiS7_S2_PS3_PiS9_: ; @_ZN9rocsparseL44csr2gebsr_wavefront_per_row_multipass_kernelILi256ELi2ELi8ELi16EdEEv20rocsparse_direction_iiiiii21rocsparse_index_base_PKT3_PKiS7_S2_PS3_PiS9_
; %bb.0:
	s_load_dwordx2 s[14:15], s[0:1], 0x0
	s_load_dwordx4 s[4:7], s[0:1], 0xc
	s_load_dword s20, s[0:1], 0x1c
	s_load_dwordx2 s[8:9], s[0:1], 0x28
	v_lshrrev_b32_e32 v12, 4, v0
	v_bfe_u32 v6, v0, 3, 1
	v_lshl_or_b32 v4, s2, 4, v12
	s_waitcnt lgkmcnt(0)
	v_mad_u64_u32 v[2:3], s[2:3], v4, s6, v[6:7]
	v_cmp_gt_i32_e64 s[2:3], s15, v2
	v_cmp_gt_i32_e32 vcc, s6, v6
	s_and_b64 s[2:3], vcc, s[2:3]
	v_mov_b32_e32 v13, 0
	v_mov_b32_e32 v8, 0
	s_and_saveexec_b64 s[10:11], s[2:3]
	s_cbranch_execz .LBB74_2
; %bb.1:
	v_ashrrev_i32_e32 v3, 31, v2
	v_lshl_add_u64 v[8:9], v[2:3], 2, s[8:9]
	global_load_dword v1, v[8:9], off
	s_waitcnt vmcnt(0)
	v_subrev_u32_e32 v8, s20, v1
.LBB74_2:
	s_or_b64 exec, exec, s[10:11]
	s_and_saveexec_b64 s[10:11], s[2:3]
	s_cbranch_execz .LBB74_4
; %bb.3:
	v_ashrrev_i32_e32 v3, 31, v2
	v_lshl_add_u64 v[2:3], v[2:3], 2, s[8:9]
	global_load_dword v1, v[2:3], off offset:4
	s_waitcnt vmcnt(0)
	v_subrev_u32_e32 v13, s20, v1
.LBB74_4:
	s_or_b64 exec, exec, s[10:11]
	s_load_dword s21, s[0:1], 0x38
	v_cmp_gt_i32_e64 s[2:3], s4, v4
	v_mov_b32_e32 v2, 0
	s_and_saveexec_b64 s[8:9], s[2:3]
	s_cbranch_execz .LBB74_6
; %bb.5:
	s_load_dwordx2 s[2:3], s[0:1], 0x48
	v_ashrrev_i32_e32 v5, 31, v4
	s_waitcnt lgkmcnt(0)
	v_lshl_add_u64 v[2:3], v[4:5], 2, s[2:3]
	global_load_dword v1, v[2:3], off
	s_waitcnt vmcnt(0)
	v_subrev_u32_e32 v2, s21, v1
.LBB74_6:
	s_or_b64 exec, exec, s[8:9]
	s_cmp_lt_i32 s5, 1
	s_cbranch_scc1 .LBB74_21
; %bb.7:
	s_load_dwordx2 s[2:3], s[0:1], 0x20
	s_load_dwordx2 s[8:9], s[0:1], 0x50
	;; [unrolled: 1-line block ×4, first 2 shown]
	v_and_b32_e32 v4, 7, v0
	v_lshlrev_b32_e32 v10, 3, v6
	s_movk_i32 s0, 0xf0
	v_and_or_b32 v14, v0, s0, v10
	v_cmp_gt_u32_e64 s[0:1], s7, v4
	s_and_b64 s[12:13], vcc, s[0:1]
	s_cmp_eq_u32 s14, 0
	s_cselect_b64 vcc, -1, 0
	s_abs_i32 s4, s7
	v_cvt_f32_u32_e32 v9, s4
	v_mbcnt_lo_u32_b32 v0, -1, 0
	v_mbcnt_hi_u32_b32 v0, -1, v0
	v_lshlrev_b32_e32 v3, 2, v0
	v_rcp_iflag_f32_e32 v9, v9
	v_mov_b32_e32 v5, 0
	v_or_b32_e32 v15, 28, v3
	v_or_b32_e32 v0, v14, v4
	;; [unrolled: 1-line block ×3, first 2 shown]
	v_mul_f32_e32 v3, 0x4f7ffffe, v9
	v_lshlrev_b32_e32 v16, 3, v0
	v_mul_lo_u32 v0, v4, s6
	v_mov_b32_e32 v1, v5
	v_mul_lo_u32 v6, v6, s7
	v_cvt_u32_f32_e32 v3, v3
	s_waitcnt lgkmcnt(0)
	v_lshl_add_u64 v[0:1], v[0:1], 3, s[16:17]
	v_mov_b32_e32 v11, v5
	v_ashrrev_i32_e32 v7, 31, v6
	s_ashr_i32 s22, s7, 31
	v_lshl_add_u64 v[0:1], v[0:1], 0, v[10:11]
	v_lshl_add_u64 v[6:7], v[6:7], 3, s[16:17]
	v_lshlrev_b32_e32 v10, 3, v4
	s_mul_hi_u32 s0, s7, s6
	s_mul_i32 s1, s22, s6
	v_lshl_add_u64 v[6:7], v[6:7], 0, v[10:11]
	s_add_i32 s23, s0, s1
	s_sub_i32 s0, 0, s4
	v_cndmask_b32_e32 v0, v0, v6, vcc
	v_mul_lo_u32 v6, s0, v3
	v_mul_hi_u32 v6, v3, v6
	s_mul_i32 s6, s7, s6
	v_cndmask_b32_e32 v1, v1, v7, vcc
	v_add_u32_e32 v18, v3, v6
	s_mov_b64 s[14:15], 0
	v_mov_b32_e32 v6, v5
	v_mov_b32_e32 v7, v5
	;; [unrolled: 1-line block ×4, first 2 shown]
	s_branch .LBB74_10
.LBB74_8:                               ;   in Loop: Header=BB74_10 Depth=1
	s_or_b64 exec, exec, s[16:17]
	v_mov_b32_e32 v9, 1
.LBB74_9:                               ;   in Loop: Header=BB74_10 Depth=1
	s_or_b64 exec, exec, s[0:1]
	v_mov_b32_dpp v3, v20 row_shr:1 row_mask:0xf bank_mask:0xf
	v_min_i32_e32 v3, v3, v20
	v_add_u32_e32 v2, v9, v2
	s_waitcnt lgkmcnt(0)
	v_mov_b32_dpp v10, v3 row_shr:2 row_mask:0xf bank_mask:0xf
	v_min_i32_e32 v3, v10, v3
	s_nop 1
	v_mov_b32_dpp v10, v3 row_shr:4 row_mask:0xf bank_mask:0xe
	v_min_i32_e32 v3, v10, v3
	s_nop 1
	v_mov_b32_dpp v10, v3 row_shr:8 row_mask:0xf bank_mask:0xc
	v_min_i32_e32 v3, v10, v3
	ds_bpermute_b32 v3, v17, v3
	s_waitcnt lgkmcnt(0)
	v_cmp_le_i32_e32 vcc, s5, v3
	s_or_b64 s[14:15], vcc, s[14:15]
	s_andn2_b64 exec, exec, s[14:15]
	s_cbranch_execz .LBB74_21
.LBB74_10:                              ; =>This Loop Header: Depth=1
                                        ;     Child Loop BB74_13 Depth 2
	v_add_u32_e32 v21, v8, v4
	v_cmp_lt_i32_e32 vcc, v21, v13
	v_mov_b32_e32 v20, s5
	v_mov_b32_e32 v23, v13
	ds_write_b8 v12, v5 offset:2048
	ds_write_b64 v16, v[6:7]
	s_waitcnt lgkmcnt(0)
	s_and_saveexec_b64 s[16:17], vcc
	s_cbranch_execz .LBB74_18
; %bb.11:                               ;   in Loop: Header=BB74_10 Depth=1
	v_ashrrev_i32_e32 v9, 31, v8
	v_lshl_add_u64 v[10:11], v[4:5], 0, v[8:9]
	v_mul_lo_u32 v22, v3, s7
	v_lshl_add_u64 v[8:9], v[10:11], 2, s[10:11]
	v_lshl_add_u64 v[10:11], v[10:11], 3, s[2:3]
	s_mov_b64 s[18:19], 0
	v_mov_b32_e32 v20, s5
	v_mov_b32_e32 v23, v13
	s_branch .LBB74_13
.LBB74_12:                              ;   in Loop: Header=BB74_13 Depth=2
	s_or_b64 exec, exec, s[0:1]
	v_add_u32_e32 v21, 8, v21
	v_cmp_ge_i32_e64 s[0:1], v21, v13
	s_xor_b64 s[24:25], vcc, -1
	s_or_b64 s[0:1], s[24:25], s[0:1]
	s_and_b64 s[0:1], exec, s[0:1]
	v_lshl_add_u64 v[8:9], v[8:9], 0, 32
	s_or_b64 s[18:19], s[0:1], s[18:19]
	v_lshl_add_u64 v[10:11], v[10:11], 0, 64
	s_andn2_b64 exec, exec, s[18:19]
	s_cbranch_execz .LBB74_17
.LBB74_13:                              ;   Parent Loop BB74_10 Depth=1
                                        ; =>  This Inner Loop Header: Depth=2
	global_load_dword v24, v[8:9], off
	s_waitcnt vmcnt(0)
	v_subrev_u32_e32 v24, s20, v24
	v_sub_u32_e32 v26, 0, v24
	v_max_i32_e32 v26, v24, v26
	v_mul_hi_u32 v27, v26, v18
	v_mul_lo_u32 v28, v27, s4
	v_sub_u32_e32 v26, v26, v28
	v_add_u32_e32 v29, 1, v27
	v_cmp_le_u32_e32 vcc, s4, v26
	v_subrev_u32_e32 v28, s4, v26
	v_ashrrev_i32_e32 v25, 31, v24
	v_cndmask_b32_e32 v27, v27, v29, vcc
	v_cndmask_b32_e32 v26, v26, v28, vcc
	v_add_u32_e32 v28, 1, v27
	v_cmp_le_u32_e32 vcc, s4, v26
	v_xor_b32_e32 v25, s22, v25
	s_nop 0
	v_cndmask_b32_e32 v26, v27, v28, vcc
	v_xor_b32_e32 v26, v26, v25
	v_sub_u32_e32 v26, v26, v25
	v_cmp_eq_u32_e32 vcc, v26, v3
	v_cmp_ne_u32_e64 s[0:1], v26, v3
	v_mov_b32_e32 v25, v23
	s_and_saveexec_b64 s[24:25], s[0:1]
	s_xor_b64 s[0:1], exec, s[24:25]
; %bb.14:                               ;   in Loop: Header=BB74_13 Depth=2
	v_min_i32_e32 v20, v26, v20
                                        ; implicit-def: $vgpr24
                                        ; implicit-def: $vgpr25
; %bb.15:                               ;   in Loop: Header=BB74_13 Depth=2
	s_or_saveexec_b64 s[0:1], s[0:1]
	v_mov_b32_e32 v23, v21
	s_xor_b64 exec, exec, s[0:1]
	s_cbranch_execz .LBB74_12
; %bb.16:                               ;   in Loop: Header=BB74_13 Depth=2
	global_load_dwordx2 v[26:27], v[10:11], off
	v_sub_u32_e32 v23, v24, v22
	v_add_lshl_u32 v23, v14, v23, 3
	ds_write_b8 v12, v19 offset:2048
	s_waitcnt vmcnt(0)
	ds_write_b64 v23, v[26:27]
	v_mov_b32_e32 v23, v25
	s_branch .LBB74_12
.LBB74_17:                              ;   in Loop: Header=BB74_10 Depth=1
	s_or_b64 exec, exec, s[18:19]
.LBB74_18:                              ;   in Loop: Header=BB74_10 Depth=1
	s_or_b64 exec, exec, s[16:17]
	v_mov_b32_dpp v8, v23 row_shr:1 row_mask:0xf bank_mask:0xf
	v_min_i32_e32 v8, v8, v23
	s_waitcnt lgkmcnt(0)
	s_nop 0
	v_mov_b32_dpp v9, v8 row_shr:2 row_mask:0xf bank_mask:0xf
	v_min_i32_e32 v8, v9, v8
	ds_read_u8 v9, v12 offset:2048
	s_waitcnt lgkmcnt(0)
	v_and_b32_e32 v9, 1, v9
	v_mov_b32_dpp v10, v8 row_shr:4 row_mask:0xf bank_mask:0xe
	v_min_i32_e32 v8, v10, v8
	ds_bpermute_b32 v8, v15, v8
	v_cmp_eq_u32_e32 vcc, 1, v9
	v_mov_b32_e32 v9, 0
	s_and_saveexec_b64 s[0:1], vcc
	s_cbranch_execz .LBB74_9
; %bb.19:                               ;   in Loop: Header=BB74_10 Depth=1
	v_add_u32_e32 v9, s21, v3
	v_ashrrev_i32_e32 v3, 31, v2
	v_lshl_add_u64 v[10:11], v[2:3], 2, s[8:9]
	global_store_dword v[10:11], v9, off
	s_and_saveexec_b64 s[16:17], s[12:13]
	s_cbranch_execz .LBB74_8
; %bb.20:                               ;   in Loop: Header=BB74_10 Depth=1
	ds_read_b64 v[10:11], v16
	v_mul_lo_u32 v9, s23, v2
	v_mul_lo_u32 v3, s6, v3
	v_mad_u64_u32 v[22:23], s[18:19], s6, v2, 0
	v_add3_u32 v23, v23, v3, v9
	v_lshl_add_u64 v[22:23], v[22:23], 3, v[0:1]
	s_waitcnt lgkmcnt(0)
	global_store_dwordx2 v[22:23], v[10:11], off
	s_branch .LBB74_8
.LBB74_21:
	s_endpgm
	.section	.rodata,"a",@progbits
	.p2align	6, 0x0
	.amdhsa_kernel _ZN9rocsparseL44csr2gebsr_wavefront_per_row_multipass_kernelILi256ELi2ELi8ELi16EdEEv20rocsparse_direction_iiiiii21rocsparse_index_base_PKT3_PKiS7_S2_PS3_PiS9_
		.amdhsa_group_segment_fixed_size 2064
		.amdhsa_private_segment_fixed_size 0
		.amdhsa_kernarg_size 88
		.amdhsa_user_sgpr_count 2
		.amdhsa_user_sgpr_dispatch_ptr 0
		.amdhsa_user_sgpr_queue_ptr 0
		.amdhsa_user_sgpr_kernarg_segment_ptr 1
		.amdhsa_user_sgpr_dispatch_id 0
		.amdhsa_user_sgpr_kernarg_preload_length 0
		.amdhsa_user_sgpr_kernarg_preload_offset 0
		.amdhsa_user_sgpr_private_segment_size 0
		.amdhsa_uses_dynamic_stack 0
		.amdhsa_enable_private_segment 0
		.amdhsa_system_sgpr_workgroup_id_x 1
		.amdhsa_system_sgpr_workgroup_id_y 0
		.amdhsa_system_sgpr_workgroup_id_z 0
		.amdhsa_system_sgpr_workgroup_info 0
		.amdhsa_system_vgpr_workitem_id 0
		.amdhsa_next_free_vgpr 30
		.amdhsa_next_free_sgpr 26
		.amdhsa_accum_offset 32
		.amdhsa_reserve_vcc 1
		.amdhsa_float_round_mode_32 0
		.amdhsa_float_round_mode_16_64 0
		.amdhsa_float_denorm_mode_32 3
		.amdhsa_float_denorm_mode_16_64 3
		.amdhsa_dx10_clamp 1
		.amdhsa_ieee_mode 1
		.amdhsa_fp16_overflow 0
		.amdhsa_tg_split 0
		.amdhsa_exception_fp_ieee_invalid_op 0
		.amdhsa_exception_fp_denorm_src 0
		.amdhsa_exception_fp_ieee_div_zero 0
		.amdhsa_exception_fp_ieee_overflow 0
		.amdhsa_exception_fp_ieee_underflow 0
		.amdhsa_exception_fp_ieee_inexact 0
		.amdhsa_exception_int_div_zero 0
	.end_amdhsa_kernel
	.section	.text._ZN9rocsparseL44csr2gebsr_wavefront_per_row_multipass_kernelILi256ELi2ELi8ELi16EdEEv20rocsparse_direction_iiiiii21rocsparse_index_base_PKT3_PKiS7_S2_PS3_PiS9_,"axG",@progbits,_ZN9rocsparseL44csr2gebsr_wavefront_per_row_multipass_kernelILi256ELi2ELi8ELi16EdEEv20rocsparse_direction_iiiiii21rocsparse_index_base_PKT3_PKiS7_S2_PS3_PiS9_,comdat
.Lfunc_end74:
	.size	_ZN9rocsparseL44csr2gebsr_wavefront_per_row_multipass_kernelILi256ELi2ELi8ELi16EdEEv20rocsparse_direction_iiiiii21rocsparse_index_base_PKT3_PKiS7_S2_PS3_PiS9_, .Lfunc_end74-_ZN9rocsparseL44csr2gebsr_wavefront_per_row_multipass_kernelILi256ELi2ELi8ELi16EdEEv20rocsparse_direction_iiiiii21rocsparse_index_base_PKT3_PKiS7_S2_PS3_PiS9_
                                        ; -- End function
	.section	.AMDGPU.csdata,"",@progbits
; Kernel info:
; codeLenInByte = 1164
; NumSgprs: 32
; NumVgprs: 30
; NumAgprs: 0
; TotalNumVgprs: 30
; ScratchSize: 0
; MemoryBound: 0
; FloatMode: 240
; IeeeMode: 1
; LDSByteSize: 2064 bytes/workgroup (compile time only)
; SGPRBlocks: 3
; VGPRBlocks: 3
; NumSGPRsForWavesPerEU: 32
; NumVGPRsForWavesPerEU: 30
; AccumOffset: 32
; Occupancy: 8
; WaveLimiterHint : 0
; COMPUTE_PGM_RSRC2:SCRATCH_EN: 0
; COMPUTE_PGM_RSRC2:USER_SGPR: 2
; COMPUTE_PGM_RSRC2:TRAP_HANDLER: 0
; COMPUTE_PGM_RSRC2:TGID_X_EN: 1
; COMPUTE_PGM_RSRC2:TGID_Y_EN: 0
; COMPUTE_PGM_RSRC2:TGID_Z_EN: 0
; COMPUTE_PGM_RSRC2:TIDIG_COMP_CNT: 0
; COMPUTE_PGM_RSRC3_GFX90A:ACCUM_OFFSET: 7
; COMPUTE_PGM_RSRC3_GFX90A:TG_SPLIT: 0
	.section	.text._ZN9rocsparseL44csr2gebsr_wavefront_per_row_multipass_kernelILi256ELi2ELi16ELi32EdEEv20rocsparse_direction_iiiiii21rocsparse_index_base_PKT3_PKiS7_S2_PS3_PiS9_,"axG",@progbits,_ZN9rocsparseL44csr2gebsr_wavefront_per_row_multipass_kernelILi256ELi2ELi16ELi32EdEEv20rocsparse_direction_iiiiii21rocsparse_index_base_PKT3_PKiS7_S2_PS3_PiS9_,comdat
	.globl	_ZN9rocsparseL44csr2gebsr_wavefront_per_row_multipass_kernelILi256ELi2ELi16ELi32EdEEv20rocsparse_direction_iiiiii21rocsparse_index_base_PKT3_PKiS7_S2_PS3_PiS9_ ; -- Begin function _ZN9rocsparseL44csr2gebsr_wavefront_per_row_multipass_kernelILi256ELi2ELi16ELi32EdEEv20rocsparse_direction_iiiiii21rocsparse_index_base_PKT3_PKiS7_S2_PS3_PiS9_
	.p2align	8
	.type	_ZN9rocsparseL44csr2gebsr_wavefront_per_row_multipass_kernelILi256ELi2ELi16ELi32EdEEv20rocsparse_direction_iiiiii21rocsparse_index_base_PKT3_PKiS7_S2_PS3_PiS9_,@function
_ZN9rocsparseL44csr2gebsr_wavefront_per_row_multipass_kernelILi256ELi2ELi16ELi32EdEEv20rocsparse_direction_iiiiii21rocsparse_index_base_PKT3_PKiS7_S2_PS3_PiS9_: ; @_ZN9rocsparseL44csr2gebsr_wavefront_per_row_multipass_kernelILi256ELi2ELi16ELi32EdEEv20rocsparse_direction_iiiiii21rocsparse_index_base_PKT3_PKiS7_S2_PS3_PiS9_
; %bb.0:
	s_load_dwordx2 s[14:15], s[0:1], 0x0
	s_load_dwordx4 s[4:7], s[0:1], 0xc
	s_load_dword s22, s[0:1], 0x1c
	s_load_dwordx2 s[8:9], s[0:1], 0x28
	v_lshrrev_b32_e32 v12, 5, v0
	v_bfe_u32 v6, v0, 4, 1
	v_lshl_or_b32 v4, s2, 3, v12
	s_waitcnt lgkmcnt(0)
	v_mad_u64_u32 v[2:3], s[2:3], v4, s6, v[6:7]
	v_cmp_gt_i32_e64 s[2:3], s15, v2
	v_cmp_gt_i32_e32 vcc, s6, v6
	s_and_b64 s[2:3], vcc, s[2:3]
	v_mov_b32_e32 v13, 0
	v_mov_b32_e32 v8, 0
	s_and_saveexec_b64 s[10:11], s[2:3]
	s_cbranch_execz .LBB75_2
; %bb.1:
	v_ashrrev_i32_e32 v3, 31, v2
	v_lshl_add_u64 v[8:9], v[2:3], 2, s[8:9]
	global_load_dword v1, v[8:9], off
	s_waitcnt vmcnt(0)
	v_subrev_u32_e32 v8, s22, v1
.LBB75_2:
	s_or_b64 exec, exec, s[10:11]
	s_and_saveexec_b64 s[10:11], s[2:3]
	s_cbranch_execz .LBB75_4
; %bb.3:
	v_ashrrev_i32_e32 v3, 31, v2
	v_lshl_add_u64 v[2:3], v[2:3], 2, s[8:9]
	global_load_dword v1, v[2:3], off offset:4
	s_waitcnt vmcnt(0)
	v_subrev_u32_e32 v13, s22, v1
.LBB75_4:
	s_or_b64 exec, exec, s[10:11]
	s_load_dword s23, s[0:1], 0x38
	v_cmp_gt_i32_e64 s[2:3], s4, v4
	v_mov_b32_e32 v2, 0
	s_and_saveexec_b64 s[8:9], s[2:3]
	s_cbranch_execz .LBB75_6
; %bb.5:
	s_load_dwordx2 s[2:3], s[0:1], 0x48
	v_ashrrev_i32_e32 v5, 31, v4
	s_waitcnt lgkmcnt(0)
	v_lshl_add_u64 v[2:3], v[4:5], 2, s[2:3]
	global_load_dword v1, v[2:3], off
	s_waitcnt vmcnt(0)
	v_subrev_u32_e32 v2, s23, v1
.LBB75_6:
	s_or_b64 exec, exec, s[8:9]
	s_cmp_lt_i32 s5, 1
	s_cbranch_scc1 .LBB75_21
; %bb.7:
	v_and_b32_e32 v4, 15, v0
	s_load_dwordx2 s[2:3], s[0:1], 0x20
	s_load_dwordx2 s[8:9], s[0:1], 0x50
	;; [unrolled: 1-line block ×4, first 2 shown]
	v_cmp_gt_u32_e64 s[0:1], s7, v4
	s_and_b64 s[12:13], vcc, s[0:1]
	s_cmp_eq_u32 s14, 0
	s_cselect_b64 vcc, -1, 0
	s_abs_i32 s4, s7
	v_cvt_f32_u32_e32 v9, s4
	v_and_b32_e32 v0, 0xe0, v0
	v_lshl_or_b32 v14, v6, 4, v0
	v_mbcnt_lo_u32_b32 v0, -1, 0
	v_rcp_iflag_f32_e32 v9, v9
	v_mbcnt_hi_u32_b32 v0, -1, v0
	v_lshlrev_b32_e32 v3, 2, v0
	v_mov_b32_e32 v5, 0
	v_or_b32_e32 v15, 60, v3
	v_or_b32_e32 v0, v14, v4
	;; [unrolled: 1-line block ×3, first 2 shown]
	v_mul_f32_e32 v3, 0x4f7ffffe, v9
	v_lshlrev_b32_e32 v16, 3, v0
	v_mul_lo_u32 v0, v4, s6
	v_mov_b32_e32 v1, v5
	v_lshlrev_b32_e32 v10, 3, v6
	v_mul_lo_u32 v6, v6, s7
	v_cvt_u32_f32_e32 v3, v3
	s_waitcnt lgkmcnt(0)
	v_lshl_add_u64 v[0:1], v[0:1], 3, s[16:17]
	v_mov_b32_e32 v11, v5
	v_ashrrev_i32_e32 v7, 31, v6
	s_ashr_i32 s24, s7, 31
	v_lshl_add_u64 v[0:1], v[0:1], 0, v[10:11]
	v_lshl_add_u64 v[6:7], v[6:7], 3, s[16:17]
	v_lshlrev_b32_e32 v10, 3, v4
	s_mul_hi_u32 s0, s7, s6
	s_mul_i32 s1, s24, s6
	v_lshl_add_u64 v[6:7], v[6:7], 0, v[10:11]
	s_add_i32 s25, s0, s1
	s_sub_i32 s0, 0, s4
	v_cndmask_b32_e32 v0, v0, v6, vcc
	v_mul_lo_u32 v6, s0, v3
	v_mul_hi_u32 v6, v3, v6
	s_mul_i32 s6, s7, s6
	v_cndmask_b32_e32 v1, v1, v7, vcc
	v_add_u32_e32 v18, v3, v6
	s_mov_b64 s[14:15], 0
	v_mov_b32_e32 v6, v5
	v_mov_b32_e32 v7, v5
	s_mov_b64 s[16:17], 0x80
	v_mov_b32_e32 v19, 1
	v_mov_b32_e32 v3, v5
	s_branch .LBB75_10
.LBB75_8:                               ;   in Loop: Header=BB75_10 Depth=1
	s_or_b64 exec, exec, s[18:19]
	v_mov_b32_e32 v9, 1
.LBB75_9:                               ;   in Loop: Header=BB75_10 Depth=1
	s_or_b64 exec, exec, s[0:1]
	v_mov_b32_dpp v3, v20 row_shr:1 row_mask:0xf bank_mask:0xf
	v_min_i32_e32 v3, v3, v20
	v_add_u32_e32 v2, v9, v2
	s_waitcnt lgkmcnt(0)
	v_mov_b32_dpp v10, v3 row_shr:2 row_mask:0xf bank_mask:0xf
	v_min_i32_e32 v3, v10, v3
	s_nop 1
	v_mov_b32_dpp v10, v3 row_shr:4 row_mask:0xf bank_mask:0xe
	v_min_i32_e32 v3, v10, v3
	s_nop 1
	v_mov_b32_dpp v10, v3 row_shr:8 row_mask:0xf bank_mask:0xc
	v_min_i32_e32 v3, v10, v3
	s_nop 1
	v_mov_b32_dpp v10, v3 row_bcast:15 row_mask:0xa bank_mask:0xf
	v_min_i32_e32 v3, v10, v3
	ds_bpermute_b32 v3, v17, v3
	s_waitcnt lgkmcnt(0)
	v_cmp_le_i32_e32 vcc, s5, v3
	s_or_b64 s[14:15], vcc, s[14:15]
	s_andn2_b64 exec, exec, s[14:15]
	s_cbranch_execz .LBB75_21
.LBB75_10:                              ; =>This Loop Header: Depth=1
                                        ;     Child Loop BB75_13 Depth 2
	v_add_u32_e32 v21, v8, v4
	v_cmp_lt_i32_e32 vcc, v21, v13
	v_mov_b32_e32 v20, s5
	v_mov_b32_e32 v23, v13
	ds_write_b8 v12, v5 offset:2048
	ds_write_b64 v16, v[6:7]
	s_waitcnt lgkmcnt(0)
	s_and_saveexec_b64 s[18:19], vcc
	s_cbranch_execz .LBB75_18
; %bb.11:                               ;   in Loop: Header=BB75_10 Depth=1
	v_ashrrev_i32_e32 v9, 31, v8
	v_lshl_add_u64 v[10:11], v[4:5], 0, v[8:9]
	v_mul_lo_u32 v22, v3, s7
	v_lshl_add_u64 v[8:9], v[10:11], 2, s[10:11]
	v_lshl_add_u64 v[10:11], v[10:11], 3, s[2:3]
	s_mov_b64 s[20:21], 0
	v_mov_b32_e32 v20, s5
	v_mov_b32_e32 v23, v13
	s_branch .LBB75_13
.LBB75_12:                              ;   in Loop: Header=BB75_13 Depth=2
	s_or_b64 exec, exec, s[0:1]
	v_add_u32_e32 v21, 16, v21
	v_cmp_ge_i32_e64 s[0:1], v21, v13
	s_xor_b64 s[26:27], vcc, -1
	s_or_b64 s[0:1], s[26:27], s[0:1]
	s_and_b64 s[0:1], exec, s[0:1]
	v_lshl_add_u64 v[8:9], v[8:9], 0, 64
	s_or_b64 s[20:21], s[0:1], s[20:21]
	v_lshl_add_u64 v[10:11], v[10:11], 0, s[16:17]
	s_andn2_b64 exec, exec, s[20:21]
	s_cbranch_execz .LBB75_17
.LBB75_13:                              ;   Parent Loop BB75_10 Depth=1
                                        ; =>  This Inner Loop Header: Depth=2
	global_load_dword v24, v[8:9], off
	s_waitcnt vmcnt(0)
	v_subrev_u32_e32 v24, s22, v24
	v_sub_u32_e32 v26, 0, v24
	v_max_i32_e32 v26, v24, v26
	v_mul_hi_u32 v27, v26, v18
	v_mul_lo_u32 v28, v27, s4
	v_sub_u32_e32 v26, v26, v28
	v_add_u32_e32 v29, 1, v27
	v_cmp_le_u32_e32 vcc, s4, v26
	v_subrev_u32_e32 v28, s4, v26
	v_ashrrev_i32_e32 v25, 31, v24
	v_cndmask_b32_e32 v27, v27, v29, vcc
	v_cndmask_b32_e32 v26, v26, v28, vcc
	v_add_u32_e32 v28, 1, v27
	v_cmp_le_u32_e32 vcc, s4, v26
	v_xor_b32_e32 v25, s24, v25
	s_nop 0
	v_cndmask_b32_e32 v26, v27, v28, vcc
	v_xor_b32_e32 v26, v26, v25
	v_sub_u32_e32 v26, v26, v25
	v_cmp_eq_u32_e32 vcc, v26, v3
	v_cmp_ne_u32_e64 s[0:1], v26, v3
	v_mov_b32_e32 v25, v23
	s_and_saveexec_b64 s[26:27], s[0:1]
	s_xor_b64 s[0:1], exec, s[26:27]
; %bb.14:                               ;   in Loop: Header=BB75_13 Depth=2
	v_min_i32_e32 v20, v26, v20
                                        ; implicit-def: $vgpr24
                                        ; implicit-def: $vgpr25
; %bb.15:                               ;   in Loop: Header=BB75_13 Depth=2
	s_or_saveexec_b64 s[0:1], s[0:1]
	v_mov_b32_e32 v23, v21
	s_xor_b64 exec, exec, s[0:1]
	s_cbranch_execz .LBB75_12
; %bb.16:                               ;   in Loop: Header=BB75_13 Depth=2
	global_load_dwordx2 v[26:27], v[10:11], off
	v_sub_u32_e32 v23, v24, v22
	v_add_lshl_u32 v23, v14, v23, 3
	ds_write_b8 v12, v19 offset:2048
	s_waitcnt vmcnt(0)
	ds_write_b64 v23, v[26:27]
	v_mov_b32_e32 v23, v25
	s_branch .LBB75_12
.LBB75_17:                              ;   in Loop: Header=BB75_10 Depth=1
	s_or_b64 exec, exec, s[20:21]
.LBB75_18:                              ;   in Loop: Header=BB75_10 Depth=1
	s_or_b64 exec, exec, s[18:19]
	v_mov_b32_dpp v8, v23 row_shr:1 row_mask:0xf bank_mask:0xf
	v_min_i32_e32 v8, v8, v23
	s_waitcnt lgkmcnt(0)
	s_nop 0
	v_mov_b32_dpp v9, v8 row_shr:2 row_mask:0xf bank_mask:0xf
	v_min_i32_e32 v8, v9, v8
	s_nop 1
	v_mov_b32_dpp v9, v8 row_shr:4 row_mask:0xf bank_mask:0xe
	v_min_i32_e32 v8, v9, v8
	ds_read_u8 v9, v12 offset:2048
	s_waitcnt lgkmcnt(0)
	v_and_b32_e32 v9, 1, v9
	v_mov_b32_dpp v10, v8 row_shr:8 row_mask:0xf bank_mask:0xc
	v_min_i32_e32 v8, v10, v8
	ds_bpermute_b32 v8, v15, v8
	v_cmp_eq_u32_e32 vcc, 1, v9
	v_mov_b32_e32 v9, 0
	s_and_saveexec_b64 s[0:1], vcc
	s_cbranch_execz .LBB75_9
; %bb.19:                               ;   in Loop: Header=BB75_10 Depth=1
	v_add_u32_e32 v9, s23, v3
	v_ashrrev_i32_e32 v3, 31, v2
	v_lshl_add_u64 v[10:11], v[2:3], 2, s[8:9]
	global_store_dword v[10:11], v9, off
	s_and_saveexec_b64 s[18:19], s[12:13]
	s_cbranch_execz .LBB75_8
; %bb.20:                               ;   in Loop: Header=BB75_10 Depth=1
	ds_read_b64 v[10:11], v16
	v_mul_lo_u32 v9, s25, v2
	v_mul_lo_u32 v3, s6, v3
	v_mad_u64_u32 v[22:23], s[20:21], s6, v2, 0
	v_add3_u32 v23, v23, v3, v9
	v_lshl_add_u64 v[22:23], v[22:23], 3, v[0:1]
	s_waitcnt lgkmcnt(0)
	global_store_dwordx2 v[22:23], v[10:11], off
	s_branch .LBB75_8
.LBB75_21:
	s_endpgm
	.section	.rodata,"a",@progbits
	.p2align	6, 0x0
	.amdhsa_kernel _ZN9rocsparseL44csr2gebsr_wavefront_per_row_multipass_kernelILi256ELi2ELi16ELi32EdEEv20rocsparse_direction_iiiiii21rocsparse_index_base_PKT3_PKiS7_S2_PS3_PiS9_
		.amdhsa_group_segment_fixed_size 2056
		.amdhsa_private_segment_fixed_size 0
		.amdhsa_kernarg_size 88
		.amdhsa_user_sgpr_count 2
		.amdhsa_user_sgpr_dispatch_ptr 0
		.amdhsa_user_sgpr_queue_ptr 0
		.amdhsa_user_sgpr_kernarg_segment_ptr 1
		.amdhsa_user_sgpr_dispatch_id 0
		.amdhsa_user_sgpr_kernarg_preload_length 0
		.amdhsa_user_sgpr_kernarg_preload_offset 0
		.amdhsa_user_sgpr_private_segment_size 0
		.amdhsa_uses_dynamic_stack 0
		.amdhsa_enable_private_segment 0
		.amdhsa_system_sgpr_workgroup_id_x 1
		.amdhsa_system_sgpr_workgroup_id_y 0
		.amdhsa_system_sgpr_workgroup_id_z 0
		.amdhsa_system_sgpr_workgroup_info 0
		.amdhsa_system_vgpr_workitem_id 0
		.amdhsa_next_free_vgpr 30
		.amdhsa_next_free_sgpr 28
		.amdhsa_accum_offset 32
		.amdhsa_reserve_vcc 1
		.amdhsa_float_round_mode_32 0
		.amdhsa_float_round_mode_16_64 0
		.amdhsa_float_denorm_mode_32 3
		.amdhsa_float_denorm_mode_16_64 3
		.amdhsa_dx10_clamp 1
		.amdhsa_ieee_mode 1
		.amdhsa_fp16_overflow 0
		.amdhsa_tg_split 0
		.amdhsa_exception_fp_ieee_invalid_op 0
		.amdhsa_exception_fp_denorm_src 0
		.amdhsa_exception_fp_ieee_div_zero 0
		.amdhsa_exception_fp_ieee_overflow 0
		.amdhsa_exception_fp_ieee_underflow 0
		.amdhsa_exception_fp_ieee_inexact 0
		.amdhsa_exception_int_div_zero 0
	.end_amdhsa_kernel
	.section	.text._ZN9rocsparseL44csr2gebsr_wavefront_per_row_multipass_kernelILi256ELi2ELi16ELi32EdEEv20rocsparse_direction_iiiiii21rocsparse_index_base_PKT3_PKiS7_S2_PS3_PiS9_,"axG",@progbits,_ZN9rocsparseL44csr2gebsr_wavefront_per_row_multipass_kernelILi256ELi2ELi16ELi32EdEEv20rocsparse_direction_iiiiii21rocsparse_index_base_PKT3_PKiS7_S2_PS3_PiS9_,comdat
.Lfunc_end75:
	.size	_ZN9rocsparseL44csr2gebsr_wavefront_per_row_multipass_kernelILi256ELi2ELi16ELi32EdEEv20rocsparse_direction_iiiiii21rocsparse_index_base_PKT3_PKiS7_S2_PS3_PiS9_, .Lfunc_end75-_ZN9rocsparseL44csr2gebsr_wavefront_per_row_multipass_kernelILi256ELi2ELi16ELi32EdEEv20rocsparse_direction_iiiiii21rocsparse_index_base_PKT3_PKiS7_S2_PS3_PiS9_
                                        ; -- End function
	.section	.AMDGPU.csdata,"",@progbits
; Kernel info:
; codeLenInByte = 1212
; NumSgprs: 34
; NumVgprs: 30
; NumAgprs: 0
; TotalNumVgprs: 30
; ScratchSize: 0
; MemoryBound: 0
; FloatMode: 240
; IeeeMode: 1
; LDSByteSize: 2056 bytes/workgroup (compile time only)
; SGPRBlocks: 4
; VGPRBlocks: 3
; NumSGPRsForWavesPerEU: 34
; NumVGPRsForWavesPerEU: 30
; AccumOffset: 32
; Occupancy: 8
; WaveLimiterHint : 0
; COMPUTE_PGM_RSRC2:SCRATCH_EN: 0
; COMPUTE_PGM_RSRC2:USER_SGPR: 2
; COMPUTE_PGM_RSRC2:TRAP_HANDLER: 0
; COMPUTE_PGM_RSRC2:TGID_X_EN: 1
; COMPUTE_PGM_RSRC2:TGID_Y_EN: 0
; COMPUTE_PGM_RSRC2:TGID_Z_EN: 0
; COMPUTE_PGM_RSRC2:TIDIG_COMP_CNT: 0
; COMPUTE_PGM_RSRC3_GFX90A:ACCUM_OFFSET: 7
; COMPUTE_PGM_RSRC3_GFX90A:TG_SPLIT: 0
	.section	.text._ZN9rocsparseL44csr2gebsr_wavefront_per_row_multipass_kernelILi256ELi2ELi32ELi64EdEEv20rocsparse_direction_iiiiii21rocsparse_index_base_PKT3_PKiS7_S2_PS3_PiS9_,"axG",@progbits,_ZN9rocsparseL44csr2gebsr_wavefront_per_row_multipass_kernelILi256ELi2ELi32ELi64EdEEv20rocsparse_direction_iiiiii21rocsparse_index_base_PKT3_PKiS7_S2_PS3_PiS9_,comdat
	.globl	_ZN9rocsparseL44csr2gebsr_wavefront_per_row_multipass_kernelILi256ELi2ELi32ELi64EdEEv20rocsparse_direction_iiiiii21rocsparse_index_base_PKT3_PKiS7_S2_PS3_PiS9_ ; -- Begin function _ZN9rocsparseL44csr2gebsr_wavefront_per_row_multipass_kernelILi256ELi2ELi32ELi64EdEEv20rocsparse_direction_iiiiii21rocsparse_index_base_PKT3_PKiS7_S2_PS3_PiS9_
	.p2align	8
	.type	_ZN9rocsparseL44csr2gebsr_wavefront_per_row_multipass_kernelILi256ELi2ELi32ELi64EdEEv20rocsparse_direction_iiiiii21rocsparse_index_base_PKT3_PKiS7_S2_PS3_PiS9_,@function
_ZN9rocsparseL44csr2gebsr_wavefront_per_row_multipass_kernelILi256ELi2ELi32ELi64EdEEv20rocsparse_direction_iiiiii21rocsparse_index_base_PKT3_PKiS7_S2_PS3_PiS9_: ; @_ZN9rocsparseL44csr2gebsr_wavefront_per_row_multipass_kernelILi256ELi2ELi32ELi64EdEEv20rocsparse_direction_iiiiii21rocsparse_index_base_PKT3_PKiS7_S2_PS3_PiS9_
; %bb.0:
	s_load_dwordx2 s[14:15], s[0:1], 0x0
	s_load_dwordx4 s[4:7], s[0:1], 0xc
	s_load_dword s24, s[0:1], 0x1c
	s_load_dwordx2 s[8:9], s[0:1], 0x28
	v_lshrrev_b32_e32 v12, 6, v0
	v_bfe_u32 v6, v0, 5, 1
	v_lshl_or_b32 v4, s2, 2, v12
	s_waitcnt lgkmcnt(0)
	v_mad_u64_u32 v[2:3], s[2:3], v4, s6, v[6:7]
	v_cmp_gt_i32_e64 s[2:3], s15, v2
	v_cmp_gt_i32_e32 vcc, s6, v6
	s_and_b64 s[2:3], vcc, s[2:3]
	v_mov_b32_e32 v13, 0
	v_mov_b32_e32 v8, 0
	s_and_saveexec_b64 s[10:11], s[2:3]
	s_cbranch_execz .LBB76_2
; %bb.1:
	v_ashrrev_i32_e32 v3, 31, v2
	v_lshl_add_u64 v[8:9], v[2:3], 2, s[8:9]
	global_load_dword v1, v[8:9], off
	s_waitcnt vmcnt(0)
	v_subrev_u32_e32 v8, s24, v1
.LBB76_2:
	s_or_b64 exec, exec, s[10:11]
	s_and_saveexec_b64 s[10:11], s[2:3]
	s_cbranch_execz .LBB76_4
; %bb.3:
	v_ashrrev_i32_e32 v3, 31, v2
	v_lshl_add_u64 v[2:3], v[2:3], 2, s[8:9]
	global_load_dword v1, v[2:3], off offset:4
	s_waitcnt vmcnt(0)
	v_subrev_u32_e32 v13, s24, v1
.LBB76_4:
	s_or_b64 exec, exec, s[10:11]
	s_load_dword s25, s[0:1], 0x38
	v_cmp_gt_i32_e64 s[2:3], s4, v4
	v_mov_b32_e32 v2, 0
	s_and_saveexec_b64 s[8:9], s[2:3]
	s_cbranch_execz .LBB76_6
; %bb.5:
	s_load_dwordx2 s[2:3], s[0:1], 0x48
	v_ashrrev_i32_e32 v5, 31, v4
	s_waitcnt lgkmcnt(0)
	v_lshl_add_u64 v[2:3], v[4:5], 2, s[2:3]
	global_load_dword v1, v[2:3], off
	s_waitcnt vmcnt(0)
	v_subrev_u32_e32 v2, s25, v1
.LBB76_6:
	s_or_b64 exec, exec, s[8:9]
	s_cmp_lt_i32 s5, 1
	s_cbranch_scc1 .LBB76_21
; %bb.7:
	v_and_b32_e32 v4, 31, v0
	s_load_dwordx2 s[2:3], s[0:1], 0x20
	s_load_dwordx2 s[8:9], s[0:1], 0x50
	;; [unrolled: 1-line block ×4, first 2 shown]
	v_cmp_gt_u32_e64 s[0:1], s7, v4
	s_and_b64 s[12:13], vcc, s[0:1]
	s_cmp_eq_u32 s14, 0
	s_cselect_b64 vcc, -1, 0
	s_abs_i32 s4, s7
	v_cvt_f32_u32_e32 v9, s4
	v_and_b32_e32 v0, 0xc0, v0
	v_lshl_or_b32 v14, v6, 5, v0
	v_mbcnt_lo_u32_b32 v0, -1, 0
	v_rcp_iflag_f32_e32 v9, v9
	v_mbcnt_hi_u32_b32 v0, -1, v0
	v_lshlrev_b32_e32 v3, 2, v0
	v_mov_b32_e32 v5, 0
	v_or_b32_e32 v15, 0x7c, v3
	v_or_b32_e32 v0, v14, v4
	;; [unrolled: 1-line block ×3, first 2 shown]
	v_mul_f32_e32 v3, 0x4f7ffffe, v9
	v_lshlrev_b32_e32 v16, 3, v0
	v_mul_lo_u32 v0, v4, s6
	v_mov_b32_e32 v1, v5
	v_lshlrev_b32_e32 v10, 3, v6
	v_mul_lo_u32 v6, v6, s7
	v_cvt_u32_f32_e32 v3, v3
	s_waitcnt lgkmcnt(0)
	v_lshl_add_u64 v[0:1], v[0:1], 3, s[16:17]
	v_mov_b32_e32 v11, v5
	v_ashrrev_i32_e32 v7, 31, v6
	s_ashr_i32 s26, s7, 31
	v_lshl_add_u64 v[0:1], v[0:1], 0, v[10:11]
	v_lshl_add_u64 v[6:7], v[6:7], 3, s[16:17]
	v_lshlrev_b32_e32 v10, 3, v4
	s_mul_hi_u32 s0, s7, s6
	s_mul_i32 s1, s26, s6
	v_lshl_add_u64 v[6:7], v[6:7], 0, v[10:11]
	s_add_i32 s27, s0, s1
	s_sub_i32 s0, 0, s4
	v_cndmask_b32_e32 v0, v0, v6, vcc
	v_mul_lo_u32 v6, s0, v3
	v_mul_hi_u32 v6, v3, v6
	s_mul_i32 s6, s7, s6
	v_cndmask_b32_e32 v1, v1, v7, vcc
	v_add_u32_e32 v18, v3, v6
	s_mov_b64 s[14:15], 0
	v_mov_b32_e32 v6, v5
	v_mov_b32_e32 v7, v5
	s_mov_b64 s[16:17], 0x80
	s_mov_b64 s[18:19], 0x100
	v_mov_b32_e32 v19, 1
	v_mov_b32_e32 v3, v5
	s_branch .LBB76_10
.LBB76_8:                               ;   in Loop: Header=BB76_10 Depth=1
	s_or_b64 exec, exec, s[20:21]
	v_mov_b32_e32 v9, 1
.LBB76_9:                               ;   in Loop: Header=BB76_10 Depth=1
	s_or_b64 exec, exec, s[0:1]
	v_mov_b32_dpp v3, v20 row_shr:1 row_mask:0xf bank_mask:0xf
	v_min_i32_e32 v3, v3, v20
	v_add_u32_e32 v2, v9, v2
	s_waitcnt lgkmcnt(0)
	v_mov_b32_dpp v10, v3 row_shr:2 row_mask:0xf bank_mask:0xf
	v_min_i32_e32 v3, v10, v3
	s_nop 1
	v_mov_b32_dpp v10, v3 row_shr:4 row_mask:0xf bank_mask:0xe
	v_min_i32_e32 v3, v10, v3
	s_nop 1
	;; [unrolled: 3-line block ×3, first 2 shown]
	v_mov_b32_dpp v10, v3 row_bcast:15 row_mask:0xa bank_mask:0xf
	v_min_i32_e32 v3, v10, v3
	s_nop 1
	v_mov_b32_dpp v10, v3 row_bcast:31 row_mask:0xc bank_mask:0xf
	v_min_i32_e32 v3, v10, v3
	ds_bpermute_b32 v3, v17, v3
	s_waitcnt lgkmcnt(0)
	v_cmp_le_i32_e32 vcc, s5, v3
	s_or_b64 s[14:15], vcc, s[14:15]
	s_andn2_b64 exec, exec, s[14:15]
	s_cbranch_execz .LBB76_21
.LBB76_10:                              ; =>This Loop Header: Depth=1
                                        ;     Child Loop BB76_13 Depth 2
	v_add_u32_e32 v21, v8, v4
	v_cmp_lt_i32_e32 vcc, v21, v13
	v_mov_b32_e32 v20, s5
	v_mov_b32_e32 v23, v13
	ds_write_b8 v12, v5 offset:2048
	ds_write_b64 v16, v[6:7]
	s_waitcnt lgkmcnt(0)
	s_and_saveexec_b64 s[20:21], vcc
	s_cbranch_execz .LBB76_18
; %bb.11:                               ;   in Loop: Header=BB76_10 Depth=1
	v_ashrrev_i32_e32 v9, 31, v8
	v_lshl_add_u64 v[10:11], v[4:5], 0, v[8:9]
	v_mul_lo_u32 v22, v3, s7
	v_lshl_add_u64 v[8:9], v[10:11], 2, s[10:11]
	v_lshl_add_u64 v[10:11], v[10:11], 3, s[2:3]
	s_mov_b64 s[22:23], 0
	v_mov_b32_e32 v20, s5
	v_mov_b32_e32 v23, v13
	s_branch .LBB76_13
.LBB76_12:                              ;   in Loop: Header=BB76_13 Depth=2
	s_or_b64 exec, exec, s[0:1]
	v_add_u32_e32 v21, 32, v21
	v_cmp_ge_i32_e64 s[0:1], v21, v13
	s_xor_b64 s[28:29], vcc, -1
	s_or_b64 s[0:1], s[28:29], s[0:1]
	s_and_b64 s[0:1], exec, s[0:1]
	v_lshl_add_u64 v[8:9], v[8:9], 0, s[16:17]
	s_or_b64 s[22:23], s[0:1], s[22:23]
	v_lshl_add_u64 v[10:11], v[10:11], 0, s[18:19]
	s_andn2_b64 exec, exec, s[22:23]
	s_cbranch_execz .LBB76_17
.LBB76_13:                              ;   Parent Loop BB76_10 Depth=1
                                        ; =>  This Inner Loop Header: Depth=2
	global_load_dword v24, v[8:9], off
	s_waitcnt vmcnt(0)
	v_subrev_u32_e32 v24, s24, v24
	v_sub_u32_e32 v26, 0, v24
	v_max_i32_e32 v26, v24, v26
	v_mul_hi_u32 v27, v26, v18
	v_mul_lo_u32 v28, v27, s4
	v_sub_u32_e32 v26, v26, v28
	v_add_u32_e32 v29, 1, v27
	v_cmp_le_u32_e32 vcc, s4, v26
	v_subrev_u32_e32 v28, s4, v26
	v_ashrrev_i32_e32 v25, 31, v24
	v_cndmask_b32_e32 v27, v27, v29, vcc
	v_cndmask_b32_e32 v26, v26, v28, vcc
	v_add_u32_e32 v28, 1, v27
	v_cmp_le_u32_e32 vcc, s4, v26
	v_xor_b32_e32 v25, s26, v25
	s_nop 0
	v_cndmask_b32_e32 v26, v27, v28, vcc
	v_xor_b32_e32 v26, v26, v25
	v_sub_u32_e32 v26, v26, v25
	v_cmp_eq_u32_e32 vcc, v26, v3
	v_cmp_ne_u32_e64 s[0:1], v26, v3
	v_mov_b32_e32 v25, v23
	s_and_saveexec_b64 s[28:29], s[0:1]
	s_xor_b64 s[0:1], exec, s[28:29]
; %bb.14:                               ;   in Loop: Header=BB76_13 Depth=2
	v_min_i32_e32 v20, v26, v20
                                        ; implicit-def: $vgpr24
                                        ; implicit-def: $vgpr25
; %bb.15:                               ;   in Loop: Header=BB76_13 Depth=2
	s_or_saveexec_b64 s[0:1], s[0:1]
	v_mov_b32_e32 v23, v21
	s_xor_b64 exec, exec, s[0:1]
	s_cbranch_execz .LBB76_12
; %bb.16:                               ;   in Loop: Header=BB76_13 Depth=2
	global_load_dwordx2 v[26:27], v[10:11], off
	v_sub_u32_e32 v23, v24, v22
	v_add_lshl_u32 v23, v14, v23, 3
	ds_write_b8 v12, v19 offset:2048
	s_waitcnt vmcnt(0)
	ds_write_b64 v23, v[26:27]
	v_mov_b32_e32 v23, v25
	s_branch .LBB76_12
.LBB76_17:                              ;   in Loop: Header=BB76_10 Depth=1
	s_or_b64 exec, exec, s[22:23]
.LBB76_18:                              ;   in Loop: Header=BB76_10 Depth=1
	s_or_b64 exec, exec, s[20:21]
	v_mov_b32_dpp v8, v23 row_shr:1 row_mask:0xf bank_mask:0xf
	v_min_i32_e32 v8, v8, v23
	s_waitcnt lgkmcnt(0)
	s_nop 0
	v_mov_b32_dpp v9, v8 row_shr:2 row_mask:0xf bank_mask:0xf
	v_min_i32_e32 v8, v9, v8
	s_nop 1
	v_mov_b32_dpp v9, v8 row_shr:4 row_mask:0xf bank_mask:0xe
	v_min_i32_e32 v8, v9, v8
	;; [unrolled: 3-line block ×3, first 2 shown]
	ds_read_u8 v9, v12 offset:2048
	s_waitcnt lgkmcnt(0)
	v_and_b32_e32 v9, 1, v9
	v_mov_b32_dpp v10, v8 row_bcast:15 row_mask:0xa bank_mask:0xf
	v_min_i32_e32 v8, v10, v8
	ds_bpermute_b32 v8, v15, v8
	v_cmp_eq_u32_e32 vcc, 1, v9
	v_mov_b32_e32 v9, 0
	s_and_saveexec_b64 s[0:1], vcc
	s_cbranch_execz .LBB76_9
; %bb.19:                               ;   in Loop: Header=BB76_10 Depth=1
	v_add_u32_e32 v9, s25, v3
	v_ashrrev_i32_e32 v3, 31, v2
	v_lshl_add_u64 v[10:11], v[2:3], 2, s[8:9]
	global_store_dword v[10:11], v9, off
	s_and_saveexec_b64 s[20:21], s[12:13]
	s_cbranch_execz .LBB76_8
; %bb.20:                               ;   in Loop: Header=BB76_10 Depth=1
	ds_read_b64 v[10:11], v16
	v_mul_lo_u32 v9, s27, v2
	v_mul_lo_u32 v3, s6, v3
	v_mad_u64_u32 v[22:23], s[22:23], s6, v2, 0
	v_add3_u32 v23, v23, v3, v9
	v_lshl_add_u64 v[22:23], v[22:23], 3, v[0:1]
	s_waitcnt lgkmcnt(0)
	global_store_dwordx2 v[22:23], v[10:11], off
	s_branch .LBB76_8
.LBB76_21:
	s_endpgm
	.section	.rodata,"a",@progbits
	.p2align	6, 0x0
	.amdhsa_kernel _ZN9rocsparseL44csr2gebsr_wavefront_per_row_multipass_kernelILi256ELi2ELi32ELi64EdEEv20rocsparse_direction_iiiiii21rocsparse_index_base_PKT3_PKiS7_S2_PS3_PiS9_
		.amdhsa_group_segment_fixed_size 2056
		.amdhsa_private_segment_fixed_size 0
		.amdhsa_kernarg_size 88
		.amdhsa_user_sgpr_count 2
		.amdhsa_user_sgpr_dispatch_ptr 0
		.amdhsa_user_sgpr_queue_ptr 0
		.amdhsa_user_sgpr_kernarg_segment_ptr 1
		.amdhsa_user_sgpr_dispatch_id 0
		.amdhsa_user_sgpr_kernarg_preload_length 0
		.amdhsa_user_sgpr_kernarg_preload_offset 0
		.amdhsa_user_sgpr_private_segment_size 0
		.amdhsa_uses_dynamic_stack 0
		.amdhsa_enable_private_segment 0
		.amdhsa_system_sgpr_workgroup_id_x 1
		.amdhsa_system_sgpr_workgroup_id_y 0
		.amdhsa_system_sgpr_workgroup_id_z 0
		.amdhsa_system_sgpr_workgroup_info 0
		.amdhsa_system_vgpr_workitem_id 0
		.amdhsa_next_free_vgpr 30
		.amdhsa_next_free_sgpr 30
		.amdhsa_accum_offset 32
		.amdhsa_reserve_vcc 1
		.amdhsa_float_round_mode_32 0
		.amdhsa_float_round_mode_16_64 0
		.amdhsa_float_denorm_mode_32 3
		.amdhsa_float_denorm_mode_16_64 3
		.amdhsa_dx10_clamp 1
		.amdhsa_ieee_mode 1
		.amdhsa_fp16_overflow 0
		.amdhsa_tg_split 0
		.amdhsa_exception_fp_ieee_invalid_op 0
		.amdhsa_exception_fp_denorm_src 0
		.amdhsa_exception_fp_ieee_div_zero 0
		.amdhsa_exception_fp_ieee_overflow 0
		.amdhsa_exception_fp_ieee_underflow 0
		.amdhsa_exception_fp_ieee_inexact 0
		.amdhsa_exception_int_div_zero 0
	.end_amdhsa_kernel
	.section	.text._ZN9rocsparseL44csr2gebsr_wavefront_per_row_multipass_kernelILi256ELi2ELi32ELi64EdEEv20rocsparse_direction_iiiiii21rocsparse_index_base_PKT3_PKiS7_S2_PS3_PiS9_,"axG",@progbits,_ZN9rocsparseL44csr2gebsr_wavefront_per_row_multipass_kernelILi256ELi2ELi32ELi64EdEEv20rocsparse_direction_iiiiii21rocsparse_index_base_PKT3_PKiS7_S2_PS3_PiS9_,comdat
.Lfunc_end76:
	.size	_ZN9rocsparseL44csr2gebsr_wavefront_per_row_multipass_kernelILi256ELi2ELi32ELi64EdEEv20rocsparse_direction_iiiiii21rocsparse_index_base_PKT3_PKiS7_S2_PS3_PiS9_, .Lfunc_end76-_ZN9rocsparseL44csr2gebsr_wavefront_per_row_multipass_kernelILi256ELi2ELi32ELi64EdEEv20rocsparse_direction_iiiiii21rocsparse_index_base_PKT3_PKiS7_S2_PS3_PiS9_
                                        ; -- End function
	.section	.AMDGPU.csdata,"",@progbits
; Kernel info:
; codeLenInByte = 1256
; NumSgprs: 36
; NumVgprs: 30
; NumAgprs: 0
; TotalNumVgprs: 30
; ScratchSize: 0
; MemoryBound: 0
; FloatMode: 240
; IeeeMode: 1
; LDSByteSize: 2056 bytes/workgroup (compile time only)
; SGPRBlocks: 4
; VGPRBlocks: 3
; NumSGPRsForWavesPerEU: 36
; NumVGPRsForWavesPerEU: 30
; AccumOffset: 32
; Occupancy: 8
; WaveLimiterHint : 0
; COMPUTE_PGM_RSRC2:SCRATCH_EN: 0
; COMPUTE_PGM_RSRC2:USER_SGPR: 2
; COMPUTE_PGM_RSRC2:TRAP_HANDLER: 0
; COMPUTE_PGM_RSRC2:TGID_X_EN: 1
; COMPUTE_PGM_RSRC2:TGID_Y_EN: 0
; COMPUTE_PGM_RSRC2:TGID_Z_EN: 0
; COMPUTE_PGM_RSRC2:TIDIG_COMP_CNT: 0
; COMPUTE_PGM_RSRC3_GFX90A:ACCUM_OFFSET: 7
; COMPUTE_PGM_RSRC3_GFX90A:TG_SPLIT: 0
	.section	.text._ZN9rocsparseL44csr2gebsr_wavefront_per_row_multipass_kernelILi256ELi2ELi32ELi32EdEEv20rocsparse_direction_iiiiii21rocsparse_index_base_PKT3_PKiS7_S2_PS3_PiS9_,"axG",@progbits,_ZN9rocsparseL44csr2gebsr_wavefront_per_row_multipass_kernelILi256ELi2ELi32ELi32EdEEv20rocsparse_direction_iiiiii21rocsparse_index_base_PKT3_PKiS7_S2_PS3_PiS9_,comdat
	.globl	_ZN9rocsparseL44csr2gebsr_wavefront_per_row_multipass_kernelILi256ELi2ELi32ELi32EdEEv20rocsparse_direction_iiiiii21rocsparse_index_base_PKT3_PKiS7_S2_PS3_PiS9_ ; -- Begin function _ZN9rocsparseL44csr2gebsr_wavefront_per_row_multipass_kernelILi256ELi2ELi32ELi32EdEEv20rocsparse_direction_iiiiii21rocsparse_index_base_PKT3_PKiS7_S2_PS3_PiS9_
	.p2align	8
	.type	_ZN9rocsparseL44csr2gebsr_wavefront_per_row_multipass_kernelILi256ELi2ELi32ELi32EdEEv20rocsparse_direction_iiiiii21rocsparse_index_base_PKT3_PKiS7_S2_PS3_PiS9_,@function
_ZN9rocsparseL44csr2gebsr_wavefront_per_row_multipass_kernelILi256ELi2ELi32ELi32EdEEv20rocsparse_direction_iiiiii21rocsparse_index_base_PKT3_PKiS7_S2_PS3_PiS9_: ; @_ZN9rocsparseL44csr2gebsr_wavefront_per_row_multipass_kernelILi256ELi2ELi32ELi32EdEEv20rocsparse_direction_iiiiii21rocsparse_index_base_PKT3_PKiS7_S2_PS3_PiS9_
; %bb.0:
	s_load_dwordx2 s[14:15], s[0:1], 0x0
	s_load_dwordx4 s[4:7], s[0:1], 0xc
	s_load_dword s26, s[0:1], 0x1c
	s_load_dwordx2 s[8:9], s[0:1], 0x28
	v_lshrrev_b32_e32 v18, 5, v0
	v_bfe_u32 v6, v0, 4, 1
	v_lshl_or_b32 v4, s2, 3, v18
	s_waitcnt lgkmcnt(0)
	v_mad_u64_u32 v[2:3], s[2:3], v4, s6, v[6:7]
	v_cmp_gt_i32_e64 s[2:3], s15, v2
	v_cmp_gt_i32_e32 vcc, s6, v6
	s_and_b64 s[2:3], vcc, s[2:3]
	v_mov_b32_e32 v19, 0
	v_mov_b32_e32 v16, 0
	s_and_saveexec_b64 s[10:11], s[2:3]
	s_cbranch_execz .LBB77_2
; %bb.1:
	v_ashrrev_i32_e32 v3, 31, v2
	v_lshl_add_u64 v[8:9], v[2:3], 2, s[8:9]
	global_load_dword v1, v[8:9], off
	s_waitcnt vmcnt(0)
	v_subrev_u32_e32 v16, s26, v1
.LBB77_2:
	s_or_b64 exec, exec, s[10:11]
	s_and_saveexec_b64 s[10:11], s[2:3]
	s_cbranch_execz .LBB77_4
; %bb.3:
	v_ashrrev_i32_e32 v3, 31, v2
	v_lshl_add_u64 v[2:3], v[2:3], 2, s[8:9]
	global_load_dword v1, v[2:3], off offset:4
	s_waitcnt vmcnt(0)
	v_subrev_u32_e32 v19, s26, v1
.LBB77_4:
	s_or_b64 exec, exec, s[10:11]
	s_load_dword s27, s[0:1], 0x38
	v_cmp_gt_i32_e64 s[2:3], s4, v4
	v_mov_b32_e32 v2, 0
	s_and_saveexec_b64 s[8:9], s[2:3]
	s_cbranch_execz .LBB77_6
; %bb.5:
	s_load_dwordx2 s[2:3], s[0:1], 0x48
	v_ashrrev_i32_e32 v5, 31, v4
	s_waitcnt lgkmcnt(0)
	v_lshl_add_u64 v[2:3], v[4:5], 2, s[2:3]
	global_load_dword v1, v[2:3], off
	s_waitcnt vmcnt(0)
	v_subrev_u32_e32 v2, s27, v1
.LBB77_6:
	s_or_b64 exec, exec, s[8:9]
	s_cmp_lt_i32 s5, 1
	s_cbranch_scc1 .LBB77_32
; %bb.7:
	v_and_b32_e32 v20, 15, v0
	v_lshlrev_b32_e32 v0, 6, v18
	v_lshl_or_b32 v21, v6, 5, v0
	v_mbcnt_lo_u32_b32 v0, -1, 0
	v_mbcnt_hi_u32_b32 v0, -1, v0
	s_cmp_lg_u32 s14, 0
	v_lshlrev_b32_e32 v3, 2, v0
	s_cselect_b64 s[14:15], -1, 0
	s_abs_i32 s30, s7
	v_or_b32_e32 v22, 60, v3
	v_or_b32_e32 v23, 0x7c, v3
	v_cvt_f32_u32_e32 v3, s30
	s_load_dwordx2 s[8:9], s[0:1], 0x20
	s_load_dwordx2 s[10:11], s[0:1], 0x50
	s_load_dwordx2 s[2:3], s[0:1], 0x40
	s_load_dwordx2 s[12:13], s[0:1], 0x30
	s_ashr_i32 s4, s7, 31
	s_mul_hi_u32 s0, s7, s6
	v_rcp_iflag_f32_e32 v3, v3
	s_mul_i32 s1, s4, s6
	s_add_i32 s28, s0, s1
	v_lshlrev_b32_e32 v0, 3, v6
	v_mul_f32_e32 v3, 0x4f7ffffe, v3
	v_cvt_u32_f32_e32 v3, v3
	v_mul_lo_u32 v6, v6, s7
	v_cmp_gt_u32_e64 s[0:1], s7, v20
	v_mov_b32_e32 v1, 0
	v_or_b32_e32 v8, v21, v20
	v_ashrrev_i32_e32 v7, 31, v6
	s_and_b64 s[16:17], s[0:1], vcc
	s_sub_i32 s0, 0, s30
	s_waitcnt lgkmcnt(0)
	v_lshl_add_u64 v[4:5], s[2:3], 0, v[0:1]
	v_lshl_add_u64 v[6:7], v[6:7], 3, s[2:3]
	v_lshlrev_b32_e32 v0, 3, v20
	v_lshlrev_b32_e32 v24, 3, v8
	v_or_b32_e32 v8, 16, v20
	v_mul_lo_u32 v10, s0, v3
	v_lshl_add_u64 v[6:7], v[6:7], 0, v[0:1]
	v_mul_lo_u32 v0, v20, s6
	v_cmp_gt_u32_e64 s[2:3], s7, v8
	v_mul_hi_u32 v10, v3, v10
	s_mul_i32 s29, s7, s6
	v_lshl_add_u32 v8, s6, 4, v0
	v_mov_b32_e32 v9, v1
	s_and_b64 s[2:3], vcc, s[2:3]
	v_add_u32_e32 v25, v3, v10
	v_or_b32_e32 v26, -16, v20
	s_mov_b64 s[18:19], 0
	v_mov_b32_e32 v10, v1
	v_mov_b32_e32 v11, v1
	s_mov_b64 s[20:21], 0x80
	v_mov_b32_e32 v27, 1
	v_mov_b32_e32 v3, v1
	s_branch .LBB77_11
.LBB77_8:                               ;   in Loop: Header=BB77_11 Depth=1
	v_mov_b32_e32 v17, s6
.LBB77_9:                               ;   in Loop: Header=BB77_11 Depth=1
	s_or_b64 exec, exec, s[22:23]
.LBB77_10:                              ;   in Loop: Header=BB77_11 Depth=1
	s_or_b64 exec, exec, s[0:1]
	v_mov_b32_dpp v3, v28 row_shr:1 row_mask:0xf bank_mask:0xf
	v_min_i32_e32 v3, v3, v28
	v_add_u32_e32 v2, v17, v2
	s_waitcnt lgkmcnt(0)
	v_mov_b32_dpp v12, v3 row_shr:2 row_mask:0xf bank_mask:0xf
	v_min_i32_e32 v3, v12, v3
	s_nop 1
	v_mov_b32_dpp v12, v3 row_shr:4 row_mask:0xf bank_mask:0xe
	v_min_i32_e32 v3, v12, v3
	s_nop 1
	;; [unrolled: 3-line block ×3, first 2 shown]
	v_mov_b32_dpp v12, v3 row_bcast:15 row_mask:0xa bank_mask:0xf
	v_min_i32_e32 v3, v12, v3
	ds_bpermute_b32 v3, v23, v3
	s_waitcnt lgkmcnt(0)
	v_cmp_le_i32_e32 vcc, s5, v3
	s_or_b64 s[18:19], vcc, s[18:19]
	s_andn2_b64 exec, exec, s[18:19]
	s_cbranch_execz .LBB77_32
.LBB77_11:                              ; =>This Loop Header: Depth=1
                                        ;     Child Loop BB77_12 Depth 2
                                        ;     Child Loop BB77_16 Depth 2
	s_mov_b64 s[0:1], 0
	v_mov_b32_e32 v12, v24
	v_mov_b32_e32 v13, v26
	ds_write_b8 v18, v1 offset:4096
.LBB77_12:                              ;   Parent Loop BB77_11 Depth=1
                                        ; =>  This Inner Loop Header: Depth=2
	v_add_co_u32_e32 v13, vcc, 16, v13
	s_xor_b64 s[22:23], vcc, -1
	s_and_b64 s[22:23], exec, s[22:23]
	ds_write_b64 v12, v[10:11]
	s_or_b64 s[0:1], s[22:23], s[0:1]
	v_add_u32_e32 v12, 0x80, v12
	s_andn2_b64 exec, exec, s[0:1]
	s_cbranch_execnz .LBB77_12
; %bb.13:                               ;   in Loop: Header=BB77_11 Depth=1
	s_or_b64 exec, exec, s[0:1]
	v_add_u32_e32 v12, v16, v20
	v_cmp_lt_i32_e32 vcc, v12, v19
	v_mov_b32_e32 v28, s5
	v_mov_b32_e32 v13, v19
	s_waitcnt lgkmcnt(0)
	s_and_saveexec_b64 s[22:23], vcc
	s_cbranch_execz .LBB77_21
; %bb.14:                               ;   in Loop: Header=BB77_11 Depth=1
	v_ashrrev_i32_e32 v13, 31, v12
	v_mul_lo_u32 v29, v3, s7
	v_lshl_add_u64 v[14:15], v[12:13], 2, s[12:13]
	v_lshl_add_u64 v[16:17], v[12:13], 3, s[8:9]
	s_mov_b64 s[24:25], 0
	v_mov_b32_e32 v28, s5
	v_mov_b32_e32 v13, v19
	s_branch .LBB77_16
.LBB77_15:                              ;   in Loop: Header=BB77_16 Depth=2
	s_or_b64 exec, exec, s[0:1]
	v_add_u32_e32 v12, 16, v12
	v_cmp_ge_i32_e64 s[0:1], v12, v19
	s_xor_b64 s[34:35], vcc, -1
	s_or_b64 s[0:1], s[34:35], s[0:1]
	s_and_b64 s[0:1], exec, s[0:1]
	v_lshl_add_u64 v[14:15], v[14:15], 0, 64
	s_or_b64 s[24:25], s[0:1], s[24:25]
	v_lshl_add_u64 v[16:17], v[16:17], 0, s[20:21]
	s_andn2_b64 exec, exec, s[24:25]
	s_cbranch_execz .LBB77_20
.LBB77_16:                              ;   Parent Loop BB77_11 Depth=1
                                        ; =>  This Inner Loop Header: Depth=2
	global_load_dword v30, v[14:15], off
	s_waitcnt vmcnt(0)
	v_subrev_u32_e32 v30, s26, v30
	v_sub_u32_e32 v32, 0, v30
	v_max_i32_e32 v32, v30, v32
	v_mul_hi_u32 v33, v32, v25
	v_mul_lo_u32 v34, v33, s30
	v_sub_u32_e32 v32, v32, v34
	v_add_u32_e32 v35, 1, v33
	v_cmp_le_u32_e32 vcc, s30, v32
	v_subrev_u32_e32 v34, s30, v32
	v_ashrrev_i32_e32 v31, 31, v30
	v_cndmask_b32_e32 v33, v33, v35, vcc
	v_cndmask_b32_e32 v32, v32, v34, vcc
	v_add_u32_e32 v34, 1, v33
	v_cmp_le_u32_e32 vcc, s30, v32
	v_xor_b32_e32 v31, s4, v31
	s_nop 0
	v_cndmask_b32_e32 v32, v33, v34, vcc
	v_xor_b32_e32 v32, v32, v31
	v_sub_u32_e32 v32, v32, v31
	v_cmp_eq_u32_e32 vcc, v32, v3
	v_cmp_ne_u32_e64 s[0:1], v32, v3
	v_mov_b32_e32 v31, v13
	s_and_saveexec_b64 s[34:35], s[0:1]
	s_xor_b64 s[0:1], exec, s[34:35]
; %bb.17:                               ;   in Loop: Header=BB77_16 Depth=2
	v_min_i32_e32 v28, v32, v28
                                        ; implicit-def: $vgpr30
                                        ; implicit-def: $vgpr31
; %bb.18:                               ;   in Loop: Header=BB77_16 Depth=2
	s_or_saveexec_b64 s[0:1], s[0:1]
	v_mov_b32_e32 v13, v12
	s_xor_b64 exec, exec, s[0:1]
	s_cbranch_execz .LBB77_15
; %bb.19:                               ;   in Loop: Header=BB77_16 Depth=2
	global_load_dwordx2 v[32:33], v[16:17], off
	v_sub_u32_e32 v13, v30, v29
	v_add_lshl_u32 v13, v21, v13, 3
	ds_write_b8 v18, v27 offset:4096
	s_waitcnt vmcnt(0)
	ds_write_b64 v13, v[32:33]
	v_mov_b32_e32 v13, v31
	s_branch .LBB77_15
.LBB77_20:                              ;   in Loop: Header=BB77_11 Depth=1
	s_or_b64 exec, exec, s[24:25]
.LBB77_21:                              ;   in Loop: Header=BB77_11 Depth=1
	s_or_b64 exec, exec, s[22:23]
	v_mov_b32_dpp v12, v13 row_shr:1 row_mask:0xf bank_mask:0xf
	v_min_i32_e32 v12, v12, v13
	s_waitcnt lgkmcnt(0)
	v_mov_b32_e32 v17, 0
	v_mov_b32_dpp v13, v12 row_shr:2 row_mask:0xf bank_mask:0xf
	v_min_i32_e32 v12, v13, v12
	s_nop 1
	v_mov_b32_dpp v13, v12 row_shr:4 row_mask:0xf bank_mask:0xe
	v_min_i32_e32 v12, v13, v12
	ds_read_u8 v13, v18 offset:4096
	s_nop 0
	v_mov_b32_dpp v14, v12 row_shr:8 row_mask:0xf bank_mask:0xc
	v_min_i32_e32 v12, v14, v12
	ds_bpermute_b32 v16, v22, v12
	s_waitcnt lgkmcnt(1)
	v_and_b32_e32 v12, 1, v13
	v_cmp_eq_u32_e32 vcc, 1, v12
	s_and_saveexec_b64 s[0:1], vcc
	s_cbranch_execz .LBB77_10
; %bb.22:                               ;   in Loop: Header=BB77_11 Depth=1
	v_add_u32_e32 v14, s27, v3
	v_ashrrev_i32_e32 v3, 31, v2
	v_lshl_add_u64 v[12:13], v[2:3], 2, s[10:11]
	global_store_dword v[12:13], v14, off
	v_mul_lo_u32 v14, s28, v2
	v_mul_lo_u32 v3, s29, v3
	v_mad_u64_u32 v[12:13], s[22:23], s29, v2, 0
	v_add3_u32 v13, v13, v3, v14
	v_lshlrev_b64 v[12:13], 3, v[12:13]
	v_lshl_add_u64 v[14:15], v[4:5], 0, v[12:13]
	v_lshl_add_u64 v[12:13], v[6:7], 0, v[12:13]
	s_and_saveexec_b64 s[22:23], s[16:17]
	s_cbranch_execz .LBB77_26
; %bb.23:                               ;   in Loop: Header=BB77_11 Depth=1
	s_and_b64 vcc, exec, s[14:15]
	s_cbranch_vccz .LBB77_29
; %bb.24:                               ;   in Loop: Header=BB77_11 Depth=1
	ds_read_b64 v[30:31], v24
	v_lshl_add_u64 v[32:33], v[0:1], 3, v[14:15]
	s_waitcnt lgkmcnt(0)
	global_store_dwordx2 v[32:33], v[30:31], off
	s_cbranch_execnz .LBB77_26
.LBB77_25:                              ;   in Loop: Header=BB77_11 Depth=1
	ds_read_b64 v[30:31], v24
	s_waitcnt lgkmcnt(0)
	global_store_dwordx2 v[12:13], v[30:31], off
.LBB77_26:                              ;   in Loop: Header=BB77_11 Depth=1
	s_or_b64 exec, exec, s[22:23]
	v_mov_b32_e32 v17, 1
	s_and_saveexec_b64 s[22:23], s[2:3]
	s_cbranch_execz .LBB77_9
; %bb.27:                               ;   in Loop: Header=BB77_11 Depth=1
	s_andn2_b64 vcc, exec, s[14:15]
	s_cbranch_vccnz .LBB77_30
; %bb.28:                               ;   in Loop: Header=BB77_11 Depth=1
	ds_read_b64 v[30:31], v24 offset:128
	v_lshl_add_u64 v[14:15], v[8:9], 3, v[14:15]
	s_mov_b32 s6, 1
	s_waitcnt lgkmcnt(0)
	global_store_dwordx2 v[14:15], v[30:31], off
	s_cbranch_execnz .LBB77_8
	s_branch .LBB77_31
.LBB77_29:                              ;   in Loop: Header=BB77_11 Depth=1
	s_branch .LBB77_25
.LBB77_30:                              ;   in Loop: Header=BB77_11 Depth=1
                                        ; implicit-def: $sgpr6
.LBB77_31:                              ;   in Loop: Header=BB77_11 Depth=1
	ds_read_b64 v[14:15], v24 offset:128
	s_mov_b32 s6, 1
	s_waitcnt lgkmcnt(0)
	global_store_dwordx2 v[12:13], v[14:15], off offset:128
	s_branch .LBB77_8
.LBB77_32:
	s_endpgm
	.section	.rodata,"a",@progbits
	.p2align	6, 0x0
	.amdhsa_kernel _ZN9rocsparseL44csr2gebsr_wavefront_per_row_multipass_kernelILi256ELi2ELi32ELi32EdEEv20rocsparse_direction_iiiiii21rocsparse_index_base_PKT3_PKiS7_S2_PS3_PiS9_
		.amdhsa_group_segment_fixed_size 4104
		.amdhsa_private_segment_fixed_size 0
		.amdhsa_kernarg_size 88
		.amdhsa_user_sgpr_count 2
		.amdhsa_user_sgpr_dispatch_ptr 0
		.amdhsa_user_sgpr_queue_ptr 0
		.amdhsa_user_sgpr_kernarg_segment_ptr 1
		.amdhsa_user_sgpr_dispatch_id 0
		.amdhsa_user_sgpr_kernarg_preload_length 0
		.amdhsa_user_sgpr_kernarg_preload_offset 0
		.amdhsa_user_sgpr_private_segment_size 0
		.amdhsa_uses_dynamic_stack 0
		.amdhsa_enable_private_segment 0
		.amdhsa_system_sgpr_workgroup_id_x 1
		.amdhsa_system_sgpr_workgroup_id_y 0
		.amdhsa_system_sgpr_workgroup_id_z 0
		.amdhsa_system_sgpr_workgroup_info 0
		.amdhsa_system_vgpr_workitem_id 0
		.amdhsa_next_free_vgpr 36
		.amdhsa_next_free_sgpr 36
		.amdhsa_accum_offset 36
		.amdhsa_reserve_vcc 1
		.amdhsa_float_round_mode_32 0
		.amdhsa_float_round_mode_16_64 0
		.amdhsa_float_denorm_mode_32 3
		.amdhsa_float_denorm_mode_16_64 3
		.amdhsa_dx10_clamp 1
		.amdhsa_ieee_mode 1
		.amdhsa_fp16_overflow 0
		.amdhsa_tg_split 0
		.amdhsa_exception_fp_ieee_invalid_op 0
		.amdhsa_exception_fp_denorm_src 0
		.amdhsa_exception_fp_ieee_div_zero 0
		.amdhsa_exception_fp_ieee_overflow 0
		.amdhsa_exception_fp_ieee_underflow 0
		.amdhsa_exception_fp_ieee_inexact 0
		.amdhsa_exception_int_div_zero 0
	.end_amdhsa_kernel
	.section	.text._ZN9rocsparseL44csr2gebsr_wavefront_per_row_multipass_kernelILi256ELi2ELi32ELi32EdEEv20rocsparse_direction_iiiiii21rocsparse_index_base_PKT3_PKiS7_S2_PS3_PiS9_,"axG",@progbits,_ZN9rocsparseL44csr2gebsr_wavefront_per_row_multipass_kernelILi256ELi2ELi32ELi32EdEEv20rocsparse_direction_iiiiii21rocsparse_index_base_PKT3_PKiS7_S2_PS3_PiS9_,comdat
.Lfunc_end77:
	.size	_ZN9rocsparseL44csr2gebsr_wavefront_per_row_multipass_kernelILi256ELi2ELi32ELi32EdEEv20rocsparse_direction_iiiiii21rocsparse_index_base_PKT3_PKiS7_S2_PS3_PiS9_, .Lfunc_end77-_ZN9rocsparseL44csr2gebsr_wavefront_per_row_multipass_kernelILi256ELi2ELi32ELi32EdEEv20rocsparse_direction_iiiiii21rocsparse_index_base_PKT3_PKiS7_S2_PS3_PiS9_
                                        ; -- End function
	.section	.AMDGPU.csdata,"",@progbits
; Kernel info:
; codeLenInByte = 1404
; NumSgprs: 42
; NumVgprs: 36
; NumAgprs: 0
; TotalNumVgprs: 36
; ScratchSize: 0
; MemoryBound: 0
; FloatMode: 240
; IeeeMode: 1
; LDSByteSize: 4104 bytes/workgroup (compile time only)
; SGPRBlocks: 5
; VGPRBlocks: 4
; NumSGPRsForWavesPerEU: 42
; NumVGPRsForWavesPerEU: 36
; AccumOffset: 36
; Occupancy: 8
; WaveLimiterHint : 0
; COMPUTE_PGM_RSRC2:SCRATCH_EN: 0
; COMPUTE_PGM_RSRC2:USER_SGPR: 2
; COMPUTE_PGM_RSRC2:TRAP_HANDLER: 0
; COMPUTE_PGM_RSRC2:TGID_X_EN: 1
; COMPUTE_PGM_RSRC2:TGID_Y_EN: 0
; COMPUTE_PGM_RSRC2:TGID_Z_EN: 0
; COMPUTE_PGM_RSRC2:TIDIG_COMP_CNT: 0
; COMPUTE_PGM_RSRC3_GFX90A:ACCUM_OFFSET: 8
; COMPUTE_PGM_RSRC3_GFX90A:TG_SPLIT: 0
	.section	.text._ZN9rocsparseL44csr2gebsr_wavefront_per_row_multipass_kernelILi256ELi2ELi64ELi64EdEEv20rocsparse_direction_iiiiii21rocsparse_index_base_PKT3_PKiS7_S2_PS3_PiS9_,"axG",@progbits,_ZN9rocsparseL44csr2gebsr_wavefront_per_row_multipass_kernelILi256ELi2ELi64ELi64EdEEv20rocsparse_direction_iiiiii21rocsparse_index_base_PKT3_PKiS7_S2_PS3_PiS9_,comdat
	.globl	_ZN9rocsparseL44csr2gebsr_wavefront_per_row_multipass_kernelILi256ELi2ELi64ELi64EdEEv20rocsparse_direction_iiiiii21rocsparse_index_base_PKT3_PKiS7_S2_PS3_PiS9_ ; -- Begin function _ZN9rocsparseL44csr2gebsr_wavefront_per_row_multipass_kernelILi256ELi2ELi64ELi64EdEEv20rocsparse_direction_iiiiii21rocsparse_index_base_PKT3_PKiS7_S2_PS3_PiS9_
	.p2align	8
	.type	_ZN9rocsparseL44csr2gebsr_wavefront_per_row_multipass_kernelILi256ELi2ELi64ELi64EdEEv20rocsparse_direction_iiiiii21rocsparse_index_base_PKT3_PKiS7_S2_PS3_PiS9_,@function
_ZN9rocsparseL44csr2gebsr_wavefront_per_row_multipass_kernelILi256ELi2ELi64ELi64EdEEv20rocsparse_direction_iiiiii21rocsparse_index_base_PKT3_PKiS7_S2_PS3_PiS9_: ; @_ZN9rocsparseL44csr2gebsr_wavefront_per_row_multipass_kernelILi256ELi2ELi64ELi64EdEEv20rocsparse_direction_iiiiii21rocsparse_index_base_PKT3_PKiS7_S2_PS3_PiS9_
; %bb.0:
	s_load_dwordx2 s[14:15], s[0:1], 0x0
	s_load_dwordx4 s[4:7], s[0:1], 0xc
	s_load_dword s28, s[0:1], 0x1c
	s_load_dwordx2 s[8:9], s[0:1], 0x28
	v_lshrrev_b32_e32 v18, 6, v0
	v_bfe_u32 v6, v0, 5, 1
	v_lshl_or_b32 v4, s2, 2, v18
	s_waitcnt lgkmcnt(0)
	v_mad_u64_u32 v[2:3], s[2:3], v4, s6, v[6:7]
	v_cmp_gt_i32_e64 s[2:3], s15, v2
	v_cmp_gt_i32_e32 vcc, s6, v6
	s_and_b64 s[2:3], vcc, s[2:3]
	v_mov_b32_e32 v19, 0
	v_mov_b32_e32 v16, 0
	s_and_saveexec_b64 s[10:11], s[2:3]
	s_cbranch_execz .LBB78_2
; %bb.1:
	v_ashrrev_i32_e32 v3, 31, v2
	v_lshl_add_u64 v[8:9], v[2:3], 2, s[8:9]
	global_load_dword v1, v[8:9], off
	s_waitcnt vmcnt(0)
	v_subrev_u32_e32 v16, s28, v1
.LBB78_2:
	s_or_b64 exec, exec, s[10:11]
	s_and_saveexec_b64 s[10:11], s[2:3]
	s_cbranch_execz .LBB78_4
; %bb.3:
	v_ashrrev_i32_e32 v3, 31, v2
	v_lshl_add_u64 v[2:3], v[2:3], 2, s[8:9]
	global_load_dword v1, v[2:3], off offset:4
	s_waitcnt vmcnt(0)
	v_subrev_u32_e32 v19, s28, v1
.LBB78_4:
	s_or_b64 exec, exec, s[10:11]
	s_load_dword s29, s[0:1], 0x38
	v_cmp_gt_i32_e64 s[2:3], s4, v4
	v_mov_b32_e32 v2, 0
	s_and_saveexec_b64 s[8:9], s[2:3]
	s_cbranch_execz .LBB78_6
; %bb.5:
	s_load_dwordx2 s[2:3], s[0:1], 0x48
	v_ashrrev_i32_e32 v5, 31, v4
	s_waitcnt lgkmcnt(0)
	v_lshl_add_u64 v[2:3], v[4:5], 2, s[2:3]
	global_load_dword v1, v[2:3], off
	s_waitcnt vmcnt(0)
	v_subrev_u32_e32 v2, s29, v1
.LBB78_6:
	s_or_b64 exec, exec, s[8:9]
	s_cmp_lt_i32 s5, 1
	s_cbranch_scc1 .LBB78_32
; %bb.7:
	v_and_b32_e32 v20, 31, v0
	v_lshlrev_b32_e32 v0, 7, v18
	v_lshl_or_b32 v21, v6, 6, v0
	v_mbcnt_lo_u32_b32 v0, -1, 0
	v_mbcnt_hi_u32_b32 v0, -1, v0
	s_cmp_lg_u32 s14, 0
	v_lshlrev_b32_e32 v3, 2, v0
	s_cselect_b64 s[14:15], -1, 0
	s_abs_i32 s33, s7
	v_or_b32_e32 v22, 0x7c, v3
	v_or_b32_e32 v23, 0xfc, v3
	v_cvt_f32_u32_e32 v3, s33
	s_load_dwordx2 s[8:9], s[0:1], 0x20
	s_load_dwordx2 s[10:11], s[0:1], 0x50
	;; [unrolled: 1-line block ×4, first 2 shown]
	s_ashr_i32 s4, s7, 31
	s_mul_hi_u32 s0, s7, s6
	v_rcp_iflag_f32_e32 v3, v3
	s_mul_i32 s1, s4, s6
	s_add_i32 s30, s0, s1
	v_lshlrev_b32_e32 v0, 3, v6
	v_mul_f32_e32 v3, 0x4f7ffffe, v3
	v_cvt_u32_f32_e32 v3, v3
	v_mul_lo_u32 v6, v6, s7
	v_cmp_gt_u32_e64 s[0:1], s7, v20
	v_mov_b32_e32 v1, 0
	v_or_b32_e32 v8, v21, v20
	v_ashrrev_i32_e32 v7, 31, v6
	s_and_b64 s[16:17], s[0:1], vcc
	s_sub_i32 s0, 0, s33
	s_waitcnt lgkmcnt(0)
	v_lshl_add_u64 v[4:5], s[2:3], 0, v[0:1]
	v_lshl_add_u64 v[6:7], v[6:7], 3, s[2:3]
	v_lshlrev_b32_e32 v0, 3, v20
	v_lshlrev_b32_e32 v24, 3, v8
	v_or_b32_e32 v8, 32, v20
	v_mul_lo_u32 v10, s0, v3
	v_lshl_add_u64 v[6:7], v[6:7], 0, v[0:1]
	v_mul_lo_u32 v0, v20, s6
	v_cmp_gt_u32_e64 s[2:3], s7, v8
	v_mul_hi_u32 v10, v3, v10
	s_mul_i32 s31, s7, s6
	v_lshl_add_u32 v8, s6, 5, v0
	v_mov_b32_e32 v9, v1
	s_and_b64 s[2:3], vcc, s[2:3]
	v_add_u32_e32 v25, v3, v10
	v_or_b32_e32 v26, 0xffffffe0, v20
	s_mov_b64 s[18:19], 0
	v_mov_b32_e32 v10, v1
	v_mov_b32_e32 v11, v1
	s_mov_b64 s[20:21], 0x80
	s_mov_b64 s[22:23], 0x100
	v_mov_b32_e32 v27, 1
	v_mov_b32_e32 v3, v1
	s_branch .LBB78_11
.LBB78_8:                               ;   in Loop: Header=BB78_11 Depth=1
	v_mov_b32_e32 v17, s6
.LBB78_9:                               ;   in Loop: Header=BB78_11 Depth=1
	s_or_b64 exec, exec, s[24:25]
.LBB78_10:                              ;   in Loop: Header=BB78_11 Depth=1
	s_or_b64 exec, exec, s[0:1]
	v_mov_b32_dpp v3, v28 row_shr:1 row_mask:0xf bank_mask:0xf
	v_min_i32_e32 v3, v3, v28
	v_add_u32_e32 v2, v17, v2
	s_waitcnt lgkmcnt(0)
	v_mov_b32_dpp v12, v3 row_shr:2 row_mask:0xf bank_mask:0xf
	v_min_i32_e32 v3, v12, v3
	s_nop 1
	v_mov_b32_dpp v12, v3 row_shr:4 row_mask:0xf bank_mask:0xe
	v_min_i32_e32 v3, v12, v3
	s_nop 1
	;; [unrolled: 3-line block ×3, first 2 shown]
	v_mov_b32_dpp v12, v3 row_bcast:15 row_mask:0xa bank_mask:0xf
	v_min_i32_e32 v3, v12, v3
	s_nop 1
	v_mov_b32_dpp v12, v3 row_bcast:31 row_mask:0xc bank_mask:0xf
	v_min_i32_e32 v3, v12, v3
	ds_bpermute_b32 v3, v23, v3
	s_waitcnt lgkmcnt(0)
	v_cmp_le_i32_e32 vcc, s5, v3
	s_or_b64 s[18:19], vcc, s[18:19]
	s_andn2_b64 exec, exec, s[18:19]
	s_cbranch_execz .LBB78_32
.LBB78_11:                              ; =>This Loop Header: Depth=1
                                        ;     Child Loop BB78_12 Depth 2
                                        ;     Child Loop BB78_16 Depth 2
	s_mov_b64 s[0:1], 0
	v_mov_b32_e32 v12, v24
	v_mov_b32_e32 v13, v26
	ds_write_b8 v18, v1 offset:4096
.LBB78_12:                              ;   Parent Loop BB78_11 Depth=1
                                        ; =>  This Inner Loop Header: Depth=2
	v_add_co_u32_e32 v13, vcc, 32, v13
	s_xor_b64 s[24:25], vcc, -1
	s_and_b64 s[24:25], exec, s[24:25]
	ds_write_b64 v12, v[10:11]
	s_or_b64 s[0:1], s[24:25], s[0:1]
	v_add_u32_e32 v12, 0x100, v12
	s_andn2_b64 exec, exec, s[0:1]
	s_cbranch_execnz .LBB78_12
; %bb.13:                               ;   in Loop: Header=BB78_11 Depth=1
	s_or_b64 exec, exec, s[0:1]
	v_add_u32_e32 v12, v16, v20
	v_cmp_lt_i32_e32 vcc, v12, v19
	v_mov_b32_e32 v28, s5
	v_mov_b32_e32 v13, v19
	s_waitcnt lgkmcnt(0)
	s_and_saveexec_b64 s[24:25], vcc
	s_cbranch_execz .LBB78_21
; %bb.14:                               ;   in Loop: Header=BB78_11 Depth=1
	v_ashrrev_i32_e32 v13, 31, v12
	v_mul_lo_u32 v29, v3, s7
	v_lshl_add_u64 v[14:15], v[12:13], 2, s[12:13]
	v_lshl_add_u64 v[16:17], v[12:13], 3, s[8:9]
	s_mov_b64 s[26:27], 0
	v_mov_b32_e32 v28, s5
	v_mov_b32_e32 v13, v19
	s_branch .LBB78_16
.LBB78_15:                              ;   in Loop: Header=BB78_16 Depth=2
	s_or_b64 exec, exec, s[0:1]
	v_add_u32_e32 v12, 32, v12
	v_cmp_ge_i32_e64 s[0:1], v12, v19
	s_xor_b64 s[34:35], vcc, -1
	s_or_b64 s[0:1], s[34:35], s[0:1]
	s_and_b64 s[0:1], exec, s[0:1]
	v_lshl_add_u64 v[14:15], v[14:15], 0, s[20:21]
	s_or_b64 s[26:27], s[0:1], s[26:27]
	v_lshl_add_u64 v[16:17], v[16:17], 0, s[22:23]
	s_andn2_b64 exec, exec, s[26:27]
	s_cbranch_execz .LBB78_20
.LBB78_16:                              ;   Parent Loop BB78_11 Depth=1
                                        ; =>  This Inner Loop Header: Depth=2
	global_load_dword v30, v[14:15], off
	s_waitcnt vmcnt(0)
	v_subrev_u32_e32 v30, s28, v30
	v_sub_u32_e32 v32, 0, v30
	v_max_i32_e32 v32, v30, v32
	v_mul_hi_u32 v33, v32, v25
	v_mul_lo_u32 v34, v33, s33
	v_sub_u32_e32 v32, v32, v34
	v_add_u32_e32 v35, 1, v33
	v_cmp_le_u32_e32 vcc, s33, v32
	v_subrev_u32_e32 v34, s33, v32
	v_ashrrev_i32_e32 v31, 31, v30
	v_cndmask_b32_e32 v33, v33, v35, vcc
	v_cndmask_b32_e32 v32, v32, v34, vcc
	v_add_u32_e32 v34, 1, v33
	v_cmp_le_u32_e32 vcc, s33, v32
	v_xor_b32_e32 v31, s4, v31
	s_nop 0
	v_cndmask_b32_e32 v32, v33, v34, vcc
	v_xor_b32_e32 v32, v32, v31
	v_sub_u32_e32 v32, v32, v31
	v_cmp_eq_u32_e32 vcc, v32, v3
	v_cmp_ne_u32_e64 s[0:1], v32, v3
	v_mov_b32_e32 v31, v13
	s_and_saveexec_b64 s[34:35], s[0:1]
	s_xor_b64 s[0:1], exec, s[34:35]
; %bb.17:                               ;   in Loop: Header=BB78_16 Depth=2
	v_min_i32_e32 v28, v32, v28
                                        ; implicit-def: $vgpr30
                                        ; implicit-def: $vgpr31
; %bb.18:                               ;   in Loop: Header=BB78_16 Depth=2
	s_or_saveexec_b64 s[0:1], s[0:1]
	v_mov_b32_e32 v13, v12
	s_xor_b64 exec, exec, s[0:1]
	s_cbranch_execz .LBB78_15
; %bb.19:                               ;   in Loop: Header=BB78_16 Depth=2
	global_load_dwordx2 v[32:33], v[16:17], off
	v_sub_u32_e32 v13, v30, v29
	v_add_lshl_u32 v13, v21, v13, 3
	ds_write_b8 v18, v27 offset:4096
	s_waitcnt vmcnt(0)
	ds_write_b64 v13, v[32:33]
	v_mov_b32_e32 v13, v31
	s_branch .LBB78_15
.LBB78_20:                              ;   in Loop: Header=BB78_11 Depth=1
	s_or_b64 exec, exec, s[26:27]
.LBB78_21:                              ;   in Loop: Header=BB78_11 Depth=1
	s_or_b64 exec, exec, s[24:25]
	v_mov_b32_dpp v12, v13 row_shr:1 row_mask:0xf bank_mask:0xf
	v_min_i32_e32 v12, v12, v13
	s_waitcnt lgkmcnt(0)
	v_mov_b32_e32 v17, 0
	v_mov_b32_dpp v13, v12 row_shr:2 row_mask:0xf bank_mask:0xf
	v_min_i32_e32 v12, v13, v12
	s_nop 1
	v_mov_b32_dpp v13, v12 row_shr:4 row_mask:0xf bank_mask:0xe
	v_min_i32_e32 v12, v13, v12
	s_nop 1
	v_mov_b32_dpp v13, v12 row_shr:8 row_mask:0xf bank_mask:0xc
	v_min_i32_e32 v12, v13, v12
	ds_read_u8 v13, v18 offset:4096
	s_nop 0
	v_mov_b32_dpp v14, v12 row_bcast:15 row_mask:0xa bank_mask:0xf
	v_min_i32_e32 v12, v14, v12
	ds_bpermute_b32 v16, v22, v12
	s_waitcnt lgkmcnt(1)
	v_and_b32_e32 v12, 1, v13
	v_cmp_eq_u32_e32 vcc, 1, v12
	s_and_saveexec_b64 s[0:1], vcc
	s_cbranch_execz .LBB78_10
; %bb.22:                               ;   in Loop: Header=BB78_11 Depth=1
	v_add_u32_e32 v14, s29, v3
	v_ashrrev_i32_e32 v3, 31, v2
	v_lshl_add_u64 v[12:13], v[2:3], 2, s[10:11]
	global_store_dword v[12:13], v14, off
	v_mul_lo_u32 v14, s30, v2
	v_mul_lo_u32 v3, s31, v3
	v_mad_u64_u32 v[12:13], s[24:25], s31, v2, 0
	v_add3_u32 v13, v13, v3, v14
	v_lshlrev_b64 v[12:13], 3, v[12:13]
	v_lshl_add_u64 v[14:15], v[4:5], 0, v[12:13]
	v_lshl_add_u64 v[12:13], v[6:7], 0, v[12:13]
	s_and_saveexec_b64 s[24:25], s[16:17]
	s_cbranch_execz .LBB78_26
; %bb.23:                               ;   in Loop: Header=BB78_11 Depth=1
	s_and_b64 vcc, exec, s[14:15]
	s_cbranch_vccz .LBB78_29
; %bb.24:                               ;   in Loop: Header=BB78_11 Depth=1
	ds_read_b64 v[30:31], v24
	v_lshl_add_u64 v[32:33], v[0:1], 3, v[14:15]
	s_waitcnt lgkmcnt(0)
	global_store_dwordx2 v[32:33], v[30:31], off
	s_cbranch_execnz .LBB78_26
.LBB78_25:                              ;   in Loop: Header=BB78_11 Depth=1
	ds_read_b64 v[30:31], v24
	s_waitcnt lgkmcnt(0)
	global_store_dwordx2 v[12:13], v[30:31], off
.LBB78_26:                              ;   in Loop: Header=BB78_11 Depth=1
	s_or_b64 exec, exec, s[24:25]
	v_mov_b32_e32 v17, 1
	s_and_saveexec_b64 s[24:25], s[2:3]
	s_cbranch_execz .LBB78_9
; %bb.27:                               ;   in Loop: Header=BB78_11 Depth=1
	s_andn2_b64 vcc, exec, s[14:15]
	s_cbranch_vccnz .LBB78_30
; %bb.28:                               ;   in Loop: Header=BB78_11 Depth=1
	ds_read_b64 v[30:31], v24 offset:256
	v_lshl_add_u64 v[14:15], v[8:9], 3, v[14:15]
	s_mov_b32 s6, 1
	s_waitcnt lgkmcnt(0)
	global_store_dwordx2 v[14:15], v[30:31], off
	s_cbranch_execnz .LBB78_8
	s_branch .LBB78_31
.LBB78_29:                              ;   in Loop: Header=BB78_11 Depth=1
	s_branch .LBB78_25
.LBB78_30:                              ;   in Loop: Header=BB78_11 Depth=1
                                        ; implicit-def: $sgpr6
.LBB78_31:                              ;   in Loop: Header=BB78_11 Depth=1
	ds_read_b64 v[14:15], v24 offset:256
	s_mov_b32 s6, 1
	s_waitcnt lgkmcnt(0)
	global_store_dwordx2 v[12:13], v[14:15], off offset:256
	s_branch .LBB78_8
.LBB78_32:
	s_endpgm
	.section	.rodata,"a",@progbits
	.p2align	6, 0x0
	.amdhsa_kernel _ZN9rocsparseL44csr2gebsr_wavefront_per_row_multipass_kernelILi256ELi2ELi64ELi64EdEEv20rocsparse_direction_iiiiii21rocsparse_index_base_PKT3_PKiS7_S2_PS3_PiS9_
		.amdhsa_group_segment_fixed_size 4104
		.amdhsa_private_segment_fixed_size 0
		.amdhsa_kernarg_size 88
		.amdhsa_user_sgpr_count 2
		.amdhsa_user_sgpr_dispatch_ptr 0
		.amdhsa_user_sgpr_queue_ptr 0
		.amdhsa_user_sgpr_kernarg_segment_ptr 1
		.amdhsa_user_sgpr_dispatch_id 0
		.amdhsa_user_sgpr_kernarg_preload_length 0
		.amdhsa_user_sgpr_kernarg_preload_offset 0
		.amdhsa_user_sgpr_private_segment_size 0
		.amdhsa_uses_dynamic_stack 0
		.amdhsa_enable_private_segment 0
		.amdhsa_system_sgpr_workgroup_id_x 1
		.amdhsa_system_sgpr_workgroup_id_y 0
		.amdhsa_system_sgpr_workgroup_id_z 0
		.amdhsa_system_sgpr_workgroup_info 0
		.amdhsa_system_vgpr_workitem_id 0
		.amdhsa_next_free_vgpr 36
		.amdhsa_next_free_sgpr 36
		.amdhsa_accum_offset 36
		.amdhsa_reserve_vcc 1
		.amdhsa_float_round_mode_32 0
		.amdhsa_float_round_mode_16_64 0
		.amdhsa_float_denorm_mode_32 3
		.amdhsa_float_denorm_mode_16_64 3
		.amdhsa_dx10_clamp 1
		.amdhsa_ieee_mode 1
		.amdhsa_fp16_overflow 0
		.amdhsa_tg_split 0
		.amdhsa_exception_fp_ieee_invalid_op 0
		.amdhsa_exception_fp_denorm_src 0
		.amdhsa_exception_fp_ieee_div_zero 0
		.amdhsa_exception_fp_ieee_overflow 0
		.amdhsa_exception_fp_ieee_underflow 0
		.amdhsa_exception_fp_ieee_inexact 0
		.amdhsa_exception_int_div_zero 0
	.end_amdhsa_kernel
	.section	.text._ZN9rocsparseL44csr2gebsr_wavefront_per_row_multipass_kernelILi256ELi2ELi64ELi64EdEEv20rocsparse_direction_iiiiii21rocsparse_index_base_PKT3_PKiS7_S2_PS3_PiS9_,"axG",@progbits,_ZN9rocsparseL44csr2gebsr_wavefront_per_row_multipass_kernelILi256ELi2ELi64ELi64EdEEv20rocsparse_direction_iiiiii21rocsparse_index_base_PKT3_PKiS7_S2_PS3_PiS9_,comdat
.Lfunc_end78:
	.size	_ZN9rocsparseL44csr2gebsr_wavefront_per_row_multipass_kernelILi256ELi2ELi64ELi64EdEEv20rocsparse_direction_iiiiii21rocsparse_index_base_PKT3_PKiS7_S2_PS3_PiS9_, .Lfunc_end78-_ZN9rocsparseL44csr2gebsr_wavefront_per_row_multipass_kernelILi256ELi2ELi64ELi64EdEEv20rocsparse_direction_iiiiii21rocsparse_index_base_PKT3_PKiS7_S2_PS3_PiS9_
                                        ; -- End function
	.section	.AMDGPU.csdata,"",@progbits
; Kernel info:
; codeLenInByte = 1452
; NumSgprs: 42
; NumVgprs: 36
; NumAgprs: 0
; TotalNumVgprs: 36
; ScratchSize: 0
; MemoryBound: 0
; FloatMode: 240
; IeeeMode: 1
; LDSByteSize: 4104 bytes/workgroup (compile time only)
; SGPRBlocks: 5
; VGPRBlocks: 4
; NumSGPRsForWavesPerEU: 42
; NumVGPRsForWavesPerEU: 36
; AccumOffset: 36
; Occupancy: 8
; WaveLimiterHint : 0
; COMPUTE_PGM_RSRC2:SCRATCH_EN: 0
; COMPUTE_PGM_RSRC2:USER_SGPR: 2
; COMPUTE_PGM_RSRC2:TRAP_HANDLER: 0
; COMPUTE_PGM_RSRC2:TGID_X_EN: 1
; COMPUTE_PGM_RSRC2:TGID_Y_EN: 0
; COMPUTE_PGM_RSRC2:TGID_Z_EN: 0
; COMPUTE_PGM_RSRC2:TIDIG_COMP_CNT: 0
; COMPUTE_PGM_RSRC3_GFX90A:ACCUM_OFFSET: 8
; COMPUTE_PGM_RSRC3_GFX90A:TG_SPLIT: 0
	.section	.text._ZN9rocsparseL44csr2gebsr_wavefront_per_row_multipass_kernelILi256ELi2ELi64ELi32EdEEv20rocsparse_direction_iiiiii21rocsparse_index_base_PKT3_PKiS7_S2_PS3_PiS9_,"axG",@progbits,_ZN9rocsparseL44csr2gebsr_wavefront_per_row_multipass_kernelILi256ELi2ELi64ELi32EdEEv20rocsparse_direction_iiiiii21rocsparse_index_base_PKT3_PKiS7_S2_PS3_PiS9_,comdat
	.globl	_ZN9rocsparseL44csr2gebsr_wavefront_per_row_multipass_kernelILi256ELi2ELi64ELi32EdEEv20rocsparse_direction_iiiiii21rocsparse_index_base_PKT3_PKiS7_S2_PS3_PiS9_ ; -- Begin function _ZN9rocsparseL44csr2gebsr_wavefront_per_row_multipass_kernelILi256ELi2ELi64ELi32EdEEv20rocsparse_direction_iiiiii21rocsparse_index_base_PKT3_PKiS7_S2_PS3_PiS9_
	.p2align	8
	.type	_ZN9rocsparseL44csr2gebsr_wavefront_per_row_multipass_kernelILi256ELi2ELi64ELi32EdEEv20rocsparse_direction_iiiiii21rocsparse_index_base_PKT3_PKiS7_S2_PS3_PiS9_,@function
_ZN9rocsparseL44csr2gebsr_wavefront_per_row_multipass_kernelILi256ELi2ELi64ELi32EdEEv20rocsparse_direction_iiiiii21rocsparse_index_base_PKT3_PKiS7_S2_PS3_PiS9_: ; @_ZN9rocsparseL44csr2gebsr_wavefront_per_row_multipass_kernelILi256ELi2ELi64ELi32EdEEv20rocsparse_direction_iiiiii21rocsparse_index_base_PKT3_PKiS7_S2_PS3_PiS9_
; %bb.0:
	s_load_dwordx2 s[4:5], s[0:1], 0x0
	s_load_dwordx4 s[8:11], s[0:1], 0xc
	s_load_dword s33, s[0:1], 0x1c
	s_load_dwordx2 s[6:7], s[0:1], 0x28
	v_lshrrev_b32_e32 v22, 5, v0
	v_bfe_u32 v6, v0, 4, 1
	v_lshl_or_b32 v4, s2, 3, v22
	s_waitcnt lgkmcnt(0)
	v_mad_u64_u32 v[2:3], s[2:3], v4, s10, v[6:7]
	v_cmp_gt_i32_e64 s[2:3], s5, v2
	v_cmp_gt_i32_e32 vcc, s10, v6
	s_and_b64 s[2:3], vcc, s[2:3]
	v_mov_b32_e32 v23, 0
	v_mov_b32_e32 v20, 0
	s_and_saveexec_b64 s[12:13], s[2:3]
	s_cbranch_execz .LBB79_2
; %bb.1:
	v_ashrrev_i32_e32 v3, 31, v2
	v_lshl_add_u64 v[8:9], v[2:3], 2, s[6:7]
	global_load_dword v1, v[8:9], off
	s_waitcnt vmcnt(0)
	v_subrev_u32_e32 v20, s33, v1
.LBB79_2:
	s_or_b64 exec, exec, s[12:13]
	s_and_saveexec_b64 s[12:13], s[2:3]
	s_cbranch_execz .LBB79_4
; %bb.3:
	v_ashrrev_i32_e32 v3, 31, v2
	v_lshl_add_u64 v[2:3], v[2:3], 2, s[6:7]
	global_load_dword v1, v[2:3], off offset:4
	s_waitcnt vmcnt(0)
	v_subrev_u32_e32 v23, s33, v1
.LBB79_4:
	s_or_b64 exec, exec, s[12:13]
	s_load_dword s34, s[0:1], 0x38
	v_cmp_gt_i32_e64 s[2:3], s8, v4
	v_mov_b32_e32 v2, 0
	s_and_saveexec_b64 s[6:7], s[2:3]
	s_cbranch_execz .LBB79_6
; %bb.5:
	s_load_dwordx2 s[2:3], s[0:1], 0x48
	v_ashrrev_i32_e32 v5, 31, v4
	s_waitcnt lgkmcnt(0)
	v_lshl_add_u64 v[2:3], v[4:5], 2, s[2:3]
	global_load_dword v1, v[2:3], off
	s_waitcnt vmcnt(0)
	v_subrev_u32_e32 v2, s34, v1
.LBB79_6:
	s_or_b64 exec, exec, s[6:7]
	s_cmp_lt_i32 s9, 1
	s_cbranch_scc1 .LBB79_42
; %bb.7:
	v_and_b32_e32 v24, 15, v0
	v_lshlrev_b32_e32 v0, 7, v22
	s_load_dwordx2 s[12:13], s[0:1], 0x20
	s_load_dwordx2 s[14:15], s[0:1], 0x50
	;; [unrolled: 1-line block ×4, first 2 shown]
	v_lshl_or_b32 v25, v6, 6, v0
	v_mbcnt_lo_u32_b32 v0, -1, 0
	v_mbcnt_hi_u32_b32 v0, -1, v0
	v_lshlrev_b32_e32 v3, 2, v0
	v_lshlrev_b32_e32 v0, 3, v6
	v_mul_lo_u32 v6, v6, s11
	v_mov_b32_e32 v1, 0
	s_cmp_lg_u32 s4, 0
	v_ashrrev_i32_e32 v7, 31, v6
	v_or_b32_e32 v26, 60, v3
	s_cselect_b64 s[18:19], -1, 0
	s_ashr_i32 s8, s11, 31
	s_waitcnt lgkmcnt(0)
	v_lshl_add_u64 v[4:5], s[2:3], 0, v[0:1]
	v_lshl_add_u64 v[6:7], v[6:7], 3, s[2:3]
	v_lshlrev_b32_e32 v0, 3, v24
	v_or_b32_e32 v27, 0x7c, v3
	v_or_b32_e32 v3, 16, v24
	s_mul_hi_u32 s0, s11, s10
	s_mul_i32 s1, s8, s10
	s_mul_i32 s36, s11, s10
	v_lshl_add_u64 v[6:7], v[6:7], 0, v[0:1]
	v_mul_lo_u32 v0, v24, s10
	v_cmp_gt_u32_e64 s[2:3], s11, v3
	s_lshl_b32 s20, s10, 4
	v_or_b32_e32 v3, 32, v24
	s_abs_i32 s10, s11
	v_cmp_gt_u32_e64 s[4:5], s11, v3
	v_cvt_f32_u32_e32 v3, s10
	v_or_b32_e32 v8, v25, v24
	v_lshlrev_b32_e32 v28, 3, v8
	v_add_u32_e32 v8, s20, v0
	v_rcp_iflag_f32_e32 v3, v3
	s_add_i32 s35, s0, s1
	v_cmp_gt_u32_e64 s[0:1], s11, v24
	v_add_u32_e32 v10, s20, v8
	v_mul_f32_e32 v3, 0x4f7ffffe, v3
	v_cvt_u32_f32_e32 v3, v3
	v_or_b32_e32 v12, 48, v24
	v_cmp_gt_u32_e64 s[6:7], s11, v12
	v_add_u32_e32 v12, s20, v10
	s_and_b64 s[20:21], s[0:1], vcc
	s_sub_i32 s0, 0, s10
	v_mul_lo_u32 v14, s0, v3
	v_mul_hi_u32 v14, v3, v14
	v_mov_b32_e32 v9, v1
	v_mov_b32_e32 v11, v1
	;; [unrolled: 1-line block ×3, first 2 shown]
	s_and_b64 s[2:3], vcc, s[2:3]
	s_and_b64 s[4:5], vcc, s[4:5]
	;; [unrolled: 1-line block ×3, first 2 shown]
	v_add_u32_e32 v29, v3, v14
	v_or_b32_e32 v30, -16, v24
	s_mov_b64 s[22:23], 0
	v_mov_b32_e32 v14, v1
	v_mov_b32_e32 v15, v1
	s_mov_b64 s[24:25], 0x80
	v_mov_b32_e32 v31, 1
	v_mov_b32_e32 v3, v1
	s_branch .LBB79_11
.LBB79_8:                               ;   in Loop: Header=BB79_11 Depth=1
	v_mov_b32_e32 v21, s30
.LBB79_9:                               ;   in Loop: Header=BB79_11 Depth=1
	s_or_b64 exec, exec, s[28:29]
.LBB79_10:                              ;   in Loop: Header=BB79_11 Depth=1
	s_or_b64 exec, exec, s[26:27]
	v_mov_b32_dpp v3, v32 row_shr:1 row_mask:0xf bank_mask:0xf
	v_min_i32_e32 v3, v3, v32
	v_add_u32_e32 v2, v21, v2
	s_waitcnt lgkmcnt(0)
	v_mov_b32_dpp v16, v3 row_shr:2 row_mask:0xf bank_mask:0xf
	v_min_i32_e32 v3, v16, v3
	s_nop 1
	v_mov_b32_dpp v16, v3 row_shr:4 row_mask:0xf bank_mask:0xe
	v_min_i32_e32 v3, v16, v3
	s_nop 1
	;; [unrolled: 3-line block ×3, first 2 shown]
	v_mov_b32_dpp v16, v3 row_bcast:15 row_mask:0xa bank_mask:0xf
	v_min_i32_e32 v3, v16, v3
	ds_bpermute_b32 v3, v27, v3
	s_waitcnt lgkmcnt(0)
	v_cmp_le_i32_e32 vcc, s9, v3
	s_or_b64 s[22:23], vcc, s[22:23]
	s_andn2_b64 exec, exec, s[22:23]
	s_cbranch_execz .LBB79_42
.LBB79_11:                              ; =>This Loop Header: Depth=1
                                        ;     Child Loop BB79_12 Depth 2
                                        ;     Child Loop BB79_16 Depth 2
	s_mov_b64 s[0:1], 0
	v_mov_b32_e32 v16, v28
	v_mov_b32_e32 v17, v30
	ds_write_b8 v22, v1 offset:8192
.LBB79_12:                              ;   Parent Loop BB79_11 Depth=1
                                        ; =>  This Inner Loop Header: Depth=2
	v_add_u32_e32 v17, 16, v17
	v_cmp_lt_u32_e32 vcc, 47, v17
	ds_write_b64 v16, v[14:15]
	s_or_b64 s[0:1], vcc, s[0:1]
	v_add_u32_e32 v16, 0x80, v16
	s_andn2_b64 exec, exec, s[0:1]
	s_cbranch_execnz .LBB79_12
; %bb.13:                               ;   in Loop: Header=BB79_11 Depth=1
	s_or_b64 exec, exec, s[0:1]
	v_add_u32_e32 v16, v20, v24
	v_cmp_lt_i32_e32 vcc, v16, v23
	v_mov_b32_e32 v32, s9
	v_mov_b32_e32 v17, v23
	s_waitcnt lgkmcnt(0)
	s_and_saveexec_b64 s[26:27], vcc
	s_cbranch_execz .LBB79_21
; %bb.14:                               ;   in Loop: Header=BB79_11 Depth=1
	v_ashrrev_i32_e32 v17, 31, v16
	v_mul_lo_u32 v33, v3, s11
	v_lshl_add_u64 v[18:19], v[16:17], 2, s[16:17]
	v_lshl_add_u64 v[20:21], v[16:17], 3, s[12:13]
	s_mov_b64 s[28:29], 0
	v_mov_b32_e32 v32, s9
	v_mov_b32_e32 v17, v23
	s_branch .LBB79_16
.LBB79_15:                              ;   in Loop: Header=BB79_16 Depth=2
	s_or_b64 exec, exec, s[0:1]
	v_add_u32_e32 v16, 16, v16
	v_cmp_ge_i32_e64 s[0:1], v16, v23
	s_xor_b64 s[30:31], vcc, -1
	s_or_b64 s[0:1], s[30:31], s[0:1]
	s_and_b64 s[0:1], exec, s[0:1]
	v_lshl_add_u64 v[18:19], v[18:19], 0, 64
	s_or_b64 s[28:29], s[0:1], s[28:29]
	v_lshl_add_u64 v[20:21], v[20:21], 0, s[24:25]
	s_andn2_b64 exec, exec, s[28:29]
	s_cbranch_execz .LBB79_20
.LBB79_16:                              ;   Parent Loop BB79_11 Depth=1
                                        ; =>  This Inner Loop Header: Depth=2
	global_load_dword v34, v[18:19], off
	s_waitcnt vmcnt(0)
	v_subrev_u32_e32 v34, s33, v34
	v_sub_u32_e32 v36, 0, v34
	v_max_i32_e32 v36, v34, v36
	v_mul_hi_u32 v37, v36, v29
	v_mul_lo_u32 v38, v37, s10
	v_sub_u32_e32 v36, v36, v38
	v_add_u32_e32 v39, 1, v37
	v_cmp_le_u32_e32 vcc, s10, v36
	v_subrev_u32_e32 v38, s10, v36
	v_ashrrev_i32_e32 v35, 31, v34
	v_cndmask_b32_e32 v37, v37, v39, vcc
	v_cndmask_b32_e32 v36, v36, v38, vcc
	v_add_u32_e32 v38, 1, v37
	v_cmp_le_u32_e32 vcc, s10, v36
	v_xor_b32_e32 v35, s8, v35
	s_nop 0
	v_cndmask_b32_e32 v36, v37, v38, vcc
	v_xor_b32_e32 v36, v36, v35
	v_sub_u32_e32 v36, v36, v35
	v_cmp_eq_u32_e32 vcc, v36, v3
	v_cmp_ne_u32_e64 s[0:1], v36, v3
	v_mov_b32_e32 v35, v17
	s_and_saveexec_b64 s[30:31], s[0:1]
	s_xor_b64 s[0:1], exec, s[30:31]
; %bb.17:                               ;   in Loop: Header=BB79_16 Depth=2
	v_min_i32_e32 v32, v36, v32
                                        ; implicit-def: $vgpr34
                                        ; implicit-def: $vgpr35
; %bb.18:                               ;   in Loop: Header=BB79_16 Depth=2
	s_or_saveexec_b64 s[0:1], s[0:1]
	v_mov_b32_e32 v17, v16
	s_xor_b64 exec, exec, s[0:1]
	s_cbranch_execz .LBB79_15
; %bb.19:                               ;   in Loop: Header=BB79_16 Depth=2
	global_load_dwordx2 v[36:37], v[20:21], off
	v_sub_u32_e32 v17, v34, v33
	v_add_lshl_u32 v17, v25, v17, 3
	ds_write_b8 v22, v31 offset:8192
	s_waitcnt vmcnt(0)
	ds_write_b64 v17, v[36:37]
	v_mov_b32_e32 v17, v35
	s_branch .LBB79_15
.LBB79_20:                              ;   in Loop: Header=BB79_11 Depth=1
	s_or_b64 exec, exec, s[28:29]
.LBB79_21:                              ;   in Loop: Header=BB79_11 Depth=1
	s_or_b64 exec, exec, s[26:27]
	v_mov_b32_dpp v16, v17 row_shr:1 row_mask:0xf bank_mask:0xf
	v_min_i32_e32 v16, v16, v17
	s_waitcnt lgkmcnt(0)
	v_mov_b32_e32 v21, 0
	v_mov_b32_dpp v17, v16 row_shr:2 row_mask:0xf bank_mask:0xf
	v_min_i32_e32 v16, v17, v16
	s_nop 1
	v_mov_b32_dpp v17, v16 row_shr:4 row_mask:0xf bank_mask:0xe
	v_min_i32_e32 v16, v17, v16
	ds_read_u8 v17, v22 offset:8192
	s_nop 0
	v_mov_b32_dpp v18, v16 row_shr:8 row_mask:0xf bank_mask:0xc
	v_min_i32_e32 v16, v18, v16
	ds_bpermute_b32 v20, v26, v16
	s_waitcnt lgkmcnt(1)
	v_and_b32_e32 v16, 1, v17
	v_cmp_eq_u32_e32 vcc, 1, v16
	s_and_saveexec_b64 s[26:27], vcc
	s_cbranch_execz .LBB79_10
; %bb.22:                               ;   in Loop: Header=BB79_11 Depth=1
	v_add_u32_e32 v18, s34, v3
	v_ashrrev_i32_e32 v3, 31, v2
	v_lshl_add_u64 v[16:17], v[2:3], 2, s[14:15]
	global_store_dword v[16:17], v18, off
	v_mul_lo_u32 v18, s35, v2
	v_mul_lo_u32 v3, s36, v3
	v_mad_u64_u32 v[16:17], s[0:1], s36, v2, 0
	v_add3_u32 v17, v17, v3, v18
	v_lshlrev_b64 v[16:17], 3, v[16:17]
	v_lshl_add_u64 v[18:19], v[4:5], 0, v[16:17]
	v_lshl_add_u64 v[16:17], v[6:7], 0, v[16:17]
	s_and_saveexec_b64 s[0:1], s[20:21]
	s_cbranch_execz .LBB79_26
; %bb.23:                               ;   in Loop: Header=BB79_11 Depth=1
	s_and_b64 vcc, exec, s[18:19]
	s_cbranch_vccz .LBB79_37
; %bb.24:                               ;   in Loop: Header=BB79_11 Depth=1
	ds_read_b64 v[34:35], v28
	v_lshl_add_u64 v[36:37], v[0:1], 3, v[18:19]
	s_waitcnt lgkmcnt(0)
	global_store_dwordx2 v[36:37], v[34:35], off
	s_cbranch_execnz .LBB79_26
.LBB79_25:                              ;   in Loop: Header=BB79_11 Depth=1
	ds_read_b64 v[34:35], v28
	s_waitcnt lgkmcnt(0)
	global_store_dwordx2 v[16:17], v[34:35], off
.LBB79_26:                              ;   in Loop: Header=BB79_11 Depth=1
	s_or_b64 exec, exec, s[0:1]
	v_cndmask_b32_e64 v3, 0, 1, s[18:19]
	v_cmp_ne_u32_e64 s[0:1], 1, v3
	s_and_saveexec_b64 s[28:29], s[2:3]
	s_cbranch_execz .LBB79_30
; %bb.27:                               ;   in Loop: Header=BB79_11 Depth=1
	s_and_b64 vcc, exec, s[0:1]
	s_cbranch_vccnz .LBB79_38
; %bb.28:                               ;   in Loop: Header=BB79_11 Depth=1
	ds_read_b64 v[34:35], v28 offset:128
	v_lshl_add_u64 v[36:37], v[8:9], 3, v[18:19]
	s_waitcnt lgkmcnt(0)
	global_store_dwordx2 v[36:37], v[34:35], off
	s_cbranch_execnz .LBB79_30
.LBB79_29:                              ;   in Loop: Header=BB79_11 Depth=1
	ds_read_b64 v[34:35], v28 offset:128
	s_waitcnt lgkmcnt(0)
	global_store_dwordx2 v[16:17], v[34:35], off offset:128
.LBB79_30:                              ;   in Loop: Header=BB79_11 Depth=1
	s_or_b64 exec, exec, s[28:29]
	s_and_saveexec_b64 s[28:29], s[4:5]
	s_cbranch_execz .LBB79_34
; %bb.31:                               ;   in Loop: Header=BB79_11 Depth=1
	s_and_b64 vcc, exec, s[0:1]
	s_cbranch_vccnz .LBB79_39
; %bb.32:                               ;   in Loop: Header=BB79_11 Depth=1
	ds_read_b64 v[34:35], v28 offset:256
	v_lshl_add_u64 v[36:37], v[10:11], 3, v[18:19]
	s_waitcnt lgkmcnt(0)
	global_store_dwordx2 v[36:37], v[34:35], off
	s_cbranch_execnz .LBB79_34
.LBB79_33:                              ;   in Loop: Header=BB79_11 Depth=1
	ds_read_b64 v[34:35], v28 offset:256
	s_waitcnt lgkmcnt(0)
	global_store_dwordx2 v[16:17], v[34:35], off offset:256
.LBB79_34:                              ;   in Loop: Header=BB79_11 Depth=1
	s_or_b64 exec, exec, s[28:29]
	v_mov_b32_e32 v21, 1
	s_and_saveexec_b64 s[28:29], s[6:7]
	s_cbranch_execz .LBB79_9
; %bb.35:                               ;   in Loop: Header=BB79_11 Depth=1
	s_and_b64 vcc, exec, s[0:1]
	s_cbranch_vccnz .LBB79_40
; %bb.36:                               ;   in Loop: Header=BB79_11 Depth=1
	ds_read_b64 v[34:35], v28 offset:384
	v_lshl_add_u64 v[18:19], v[12:13], 3, v[18:19]
	s_mov_b32 s30, 1
	s_waitcnt lgkmcnt(0)
	global_store_dwordx2 v[18:19], v[34:35], off
	s_cbranch_execnz .LBB79_8
	s_branch .LBB79_41
.LBB79_37:                              ;   in Loop: Header=BB79_11 Depth=1
	s_branch .LBB79_25
.LBB79_38:                              ;   in Loop: Header=BB79_11 Depth=1
	s_branch .LBB79_29
.LBB79_39:                              ;   in Loop: Header=BB79_11 Depth=1
	s_branch .LBB79_33
.LBB79_40:                              ;   in Loop: Header=BB79_11 Depth=1
                                        ; implicit-def: $sgpr30
.LBB79_41:                              ;   in Loop: Header=BB79_11 Depth=1
	ds_read_b64 v[18:19], v28 offset:384
	s_mov_b32 s30, 1
	s_waitcnt lgkmcnt(0)
	global_store_dwordx2 v[16:17], v[18:19], off offset:384
	s_branch .LBB79_8
.LBB79_42:
	s_endpgm
	.section	.rodata,"a",@progbits
	.p2align	6, 0x0
	.amdhsa_kernel _ZN9rocsparseL44csr2gebsr_wavefront_per_row_multipass_kernelILi256ELi2ELi64ELi32EdEEv20rocsparse_direction_iiiiii21rocsparse_index_base_PKT3_PKiS7_S2_PS3_PiS9_
		.amdhsa_group_segment_fixed_size 8200
		.amdhsa_private_segment_fixed_size 0
		.amdhsa_kernarg_size 88
		.amdhsa_user_sgpr_count 2
		.amdhsa_user_sgpr_dispatch_ptr 0
		.amdhsa_user_sgpr_queue_ptr 0
		.amdhsa_user_sgpr_kernarg_segment_ptr 1
		.amdhsa_user_sgpr_dispatch_id 0
		.amdhsa_user_sgpr_kernarg_preload_length 0
		.amdhsa_user_sgpr_kernarg_preload_offset 0
		.amdhsa_user_sgpr_private_segment_size 0
		.amdhsa_uses_dynamic_stack 0
		.amdhsa_enable_private_segment 0
		.amdhsa_system_sgpr_workgroup_id_x 1
		.amdhsa_system_sgpr_workgroup_id_y 0
		.amdhsa_system_sgpr_workgroup_id_z 0
		.amdhsa_system_sgpr_workgroup_info 0
		.amdhsa_system_vgpr_workitem_id 0
		.amdhsa_next_free_vgpr 40
		.amdhsa_next_free_sgpr 37
		.amdhsa_accum_offset 40
		.amdhsa_reserve_vcc 1
		.amdhsa_float_round_mode_32 0
		.amdhsa_float_round_mode_16_64 0
		.amdhsa_float_denorm_mode_32 3
		.amdhsa_float_denorm_mode_16_64 3
		.amdhsa_dx10_clamp 1
		.amdhsa_ieee_mode 1
		.amdhsa_fp16_overflow 0
		.amdhsa_tg_split 0
		.amdhsa_exception_fp_ieee_invalid_op 0
		.amdhsa_exception_fp_denorm_src 0
		.amdhsa_exception_fp_ieee_div_zero 0
		.amdhsa_exception_fp_ieee_overflow 0
		.amdhsa_exception_fp_ieee_underflow 0
		.amdhsa_exception_fp_ieee_inexact 0
		.amdhsa_exception_int_div_zero 0
	.end_amdhsa_kernel
	.section	.text._ZN9rocsparseL44csr2gebsr_wavefront_per_row_multipass_kernelILi256ELi2ELi64ELi32EdEEv20rocsparse_direction_iiiiii21rocsparse_index_base_PKT3_PKiS7_S2_PS3_PiS9_,"axG",@progbits,_ZN9rocsparseL44csr2gebsr_wavefront_per_row_multipass_kernelILi256ELi2ELi64ELi32EdEEv20rocsparse_direction_iiiiii21rocsparse_index_base_PKT3_PKiS7_S2_PS3_PiS9_,comdat
.Lfunc_end79:
	.size	_ZN9rocsparseL44csr2gebsr_wavefront_per_row_multipass_kernelILi256ELi2ELi64ELi32EdEEv20rocsparse_direction_iiiiii21rocsparse_index_base_PKT3_PKiS7_S2_PS3_PiS9_, .Lfunc_end79-_ZN9rocsparseL44csr2gebsr_wavefront_per_row_multipass_kernelILi256ELi2ELi64ELi32EdEEv20rocsparse_direction_iiiiii21rocsparse_index_base_PKT3_PKiS7_S2_PS3_PiS9_
                                        ; -- End function
	.section	.AMDGPU.csdata,"",@progbits
; Kernel info:
; codeLenInByte = 1616
; NumSgprs: 43
; NumVgprs: 40
; NumAgprs: 0
; TotalNumVgprs: 40
; ScratchSize: 0
; MemoryBound: 0
; FloatMode: 240
; IeeeMode: 1
; LDSByteSize: 8200 bytes/workgroup (compile time only)
; SGPRBlocks: 5
; VGPRBlocks: 4
; NumSGPRsForWavesPerEU: 43
; NumVGPRsForWavesPerEU: 40
; AccumOffset: 40
; Occupancy: 7
; WaveLimiterHint : 0
; COMPUTE_PGM_RSRC2:SCRATCH_EN: 0
; COMPUTE_PGM_RSRC2:USER_SGPR: 2
; COMPUTE_PGM_RSRC2:TRAP_HANDLER: 0
; COMPUTE_PGM_RSRC2:TGID_X_EN: 1
; COMPUTE_PGM_RSRC2:TGID_Y_EN: 0
; COMPUTE_PGM_RSRC2:TGID_Z_EN: 0
; COMPUTE_PGM_RSRC2:TIDIG_COMP_CNT: 0
; COMPUTE_PGM_RSRC3_GFX90A:ACCUM_OFFSET: 9
; COMPUTE_PGM_RSRC3_GFX90A:TG_SPLIT: 0
	.section	.text._ZN9rocsparseL44csr2gebsr_wavefront_per_row_multipass_kernelILi256ELi4ELi2ELi8EdEEv20rocsparse_direction_iiiiii21rocsparse_index_base_PKT3_PKiS7_S2_PS3_PiS9_,"axG",@progbits,_ZN9rocsparseL44csr2gebsr_wavefront_per_row_multipass_kernelILi256ELi4ELi2ELi8EdEEv20rocsparse_direction_iiiiii21rocsparse_index_base_PKT3_PKiS7_S2_PS3_PiS9_,comdat
	.globl	_ZN9rocsparseL44csr2gebsr_wavefront_per_row_multipass_kernelILi256ELi4ELi2ELi8EdEEv20rocsparse_direction_iiiiii21rocsparse_index_base_PKT3_PKiS7_S2_PS3_PiS9_ ; -- Begin function _ZN9rocsparseL44csr2gebsr_wavefront_per_row_multipass_kernelILi256ELi4ELi2ELi8EdEEv20rocsparse_direction_iiiiii21rocsparse_index_base_PKT3_PKiS7_S2_PS3_PiS9_
	.p2align	8
	.type	_ZN9rocsparseL44csr2gebsr_wavefront_per_row_multipass_kernelILi256ELi4ELi2ELi8EdEEv20rocsparse_direction_iiiiii21rocsparse_index_base_PKT3_PKiS7_S2_PS3_PiS9_,@function
_ZN9rocsparseL44csr2gebsr_wavefront_per_row_multipass_kernelILi256ELi4ELi2ELi8EdEEv20rocsparse_direction_iiiiii21rocsparse_index_base_PKT3_PKiS7_S2_PS3_PiS9_: ; @_ZN9rocsparseL44csr2gebsr_wavefront_per_row_multipass_kernelILi256ELi4ELi2ELi8EdEEv20rocsparse_direction_iiiiii21rocsparse_index_base_PKT3_PKiS7_S2_PS3_PiS9_
; %bb.0:
	s_load_dwordx2 s[14:15], s[0:1], 0x0
	s_load_dwordx4 s[4:7], s[0:1], 0xc
	s_load_dword s20, s[0:1], 0x1c
	s_load_dwordx2 s[8:9], s[0:1], 0x28
	v_lshrrev_b32_e32 v12, 3, v0
	v_bfe_u32 v6, v0, 1, 2
	v_lshl_or_b32 v4, s2, 5, v12
	s_waitcnt lgkmcnt(0)
	v_mad_u64_u32 v[2:3], s[2:3], v4, s6, v[6:7]
	v_cmp_gt_i32_e64 s[2:3], s15, v2
	v_cmp_gt_i32_e32 vcc, s6, v6
	s_and_b64 s[2:3], vcc, s[2:3]
	v_mov_b32_e32 v13, 0
	v_mov_b32_e32 v8, 0
	s_and_saveexec_b64 s[10:11], s[2:3]
	s_cbranch_execz .LBB80_2
; %bb.1:
	v_ashrrev_i32_e32 v3, 31, v2
	v_lshl_add_u64 v[8:9], v[2:3], 2, s[8:9]
	global_load_dword v1, v[8:9], off
	s_waitcnt vmcnt(0)
	v_subrev_u32_e32 v8, s20, v1
.LBB80_2:
	s_or_b64 exec, exec, s[10:11]
	s_and_saveexec_b64 s[10:11], s[2:3]
	s_cbranch_execz .LBB80_4
; %bb.3:
	v_ashrrev_i32_e32 v3, 31, v2
	v_lshl_add_u64 v[2:3], v[2:3], 2, s[8:9]
	global_load_dword v1, v[2:3], off offset:4
	s_waitcnt vmcnt(0)
	v_subrev_u32_e32 v13, s20, v1
.LBB80_4:
	s_or_b64 exec, exec, s[10:11]
	s_load_dword s21, s[0:1], 0x38
	v_cmp_gt_i32_e64 s[2:3], s4, v4
	v_mov_b32_e32 v2, 0
	s_and_saveexec_b64 s[8:9], s[2:3]
	s_cbranch_execz .LBB80_6
; %bb.5:
	s_load_dwordx2 s[2:3], s[0:1], 0x48
	v_ashrrev_i32_e32 v5, 31, v4
	s_waitcnt lgkmcnt(0)
	v_lshl_add_u64 v[2:3], v[4:5], 2, s[2:3]
	global_load_dword v1, v[2:3], off
	s_waitcnt vmcnt(0)
	v_subrev_u32_e32 v2, s21, v1
.LBB80_6:
	s_or_b64 exec, exec, s[8:9]
	s_cmp_lt_i32 s5, 1
	s_cbranch_scc1 .LBB80_21
; %bb.7:
	v_and_b32_e32 v4, 1, v0
	s_load_dwordx2 s[2:3], s[0:1], 0x20
	s_load_dwordx2 s[8:9], s[0:1], 0x50
	;; [unrolled: 1-line block ×4, first 2 shown]
	v_cmp_gt_u32_e64 s[0:1], s7, v4
	s_and_b64 s[12:13], vcc, s[0:1]
	s_cmp_eq_u32 s14, 0
	s_cselect_b64 vcc, -1, 0
	s_abs_i32 s4, s7
	v_cvt_f32_u32_e32 v9, s4
	v_and_b32_e32 v0, 0xf8, v0
	v_lshl_or_b32 v14, v6, 1, v0
	v_mbcnt_lo_u32_b32 v0, -1, 0
	v_rcp_iflag_f32_e32 v9, v9
	v_mbcnt_hi_u32_b32 v0, -1, v0
	v_lshlrev_b32_e32 v3, 2, v0
	v_mov_b32_e32 v5, 0
	v_or_b32_e32 v15, 4, v3
	v_or_b32_e32 v0, v14, v4
	;; [unrolled: 1-line block ×3, first 2 shown]
	v_mul_f32_e32 v3, 0x4f7ffffe, v9
	v_lshlrev_b32_e32 v16, 3, v0
	v_mul_lo_u32 v0, v4, s6
	v_mov_b32_e32 v1, v5
	v_lshlrev_b32_e32 v10, 3, v6
	v_mul_lo_u32 v6, v6, s7
	v_cvt_u32_f32_e32 v3, v3
	s_waitcnt lgkmcnt(0)
	v_lshl_add_u64 v[0:1], v[0:1], 3, s[16:17]
	v_mov_b32_e32 v11, v5
	v_ashrrev_i32_e32 v7, 31, v6
	s_ashr_i32 s22, s7, 31
	v_lshl_add_u64 v[0:1], v[0:1], 0, v[10:11]
	v_lshl_add_u64 v[6:7], v[6:7], 3, s[16:17]
	v_lshlrev_b32_e32 v10, 3, v4
	s_mul_hi_u32 s0, s7, s6
	s_mul_i32 s1, s22, s6
	v_lshl_add_u64 v[6:7], v[6:7], 0, v[10:11]
	s_add_i32 s23, s0, s1
	s_sub_i32 s0, 0, s4
	v_cndmask_b32_e32 v0, v0, v6, vcc
	v_mul_lo_u32 v6, s0, v3
	v_mul_hi_u32 v6, v3, v6
	s_mul_i32 s6, s7, s6
	v_cndmask_b32_e32 v1, v1, v7, vcc
	v_add_u32_e32 v18, v3, v6
	s_mov_b64 s[14:15], 0
	v_mov_b32_e32 v6, v5
	v_mov_b32_e32 v7, v5
	;; [unrolled: 1-line block ×4, first 2 shown]
	s_branch .LBB80_10
.LBB80_8:                               ;   in Loop: Header=BB80_10 Depth=1
	s_or_b64 exec, exec, s[16:17]
	v_mov_b32_e32 v9, 1
.LBB80_9:                               ;   in Loop: Header=BB80_10 Depth=1
	s_or_b64 exec, exec, s[0:1]
	v_mov_b32_dpp v3, v20 row_shr:1 row_mask:0xf bank_mask:0xf
	v_min_i32_e32 v3, v3, v20
	v_add_u32_e32 v2, v9, v2
	s_waitcnt lgkmcnt(0)
	v_mov_b32_dpp v10, v3 row_shr:2 row_mask:0xf bank_mask:0xf
	v_min_i32_e32 v3, v10, v3
	s_nop 1
	v_mov_b32_dpp v10, v3 row_shr:4 row_mask:0xf bank_mask:0xe
	v_min_i32_e32 v3, v10, v3
	ds_bpermute_b32 v3, v17, v3
	s_waitcnt lgkmcnt(0)
	v_cmp_le_i32_e32 vcc, s5, v3
	s_or_b64 s[14:15], vcc, s[14:15]
	s_andn2_b64 exec, exec, s[14:15]
	s_cbranch_execz .LBB80_21
.LBB80_10:                              ; =>This Loop Header: Depth=1
                                        ;     Child Loop BB80_13 Depth 2
	v_add_u32_e32 v21, v8, v4
	v_cmp_lt_i32_e32 vcc, v21, v13
	v_mov_b32_e32 v20, s5
	v_mov_b32_e32 v23, v13
	ds_write_b8 v12, v5 offset:2048
	ds_write_b64 v16, v[6:7]
	s_waitcnt lgkmcnt(0)
	s_and_saveexec_b64 s[16:17], vcc
	s_cbranch_execz .LBB80_18
; %bb.11:                               ;   in Loop: Header=BB80_10 Depth=1
	v_ashrrev_i32_e32 v9, 31, v8
	v_lshl_add_u64 v[10:11], v[4:5], 0, v[8:9]
	v_mul_lo_u32 v22, v3, s7
	v_lshl_add_u64 v[8:9], v[10:11], 2, s[10:11]
	v_lshl_add_u64 v[10:11], v[10:11], 3, s[2:3]
	s_mov_b64 s[18:19], 0
	v_mov_b32_e32 v20, s5
	v_mov_b32_e32 v23, v13
	s_branch .LBB80_13
.LBB80_12:                              ;   in Loop: Header=BB80_13 Depth=2
	s_or_b64 exec, exec, s[0:1]
	v_add_u32_e32 v21, 2, v21
	v_cmp_ge_i32_e64 s[0:1], v21, v13
	s_xor_b64 s[24:25], vcc, -1
	s_or_b64 s[0:1], s[24:25], s[0:1]
	s_and_b64 s[0:1], exec, s[0:1]
	v_lshl_add_u64 v[8:9], v[8:9], 0, 8
	s_or_b64 s[18:19], s[0:1], s[18:19]
	v_lshl_add_u64 v[10:11], v[10:11], 0, 16
	s_andn2_b64 exec, exec, s[18:19]
	s_cbranch_execz .LBB80_17
.LBB80_13:                              ;   Parent Loop BB80_10 Depth=1
                                        ; =>  This Inner Loop Header: Depth=2
	global_load_dword v24, v[8:9], off
	s_waitcnt vmcnt(0)
	v_subrev_u32_e32 v24, s20, v24
	v_sub_u32_e32 v26, 0, v24
	v_max_i32_e32 v26, v24, v26
	v_mul_hi_u32 v27, v26, v18
	v_mul_lo_u32 v28, v27, s4
	v_sub_u32_e32 v26, v26, v28
	v_add_u32_e32 v29, 1, v27
	v_cmp_le_u32_e32 vcc, s4, v26
	v_subrev_u32_e32 v28, s4, v26
	v_ashrrev_i32_e32 v25, 31, v24
	v_cndmask_b32_e32 v27, v27, v29, vcc
	v_cndmask_b32_e32 v26, v26, v28, vcc
	v_add_u32_e32 v28, 1, v27
	v_cmp_le_u32_e32 vcc, s4, v26
	v_xor_b32_e32 v25, s22, v25
	s_nop 0
	v_cndmask_b32_e32 v26, v27, v28, vcc
	v_xor_b32_e32 v26, v26, v25
	v_sub_u32_e32 v26, v26, v25
	v_cmp_eq_u32_e32 vcc, v26, v3
	v_cmp_ne_u32_e64 s[0:1], v26, v3
	v_mov_b32_e32 v25, v23
	s_and_saveexec_b64 s[24:25], s[0:1]
	s_xor_b64 s[0:1], exec, s[24:25]
; %bb.14:                               ;   in Loop: Header=BB80_13 Depth=2
	v_min_i32_e32 v20, v26, v20
                                        ; implicit-def: $vgpr24
                                        ; implicit-def: $vgpr25
; %bb.15:                               ;   in Loop: Header=BB80_13 Depth=2
	s_or_saveexec_b64 s[0:1], s[0:1]
	v_mov_b32_e32 v23, v21
	s_xor_b64 exec, exec, s[0:1]
	s_cbranch_execz .LBB80_12
; %bb.16:                               ;   in Loop: Header=BB80_13 Depth=2
	global_load_dwordx2 v[26:27], v[10:11], off
	v_sub_u32_e32 v23, v24, v22
	v_add_lshl_u32 v23, v14, v23, 3
	ds_write_b8 v12, v19 offset:2048
	s_waitcnt vmcnt(0)
	ds_write_b64 v23, v[26:27]
	v_mov_b32_e32 v23, v25
	s_branch .LBB80_12
.LBB80_17:                              ;   in Loop: Header=BB80_10 Depth=1
	s_or_b64 exec, exec, s[18:19]
.LBB80_18:                              ;   in Loop: Header=BB80_10 Depth=1
	s_or_b64 exec, exec, s[16:17]
	s_waitcnt lgkmcnt(0)
	ds_read_u8 v9, v12 offset:2048
	v_mov_b32_dpp v8, v23 row_shr:1 row_mask:0xf bank_mask:0xf
	v_min_i32_e32 v8, v8, v23
	ds_bpermute_b32 v8, v15, v8
	s_waitcnt lgkmcnt(1)
	v_and_b32_e32 v9, 1, v9
	v_cmp_eq_u32_e32 vcc, 1, v9
	v_mov_b32_e32 v9, 0
	s_and_saveexec_b64 s[0:1], vcc
	s_cbranch_execz .LBB80_9
; %bb.19:                               ;   in Loop: Header=BB80_10 Depth=1
	v_add_u32_e32 v9, s21, v3
	v_ashrrev_i32_e32 v3, 31, v2
	v_lshl_add_u64 v[10:11], v[2:3], 2, s[8:9]
	global_store_dword v[10:11], v9, off
	s_and_saveexec_b64 s[16:17], s[12:13]
	s_cbranch_execz .LBB80_8
; %bb.20:                               ;   in Loop: Header=BB80_10 Depth=1
	ds_read_b64 v[10:11], v16
	v_mul_lo_u32 v9, s23, v2
	v_mul_lo_u32 v3, s6, v3
	v_mad_u64_u32 v[22:23], s[18:19], s6, v2, 0
	v_add3_u32 v23, v23, v3, v9
	v_lshl_add_u64 v[22:23], v[22:23], 3, v[0:1]
	s_waitcnt lgkmcnt(0)
	global_store_dwordx2 v[22:23], v[10:11], off
	s_branch .LBB80_8
.LBB80_21:
	s_endpgm
	.section	.rodata,"a",@progbits
	.p2align	6, 0x0
	.amdhsa_kernel _ZN9rocsparseL44csr2gebsr_wavefront_per_row_multipass_kernelILi256ELi4ELi2ELi8EdEEv20rocsparse_direction_iiiiii21rocsparse_index_base_PKT3_PKiS7_S2_PS3_PiS9_
		.amdhsa_group_segment_fixed_size 2080
		.amdhsa_private_segment_fixed_size 0
		.amdhsa_kernarg_size 88
		.amdhsa_user_sgpr_count 2
		.amdhsa_user_sgpr_dispatch_ptr 0
		.amdhsa_user_sgpr_queue_ptr 0
		.amdhsa_user_sgpr_kernarg_segment_ptr 1
		.amdhsa_user_sgpr_dispatch_id 0
		.amdhsa_user_sgpr_kernarg_preload_length 0
		.amdhsa_user_sgpr_kernarg_preload_offset 0
		.amdhsa_user_sgpr_private_segment_size 0
		.amdhsa_uses_dynamic_stack 0
		.amdhsa_enable_private_segment 0
		.amdhsa_system_sgpr_workgroup_id_x 1
		.amdhsa_system_sgpr_workgroup_id_y 0
		.amdhsa_system_sgpr_workgroup_id_z 0
		.amdhsa_system_sgpr_workgroup_info 0
		.amdhsa_system_vgpr_workitem_id 0
		.amdhsa_next_free_vgpr 30
		.amdhsa_next_free_sgpr 26
		.amdhsa_accum_offset 32
		.amdhsa_reserve_vcc 1
		.amdhsa_float_round_mode_32 0
		.amdhsa_float_round_mode_16_64 0
		.amdhsa_float_denorm_mode_32 3
		.amdhsa_float_denorm_mode_16_64 3
		.amdhsa_dx10_clamp 1
		.amdhsa_ieee_mode 1
		.amdhsa_fp16_overflow 0
		.amdhsa_tg_split 0
		.amdhsa_exception_fp_ieee_invalid_op 0
		.amdhsa_exception_fp_denorm_src 0
		.amdhsa_exception_fp_ieee_div_zero 0
		.amdhsa_exception_fp_ieee_overflow 0
		.amdhsa_exception_fp_ieee_underflow 0
		.amdhsa_exception_fp_ieee_inexact 0
		.amdhsa_exception_int_div_zero 0
	.end_amdhsa_kernel
	.section	.text._ZN9rocsparseL44csr2gebsr_wavefront_per_row_multipass_kernelILi256ELi4ELi2ELi8EdEEv20rocsparse_direction_iiiiii21rocsparse_index_base_PKT3_PKiS7_S2_PS3_PiS9_,"axG",@progbits,_ZN9rocsparseL44csr2gebsr_wavefront_per_row_multipass_kernelILi256ELi4ELi2ELi8EdEEv20rocsparse_direction_iiiiii21rocsparse_index_base_PKT3_PKiS7_S2_PS3_PiS9_,comdat
.Lfunc_end80:
	.size	_ZN9rocsparseL44csr2gebsr_wavefront_per_row_multipass_kernelILi256ELi4ELi2ELi8EdEEv20rocsparse_direction_iiiiii21rocsparse_index_base_PKT3_PKiS7_S2_PS3_PiS9_, .Lfunc_end80-_ZN9rocsparseL44csr2gebsr_wavefront_per_row_multipass_kernelILi256ELi4ELi2ELi8EdEEv20rocsparse_direction_iiiiii21rocsparse_index_base_PKT3_PKiS7_S2_PS3_PiS9_
                                        ; -- End function
	.section	.AMDGPU.csdata,"",@progbits
; Kernel info:
; codeLenInByte = 1124
; NumSgprs: 32
; NumVgprs: 30
; NumAgprs: 0
; TotalNumVgprs: 30
; ScratchSize: 0
; MemoryBound: 0
; FloatMode: 240
; IeeeMode: 1
; LDSByteSize: 2080 bytes/workgroup (compile time only)
; SGPRBlocks: 3
; VGPRBlocks: 3
; NumSGPRsForWavesPerEU: 32
; NumVGPRsForWavesPerEU: 30
; AccumOffset: 32
; Occupancy: 8
; WaveLimiterHint : 0
; COMPUTE_PGM_RSRC2:SCRATCH_EN: 0
; COMPUTE_PGM_RSRC2:USER_SGPR: 2
; COMPUTE_PGM_RSRC2:TRAP_HANDLER: 0
; COMPUTE_PGM_RSRC2:TGID_X_EN: 1
; COMPUTE_PGM_RSRC2:TGID_Y_EN: 0
; COMPUTE_PGM_RSRC2:TGID_Z_EN: 0
; COMPUTE_PGM_RSRC2:TIDIG_COMP_CNT: 0
; COMPUTE_PGM_RSRC3_GFX90A:ACCUM_OFFSET: 7
; COMPUTE_PGM_RSRC3_GFX90A:TG_SPLIT: 0
	.section	.text._ZN9rocsparseL44csr2gebsr_wavefront_per_row_multipass_kernelILi256ELi4ELi4ELi16EdEEv20rocsparse_direction_iiiiii21rocsparse_index_base_PKT3_PKiS7_S2_PS3_PiS9_,"axG",@progbits,_ZN9rocsparseL44csr2gebsr_wavefront_per_row_multipass_kernelILi256ELi4ELi4ELi16EdEEv20rocsparse_direction_iiiiii21rocsparse_index_base_PKT3_PKiS7_S2_PS3_PiS9_,comdat
	.globl	_ZN9rocsparseL44csr2gebsr_wavefront_per_row_multipass_kernelILi256ELi4ELi4ELi16EdEEv20rocsparse_direction_iiiiii21rocsparse_index_base_PKT3_PKiS7_S2_PS3_PiS9_ ; -- Begin function _ZN9rocsparseL44csr2gebsr_wavefront_per_row_multipass_kernelILi256ELi4ELi4ELi16EdEEv20rocsparse_direction_iiiiii21rocsparse_index_base_PKT3_PKiS7_S2_PS3_PiS9_
	.p2align	8
	.type	_ZN9rocsparseL44csr2gebsr_wavefront_per_row_multipass_kernelILi256ELi4ELi4ELi16EdEEv20rocsparse_direction_iiiiii21rocsparse_index_base_PKT3_PKiS7_S2_PS3_PiS9_,@function
_ZN9rocsparseL44csr2gebsr_wavefront_per_row_multipass_kernelILi256ELi4ELi4ELi16EdEEv20rocsparse_direction_iiiiii21rocsparse_index_base_PKT3_PKiS7_S2_PS3_PiS9_: ; @_ZN9rocsparseL44csr2gebsr_wavefront_per_row_multipass_kernelILi256ELi4ELi4ELi16EdEEv20rocsparse_direction_iiiiii21rocsparse_index_base_PKT3_PKiS7_S2_PS3_PiS9_
; %bb.0:
	s_load_dwordx2 s[14:15], s[0:1], 0x0
	s_load_dwordx4 s[4:7], s[0:1], 0xc
	s_load_dword s20, s[0:1], 0x1c
	s_load_dwordx2 s[8:9], s[0:1], 0x28
	v_lshrrev_b32_e32 v12, 4, v0
	v_bfe_u32 v6, v0, 2, 2
	v_lshl_or_b32 v4, s2, 4, v12
	s_waitcnt lgkmcnt(0)
	v_mad_u64_u32 v[2:3], s[2:3], v4, s6, v[6:7]
	v_cmp_gt_i32_e64 s[2:3], s15, v2
	v_cmp_gt_i32_e32 vcc, s6, v6
	s_and_b64 s[2:3], vcc, s[2:3]
	v_mov_b32_e32 v13, 0
	v_mov_b32_e32 v8, 0
	s_and_saveexec_b64 s[10:11], s[2:3]
	s_cbranch_execz .LBB81_2
; %bb.1:
	v_ashrrev_i32_e32 v3, 31, v2
	v_lshl_add_u64 v[8:9], v[2:3], 2, s[8:9]
	global_load_dword v1, v[8:9], off
	s_waitcnt vmcnt(0)
	v_subrev_u32_e32 v8, s20, v1
.LBB81_2:
	s_or_b64 exec, exec, s[10:11]
	s_and_saveexec_b64 s[10:11], s[2:3]
	s_cbranch_execz .LBB81_4
; %bb.3:
	v_ashrrev_i32_e32 v3, 31, v2
	v_lshl_add_u64 v[2:3], v[2:3], 2, s[8:9]
	global_load_dword v1, v[2:3], off offset:4
	s_waitcnt vmcnt(0)
	v_subrev_u32_e32 v13, s20, v1
.LBB81_4:
	s_or_b64 exec, exec, s[10:11]
	s_load_dword s21, s[0:1], 0x38
	v_cmp_gt_i32_e64 s[2:3], s4, v4
	v_mov_b32_e32 v2, 0
	s_and_saveexec_b64 s[8:9], s[2:3]
	s_cbranch_execz .LBB81_6
; %bb.5:
	s_load_dwordx2 s[2:3], s[0:1], 0x48
	v_ashrrev_i32_e32 v5, 31, v4
	s_waitcnt lgkmcnt(0)
	v_lshl_add_u64 v[2:3], v[4:5], 2, s[2:3]
	global_load_dword v1, v[2:3], off
	s_waitcnt vmcnt(0)
	v_subrev_u32_e32 v2, s21, v1
.LBB81_6:
	s_or_b64 exec, exec, s[8:9]
	s_cmp_lt_i32 s5, 1
	s_cbranch_scc1 .LBB81_21
; %bb.7:
	v_and_b32_e32 v4, 3, v0
	s_load_dwordx2 s[2:3], s[0:1], 0x20
	s_load_dwordx2 s[8:9], s[0:1], 0x50
	s_load_dwordx2 s[16:17], s[0:1], 0x40
	s_load_dwordx2 s[10:11], s[0:1], 0x30
	v_cmp_gt_u32_e64 s[0:1], s7, v4
	s_and_b64 s[12:13], vcc, s[0:1]
	s_cmp_eq_u32 s14, 0
	s_cselect_b64 vcc, -1, 0
	s_abs_i32 s4, s7
	v_cvt_f32_u32_e32 v9, s4
	v_and_b32_e32 v0, 0xf0, v0
	v_lshl_or_b32 v14, v6, 2, v0
	v_mbcnt_lo_u32_b32 v0, -1, 0
	v_rcp_iflag_f32_e32 v9, v9
	v_mbcnt_hi_u32_b32 v0, -1, v0
	v_lshlrev_b32_e32 v3, 2, v0
	v_mov_b32_e32 v5, 0
	v_or_b32_e32 v15, 12, v3
	v_or_b32_e32 v0, v14, v4
	;; [unrolled: 1-line block ×3, first 2 shown]
	v_mul_f32_e32 v3, 0x4f7ffffe, v9
	v_lshlrev_b32_e32 v16, 3, v0
	v_mul_lo_u32 v0, v4, s6
	v_mov_b32_e32 v1, v5
	v_lshlrev_b32_e32 v10, 3, v6
	v_mul_lo_u32 v6, v6, s7
	v_cvt_u32_f32_e32 v3, v3
	s_waitcnt lgkmcnt(0)
	v_lshl_add_u64 v[0:1], v[0:1], 3, s[16:17]
	v_mov_b32_e32 v11, v5
	v_ashrrev_i32_e32 v7, 31, v6
	s_ashr_i32 s22, s7, 31
	v_lshl_add_u64 v[0:1], v[0:1], 0, v[10:11]
	v_lshl_add_u64 v[6:7], v[6:7], 3, s[16:17]
	v_lshlrev_b32_e32 v10, 3, v4
	s_mul_hi_u32 s0, s7, s6
	s_mul_i32 s1, s22, s6
	v_lshl_add_u64 v[6:7], v[6:7], 0, v[10:11]
	s_add_i32 s23, s0, s1
	s_sub_i32 s0, 0, s4
	v_cndmask_b32_e32 v0, v0, v6, vcc
	v_mul_lo_u32 v6, s0, v3
	v_mul_hi_u32 v6, v3, v6
	s_mul_i32 s6, s7, s6
	v_cndmask_b32_e32 v1, v1, v7, vcc
	v_add_u32_e32 v18, v3, v6
	s_mov_b64 s[14:15], 0
	v_mov_b32_e32 v6, v5
	v_mov_b32_e32 v7, v5
	;; [unrolled: 1-line block ×4, first 2 shown]
	s_branch .LBB81_10
.LBB81_8:                               ;   in Loop: Header=BB81_10 Depth=1
	s_or_b64 exec, exec, s[16:17]
	v_mov_b32_e32 v9, 1
.LBB81_9:                               ;   in Loop: Header=BB81_10 Depth=1
	s_or_b64 exec, exec, s[0:1]
	v_mov_b32_dpp v3, v20 row_shr:1 row_mask:0xf bank_mask:0xf
	v_min_i32_e32 v3, v3, v20
	v_add_u32_e32 v2, v9, v2
	s_waitcnt lgkmcnt(0)
	v_mov_b32_dpp v10, v3 row_shr:2 row_mask:0xf bank_mask:0xf
	v_min_i32_e32 v3, v10, v3
	s_nop 1
	v_mov_b32_dpp v10, v3 row_shr:4 row_mask:0xf bank_mask:0xe
	v_min_i32_e32 v3, v10, v3
	s_nop 1
	v_mov_b32_dpp v10, v3 row_shr:8 row_mask:0xf bank_mask:0xc
	v_min_i32_e32 v3, v10, v3
	ds_bpermute_b32 v3, v17, v3
	s_waitcnt lgkmcnt(0)
	v_cmp_le_i32_e32 vcc, s5, v3
	s_or_b64 s[14:15], vcc, s[14:15]
	s_andn2_b64 exec, exec, s[14:15]
	s_cbranch_execz .LBB81_21
.LBB81_10:                              ; =>This Loop Header: Depth=1
                                        ;     Child Loop BB81_13 Depth 2
	v_add_u32_e32 v21, v8, v4
	v_cmp_lt_i32_e32 vcc, v21, v13
	v_mov_b32_e32 v20, s5
	v_mov_b32_e32 v23, v13
	ds_write_b8 v12, v5 offset:2048
	ds_write_b64 v16, v[6:7]
	s_waitcnt lgkmcnt(0)
	s_and_saveexec_b64 s[16:17], vcc
	s_cbranch_execz .LBB81_18
; %bb.11:                               ;   in Loop: Header=BB81_10 Depth=1
	v_ashrrev_i32_e32 v9, 31, v8
	v_lshl_add_u64 v[10:11], v[4:5], 0, v[8:9]
	v_mul_lo_u32 v22, v3, s7
	v_lshl_add_u64 v[8:9], v[10:11], 2, s[10:11]
	v_lshl_add_u64 v[10:11], v[10:11], 3, s[2:3]
	s_mov_b64 s[18:19], 0
	v_mov_b32_e32 v20, s5
	v_mov_b32_e32 v23, v13
	s_branch .LBB81_13
.LBB81_12:                              ;   in Loop: Header=BB81_13 Depth=2
	s_or_b64 exec, exec, s[0:1]
	v_add_u32_e32 v21, 4, v21
	v_cmp_ge_i32_e64 s[0:1], v21, v13
	s_xor_b64 s[24:25], vcc, -1
	s_or_b64 s[0:1], s[24:25], s[0:1]
	s_and_b64 s[0:1], exec, s[0:1]
	v_lshl_add_u64 v[8:9], v[8:9], 0, 16
	s_or_b64 s[18:19], s[0:1], s[18:19]
	v_lshl_add_u64 v[10:11], v[10:11], 0, 32
	s_andn2_b64 exec, exec, s[18:19]
	s_cbranch_execz .LBB81_17
.LBB81_13:                              ;   Parent Loop BB81_10 Depth=1
                                        ; =>  This Inner Loop Header: Depth=2
	global_load_dword v24, v[8:9], off
	s_waitcnt vmcnt(0)
	v_subrev_u32_e32 v24, s20, v24
	v_sub_u32_e32 v26, 0, v24
	v_max_i32_e32 v26, v24, v26
	v_mul_hi_u32 v27, v26, v18
	v_mul_lo_u32 v28, v27, s4
	v_sub_u32_e32 v26, v26, v28
	v_add_u32_e32 v29, 1, v27
	v_cmp_le_u32_e32 vcc, s4, v26
	v_subrev_u32_e32 v28, s4, v26
	v_ashrrev_i32_e32 v25, 31, v24
	v_cndmask_b32_e32 v27, v27, v29, vcc
	v_cndmask_b32_e32 v26, v26, v28, vcc
	v_add_u32_e32 v28, 1, v27
	v_cmp_le_u32_e32 vcc, s4, v26
	v_xor_b32_e32 v25, s22, v25
	s_nop 0
	v_cndmask_b32_e32 v26, v27, v28, vcc
	v_xor_b32_e32 v26, v26, v25
	v_sub_u32_e32 v26, v26, v25
	v_cmp_eq_u32_e32 vcc, v26, v3
	v_cmp_ne_u32_e64 s[0:1], v26, v3
	v_mov_b32_e32 v25, v23
	s_and_saveexec_b64 s[24:25], s[0:1]
	s_xor_b64 s[0:1], exec, s[24:25]
; %bb.14:                               ;   in Loop: Header=BB81_13 Depth=2
	v_min_i32_e32 v20, v26, v20
                                        ; implicit-def: $vgpr24
                                        ; implicit-def: $vgpr25
; %bb.15:                               ;   in Loop: Header=BB81_13 Depth=2
	s_or_saveexec_b64 s[0:1], s[0:1]
	v_mov_b32_e32 v23, v21
	s_xor_b64 exec, exec, s[0:1]
	s_cbranch_execz .LBB81_12
; %bb.16:                               ;   in Loop: Header=BB81_13 Depth=2
	global_load_dwordx2 v[26:27], v[10:11], off
	v_sub_u32_e32 v23, v24, v22
	v_add_lshl_u32 v23, v14, v23, 3
	ds_write_b8 v12, v19 offset:2048
	s_waitcnt vmcnt(0)
	ds_write_b64 v23, v[26:27]
	v_mov_b32_e32 v23, v25
	s_branch .LBB81_12
.LBB81_17:                              ;   in Loop: Header=BB81_10 Depth=1
	s_or_b64 exec, exec, s[18:19]
.LBB81_18:                              ;   in Loop: Header=BB81_10 Depth=1
	s_or_b64 exec, exec, s[16:17]
	v_mov_b32_dpp v8, v23 row_shr:1 row_mask:0xf bank_mask:0xf
	v_min_i32_e32 v8, v8, v23
	s_waitcnt lgkmcnt(0)
	ds_read_u8 v9, v12 offset:2048
	v_mov_b32_dpp v10, v8 row_shr:2 row_mask:0xf bank_mask:0xf
	v_min_i32_e32 v8, v10, v8
	ds_bpermute_b32 v8, v15, v8
	s_waitcnt lgkmcnt(1)
	v_and_b32_e32 v9, 1, v9
	v_cmp_eq_u32_e32 vcc, 1, v9
	v_mov_b32_e32 v9, 0
	s_and_saveexec_b64 s[0:1], vcc
	s_cbranch_execz .LBB81_9
; %bb.19:                               ;   in Loop: Header=BB81_10 Depth=1
	v_add_u32_e32 v9, s21, v3
	v_ashrrev_i32_e32 v3, 31, v2
	v_lshl_add_u64 v[10:11], v[2:3], 2, s[8:9]
	global_store_dword v[10:11], v9, off
	s_and_saveexec_b64 s[16:17], s[12:13]
	s_cbranch_execz .LBB81_8
; %bb.20:                               ;   in Loop: Header=BB81_10 Depth=1
	ds_read_b64 v[10:11], v16
	v_mul_lo_u32 v9, s23, v2
	v_mul_lo_u32 v3, s6, v3
	v_mad_u64_u32 v[22:23], s[18:19], s6, v2, 0
	v_add3_u32 v23, v23, v3, v9
	v_lshl_add_u64 v[22:23], v[22:23], 3, v[0:1]
	s_waitcnt lgkmcnt(0)
	global_store_dwordx2 v[22:23], v[10:11], off
	s_branch .LBB81_8
.LBB81_21:
	s_endpgm
	.section	.rodata,"a",@progbits
	.p2align	6, 0x0
	.amdhsa_kernel _ZN9rocsparseL44csr2gebsr_wavefront_per_row_multipass_kernelILi256ELi4ELi4ELi16EdEEv20rocsparse_direction_iiiiii21rocsparse_index_base_PKT3_PKiS7_S2_PS3_PiS9_
		.amdhsa_group_segment_fixed_size 2064
		.amdhsa_private_segment_fixed_size 0
		.amdhsa_kernarg_size 88
		.amdhsa_user_sgpr_count 2
		.amdhsa_user_sgpr_dispatch_ptr 0
		.amdhsa_user_sgpr_queue_ptr 0
		.amdhsa_user_sgpr_kernarg_segment_ptr 1
		.amdhsa_user_sgpr_dispatch_id 0
		.amdhsa_user_sgpr_kernarg_preload_length 0
		.amdhsa_user_sgpr_kernarg_preload_offset 0
		.amdhsa_user_sgpr_private_segment_size 0
		.amdhsa_uses_dynamic_stack 0
		.amdhsa_enable_private_segment 0
		.amdhsa_system_sgpr_workgroup_id_x 1
		.amdhsa_system_sgpr_workgroup_id_y 0
		.amdhsa_system_sgpr_workgroup_id_z 0
		.amdhsa_system_sgpr_workgroup_info 0
		.amdhsa_system_vgpr_workitem_id 0
		.amdhsa_next_free_vgpr 30
		.amdhsa_next_free_sgpr 26
		.amdhsa_accum_offset 32
		.amdhsa_reserve_vcc 1
		.amdhsa_float_round_mode_32 0
		.amdhsa_float_round_mode_16_64 0
		.amdhsa_float_denorm_mode_32 3
		.amdhsa_float_denorm_mode_16_64 3
		.amdhsa_dx10_clamp 1
		.amdhsa_ieee_mode 1
		.amdhsa_fp16_overflow 0
		.amdhsa_tg_split 0
		.amdhsa_exception_fp_ieee_invalid_op 0
		.amdhsa_exception_fp_denorm_src 0
		.amdhsa_exception_fp_ieee_div_zero 0
		.amdhsa_exception_fp_ieee_overflow 0
		.amdhsa_exception_fp_ieee_underflow 0
		.amdhsa_exception_fp_ieee_inexact 0
		.amdhsa_exception_int_div_zero 0
	.end_amdhsa_kernel
	.section	.text._ZN9rocsparseL44csr2gebsr_wavefront_per_row_multipass_kernelILi256ELi4ELi4ELi16EdEEv20rocsparse_direction_iiiiii21rocsparse_index_base_PKT3_PKiS7_S2_PS3_PiS9_,"axG",@progbits,_ZN9rocsparseL44csr2gebsr_wavefront_per_row_multipass_kernelILi256ELi4ELi4ELi16EdEEv20rocsparse_direction_iiiiii21rocsparse_index_base_PKT3_PKiS7_S2_PS3_PiS9_,comdat
.Lfunc_end81:
	.size	_ZN9rocsparseL44csr2gebsr_wavefront_per_row_multipass_kernelILi256ELi4ELi4ELi16EdEEv20rocsparse_direction_iiiiii21rocsparse_index_base_PKT3_PKiS7_S2_PS3_PiS9_, .Lfunc_end81-_ZN9rocsparseL44csr2gebsr_wavefront_per_row_multipass_kernelILi256ELi4ELi4ELi16EdEEv20rocsparse_direction_iiiiii21rocsparse_index_base_PKT3_PKiS7_S2_PS3_PiS9_
                                        ; -- End function
	.section	.AMDGPU.csdata,"",@progbits
; Kernel info:
; codeLenInByte = 1152
; NumSgprs: 32
; NumVgprs: 30
; NumAgprs: 0
; TotalNumVgprs: 30
; ScratchSize: 0
; MemoryBound: 0
; FloatMode: 240
; IeeeMode: 1
; LDSByteSize: 2064 bytes/workgroup (compile time only)
; SGPRBlocks: 3
; VGPRBlocks: 3
; NumSGPRsForWavesPerEU: 32
; NumVGPRsForWavesPerEU: 30
; AccumOffset: 32
; Occupancy: 8
; WaveLimiterHint : 0
; COMPUTE_PGM_RSRC2:SCRATCH_EN: 0
; COMPUTE_PGM_RSRC2:USER_SGPR: 2
; COMPUTE_PGM_RSRC2:TRAP_HANDLER: 0
; COMPUTE_PGM_RSRC2:TGID_X_EN: 1
; COMPUTE_PGM_RSRC2:TGID_Y_EN: 0
; COMPUTE_PGM_RSRC2:TGID_Z_EN: 0
; COMPUTE_PGM_RSRC2:TIDIG_COMP_CNT: 0
; COMPUTE_PGM_RSRC3_GFX90A:ACCUM_OFFSET: 7
; COMPUTE_PGM_RSRC3_GFX90A:TG_SPLIT: 0
	.section	.text._ZN9rocsparseL44csr2gebsr_wavefront_per_row_multipass_kernelILi256ELi4ELi8ELi32EdEEv20rocsparse_direction_iiiiii21rocsparse_index_base_PKT3_PKiS7_S2_PS3_PiS9_,"axG",@progbits,_ZN9rocsparseL44csr2gebsr_wavefront_per_row_multipass_kernelILi256ELi4ELi8ELi32EdEEv20rocsparse_direction_iiiiii21rocsparse_index_base_PKT3_PKiS7_S2_PS3_PiS9_,comdat
	.globl	_ZN9rocsparseL44csr2gebsr_wavefront_per_row_multipass_kernelILi256ELi4ELi8ELi32EdEEv20rocsparse_direction_iiiiii21rocsparse_index_base_PKT3_PKiS7_S2_PS3_PiS9_ ; -- Begin function _ZN9rocsparseL44csr2gebsr_wavefront_per_row_multipass_kernelILi256ELi4ELi8ELi32EdEEv20rocsparse_direction_iiiiii21rocsparse_index_base_PKT3_PKiS7_S2_PS3_PiS9_
	.p2align	8
	.type	_ZN9rocsparseL44csr2gebsr_wavefront_per_row_multipass_kernelILi256ELi4ELi8ELi32EdEEv20rocsparse_direction_iiiiii21rocsparse_index_base_PKT3_PKiS7_S2_PS3_PiS9_,@function
_ZN9rocsparseL44csr2gebsr_wavefront_per_row_multipass_kernelILi256ELi4ELi8ELi32EdEEv20rocsparse_direction_iiiiii21rocsparse_index_base_PKT3_PKiS7_S2_PS3_PiS9_: ; @_ZN9rocsparseL44csr2gebsr_wavefront_per_row_multipass_kernelILi256ELi4ELi8ELi32EdEEv20rocsparse_direction_iiiiii21rocsparse_index_base_PKT3_PKiS7_S2_PS3_PiS9_
; %bb.0:
	s_load_dwordx2 s[14:15], s[0:1], 0x0
	s_load_dwordx4 s[4:7], s[0:1], 0xc
	s_load_dword s20, s[0:1], 0x1c
	s_load_dwordx2 s[8:9], s[0:1], 0x28
	v_lshrrev_b32_e32 v12, 5, v0
	v_bfe_u32 v6, v0, 3, 2
	v_lshl_or_b32 v4, s2, 3, v12
	s_waitcnt lgkmcnt(0)
	v_mad_u64_u32 v[2:3], s[2:3], v4, s6, v[6:7]
	v_cmp_gt_i32_e64 s[2:3], s15, v2
	v_cmp_gt_i32_e32 vcc, s6, v6
	s_and_b64 s[2:3], vcc, s[2:3]
	v_mov_b32_e32 v13, 0
	v_mov_b32_e32 v8, 0
	s_and_saveexec_b64 s[10:11], s[2:3]
	s_cbranch_execz .LBB82_2
; %bb.1:
	v_ashrrev_i32_e32 v3, 31, v2
	v_lshl_add_u64 v[8:9], v[2:3], 2, s[8:9]
	global_load_dword v1, v[8:9], off
	s_waitcnt vmcnt(0)
	v_subrev_u32_e32 v8, s20, v1
.LBB82_2:
	s_or_b64 exec, exec, s[10:11]
	s_and_saveexec_b64 s[10:11], s[2:3]
	s_cbranch_execz .LBB82_4
; %bb.3:
	v_ashrrev_i32_e32 v3, 31, v2
	v_lshl_add_u64 v[2:3], v[2:3], 2, s[8:9]
	global_load_dword v1, v[2:3], off offset:4
	s_waitcnt vmcnt(0)
	v_subrev_u32_e32 v13, s20, v1
.LBB82_4:
	s_or_b64 exec, exec, s[10:11]
	s_load_dword s21, s[0:1], 0x38
	v_cmp_gt_i32_e64 s[2:3], s4, v4
	v_mov_b32_e32 v2, 0
	s_and_saveexec_b64 s[8:9], s[2:3]
	s_cbranch_execz .LBB82_6
; %bb.5:
	s_load_dwordx2 s[2:3], s[0:1], 0x48
	v_ashrrev_i32_e32 v5, 31, v4
	s_waitcnt lgkmcnt(0)
	v_lshl_add_u64 v[2:3], v[4:5], 2, s[2:3]
	global_load_dword v1, v[2:3], off
	s_waitcnt vmcnt(0)
	v_subrev_u32_e32 v2, s21, v1
.LBB82_6:
	s_or_b64 exec, exec, s[8:9]
	s_cmp_lt_i32 s5, 1
	s_cbranch_scc1 .LBB82_21
; %bb.7:
	s_load_dwordx2 s[2:3], s[0:1], 0x20
	s_load_dwordx2 s[8:9], s[0:1], 0x50
	;; [unrolled: 1-line block ×4, first 2 shown]
	v_and_b32_e32 v4, 7, v0
	v_lshlrev_b32_e32 v10, 3, v6
	s_movk_i32 s0, 0xe0
	v_and_or_b32 v14, v0, s0, v10
	v_cmp_gt_u32_e64 s[0:1], s7, v4
	s_and_b64 s[12:13], vcc, s[0:1]
	s_cmp_eq_u32 s14, 0
	s_cselect_b64 vcc, -1, 0
	s_abs_i32 s4, s7
	v_cvt_f32_u32_e32 v9, s4
	v_mbcnt_lo_u32_b32 v0, -1, 0
	v_mbcnt_hi_u32_b32 v0, -1, v0
	v_lshlrev_b32_e32 v3, 2, v0
	v_rcp_iflag_f32_e32 v9, v9
	v_mov_b32_e32 v5, 0
	v_or_b32_e32 v15, 28, v3
	v_or_b32_e32 v0, v14, v4
	;; [unrolled: 1-line block ×3, first 2 shown]
	v_mul_f32_e32 v3, 0x4f7ffffe, v9
	v_lshlrev_b32_e32 v16, 3, v0
	v_mul_lo_u32 v0, v4, s6
	v_mov_b32_e32 v1, v5
	v_mul_lo_u32 v6, v6, s7
	v_cvt_u32_f32_e32 v3, v3
	s_waitcnt lgkmcnt(0)
	v_lshl_add_u64 v[0:1], v[0:1], 3, s[16:17]
	v_mov_b32_e32 v11, v5
	v_ashrrev_i32_e32 v7, 31, v6
	s_ashr_i32 s22, s7, 31
	v_lshl_add_u64 v[0:1], v[0:1], 0, v[10:11]
	v_lshl_add_u64 v[6:7], v[6:7], 3, s[16:17]
	v_lshlrev_b32_e32 v10, 3, v4
	s_mul_hi_u32 s0, s7, s6
	s_mul_i32 s1, s22, s6
	v_lshl_add_u64 v[6:7], v[6:7], 0, v[10:11]
	s_add_i32 s23, s0, s1
	s_sub_i32 s0, 0, s4
	v_cndmask_b32_e32 v0, v0, v6, vcc
	v_mul_lo_u32 v6, s0, v3
	v_mul_hi_u32 v6, v3, v6
	s_mul_i32 s6, s7, s6
	v_cndmask_b32_e32 v1, v1, v7, vcc
	v_add_u32_e32 v18, v3, v6
	s_mov_b64 s[14:15], 0
	v_mov_b32_e32 v6, v5
	v_mov_b32_e32 v7, v5
	;; [unrolled: 1-line block ×4, first 2 shown]
	s_branch .LBB82_10
.LBB82_8:                               ;   in Loop: Header=BB82_10 Depth=1
	s_or_b64 exec, exec, s[16:17]
	v_mov_b32_e32 v9, 1
.LBB82_9:                               ;   in Loop: Header=BB82_10 Depth=1
	s_or_b64 exec, exec, s[0:1]
	v_mov_b32_dpp v3, v20 row_shr:1 row_mask:0xf bank_mask:0xf
	v_min_i32_e32 v3, v3, v20
	v_add_u32_e32 v2, v9, v2
	s_waitcnt lgkmcnt(0)
	v_mov_b32_dpp v10, v3 row_shr:2 row_mask:0xf bank_mask:0xf
	v_min_i32_e32 v3, v10, v3
	s_nop 1
	v_mov_b32_dpp v10, v3 row_shr:4 row_mask:0xf bank_mask:0xe
	v_min_i32_e32 v3, v10, v3
	s_nop 1
	;; [unrolled: 3-line block ×3, first 2 shown]
	v_mov_b32_dpp v10, v3 row_bcast:15 row_mask:0xa bank_mask:0xf
	v_min_i32_e32 v3, v10, v3
	ds_bpermute_b32 v3, v17, v3
	s_waitcnt lgkmcnt(0)
	v_cmp_le_i32_e32 vcc, s5, v3
	s_or_b64 s[14:15], vcc, s[14:15]
	s_andn2_b64 exec, exec, s[14:15]
	s_cbranch_execz .LBB82_21
.LBB82_10:                              ; =>This Loop Header: Depth=1
                                        ;     Child Loop BB82_13 Depth 2
	v_add_u32_e32 v21, v8, v4
	v_cmp_lt_i32_e32 vcc, v21, v13
	v_mov_b32_e32 v20, s5
	v_mov_b32_e32 v23, v13
	ds_write_b8 v12, v5 offset:2048
	ds_write_b64 v16, v[6:7]
	s_waitcnt lgkmcnt(0)
	s_and_saveexec_b64 s[16:17], vcc
	s_cbranch_execz .LBB82_18
; %bb.11:                               ;   in Loop: Header=BB82_10 Depth=1
	v_ashrrev_i32_e32 v9, 31, v8
	v_lshl_add_u64 v[10:11], v[4:5], 0, v[8:9]
	v_mul_lo_u32 v22, v3, s7
	v_lshl_add_u64 v[8:9], v[10:11], 2, s[10:11]
	v_lshl_add_u64 v[10:11], v[10:11], 3, s[2:3]
	s_mov_b64 s[18:19], 0
	v_mov_b32_e32 v20, s5
	v_mov_b32_e32 v23, v13
	s_branch .LBB82_13
.LBB82_12:                              ;   in Loop: Header=BB82_13 Depth=2
	s_or_b64 exec, exec, s[0:1]
	v_add_u32_e32 v21, 8, v21
	v_cmp_ge_i32_e64 s[0:1], v21, v13
	s_xor_b64 s[24:25], vcc, -1
	s_or_b64 s[0:1], s[24:25], s[0:1]
	s_and_b64 s[0:1], exec, s[0:1]
	v_lshl_add_u64 v[8:9], v[8:9], 0, 32
	s_or_b64 s[18:19], s[0:1], s[18:19]
	v_lshl_add_u64 v[10:11], v[10:11], 0, 64
	s_andn2_b64 exec, exec, s[18:19]
	s_cbranch_execz .LBB82_17
.LBB82_13:                              ;   Parent Loop BB82_10 Depth=1
                                        ; =>  This Inner Loop Header: Depth=2
	global_load_dword v24, v[8:9], off
	s_waitcnt vmcnt(0)
	v_subrev_u32_e32 v24, s20, v24
	v_sub_u32_e32 v26, 0, v24
	v_max_i32_e32 v26, v24, v26
	v_mul_hi_u32 v27, v26, v18
	v_mul_lo_u32 v28, v27, s4
	v_sub_u32_e32 v26, v26, v28
	v_add_u32_e32 v29, 1, v27
	v_cmp_le_u32_e32 vcc, s4, v26
	v_subrev_u32_e32 v28, s4, v26
	v_ashrrev_i32_e32 v25, 31, v24
	v_cndmask_b32_e32 v27, v27, v29, vcc
	v_cndmask_b32_e32 v26, v26, v28, vcc
	v_add_u32_e32 v28, 1, v27
	v_cmp_le_u32_e32 vcc, s4, v26
	v_xor_b32_e32 v25, s22, v25
	s_nop 0
	v_cndmask_b32_e32 v26, v27, v28, vcc
	v_xor_b32_e32 v26, v26, v25
	v_sub_u32_e32 v26, v26, v25
	v_cmp_eq_u32_e32 vcc, v26, v3
	v_cmp_ne_u32_e64 s[0:1], v26, v3
	v_mov_b32_e32 v25, v23
	s_and_saveexec_b64 s[24:25], s[0:1]
	s_xor_b64 s[0:1], exec, s[24:25]
; %bb.14:                               ;   in Loop: Header=BB82_13 Depth=2
	v_min_i32_e32 v20, v26, v20
                                        ; implicit-def: $vgpr24
                                        ; implicit-def: $vgpr25
; %bb.15:                               ;   in Loop: Header=BB82_13 Depth=2
	s_or_saveexec_b64 s[0:1], s[0:1]
	v_mov_b32_e32 v23, v21
	s_xor_b64 exec, exec, s[0:1]
	s_cbranch_execz .LBB82_12
; %bb.16:                               ;   in Loop: Header=BB82_13 Depth=2
	global_load_dwordx2 v[26:27], v[10:11], off
	v_sub_u32_e32 v23, v24, v22
	v_add_lshl_u32 v23, v14, v23, 3
	ds_write_b8 v12, v19 offset:2048
	s_waitcnt vmcnt(0)
	ds_write_b64 v23, v[26:27]
	v_mov_b32_e32 v23, v25
	s_branch .LBB82_12
.LBB82_17:                              ;   in Loop: Header=BB82_10 Depth=1
	s_or_b64 exec, exec, s[18:19]
.LBB82_18:                              ;   in Loop: Header=BB82_10 Depth=1
	s_or_b64 exec, exec, s[16:17]
	v_mov_b32_dpp v8, v23 row_shr:1 row_mask:0xf bank_mask:0xf
	v_min_i32_e32 v8, v8, v23
	s_waitcnt lgkmcnt(0)
	s_nop 0
	v_mov_b32_dpp v9, v8 row_shr:2 row_mask:0xf bank_mask:0xf
	v_min_i32_e32 v8, v9, v8
	ds_read_u8 v9, v12 offset:2048
	s_waitcnt lgkmcnt(0)
	v_and_b32_e32 v9, 1, v9
	v_mov_b32_dpp v10, v8 row_shr:4 row_mask:0xf bank_mask:0xe
	v_min_i32_e32 v8, v10, v8
	ds_bpermute_b32 v8, v15, v8
	v_cmp_eq_u32_e32 vcc, 1, v9
	v_mov_b32_e32 v9, 0
	s_and_saveexec_b64 s[0:1], vcc
	s_cbranch_execz .LBB82_9
; %bb.19:                               ;   in Loop: Header=BB82_10 Depth=1
	v_add_u32_e32 v9, s21, v3
	v_ashrrev_i32_e32 v3, 31, v2
	v_lshl_add_u64 v[10:11], v[2:3], 2, s[8:9]
	global_store_dword v[10:11], v9, off
	s_and_saveexec_b64 s[16:17], s[12:13]
	s_cbranch_execz .LBB82_8
; %bb.20:                               ;   in Loop: Header=BB82_10 Depth=1
	ds_read_b64 v[10:11], v16
	v_mul_lo_u32 v9, s23, v2
	v_mul_lo_u32 v3, s6, v3
	v_mad_u64_u32 v[22:23], s[18:19], s6, v2, 0
	v_add3_u32 v23, v23, v3, v9
	v_lshl_add_u64 v[22:23], v[22:23], 3, v[0:1]
	s_waitcnt lgkmcnt(0)
	global_store_dwordx2 v[22:23], v[10:11], off
	s_branch .LBB82_8
.LBB82_21:
	s_endpgm
	.section	.rodata,"a",@progbits
	.p2align	6, 0x0
	.amdhsa_kernel _ZN9rocsparseL44csr2gebsr_wavefront_per_row_multipass_kernelILi256ELi4ELi8ELi32EdEEv20rocsparse_direction_iiiiii21rocsparse_index_base_PKT3_PKiS7_S2_PS3_PiS9_
		.amdhsa_group_segment_fixed_size 2056
		.amdhsa_private_segment_fixed_size 0
		.amdhsa_kernarg_size 88
		.amdhsa_user_sgpr_count 2
		.amdhsa_user_sgpr_dispatch_ptr 0
		.amdhsa_user_sgpr_queue_ptr 0
		.amdhsa_user_sgpr_kernarg_segment_ptr 1
		.amdhsa_user_sgpr_dispatch_id 0
		.amdhsa_user_sgpr_kernarg_preload_length 0
		.amdhsa_user_sgpr_kernarg_preload_offset 0
		.amdhsa_user_sgpr_private_segment_size 0
		.amdhsa_uses_dynamic_stack 0
		.amdhsa_enable_private_segment 0
		.amdhsa_system_sgpr_workgroup_id_x 1
		.amdhsa_system_sgpr_workgroup_id_y 0
		.amdhsa_system_sgpr_workgroup_id_z 0
		.amdhsa_system_sgpr_workgroup_info 0
		.amdhsa_system_vgpr_workitem_id 0
		.amdhsa_next_free_vgpr 30
		.amdhsa_next_free_sgpr 26
		.amdhsa_accum_offset 32
		.amdhsa_reserve_vcc 1
		.amdhsa_float_round_mode_32 0
		.amdhsa_float_round_mode_16_64 0
		.amdhsa_float_denorm_mode_32 3
		.amdhsa_float_denorm_mode_16_64 3
		.amdhsa_dx10_clamp 1
		.amdhsa_ieee_mode 1
		.amdhsa_fp16_overflow 0
		.amdhsa_tg_split 0
		.amdhsa_exception_fp_ieee_invalid_op 0
		.amdhsa_exception_fp_denorm_src 0
		.amdhsa_exception_fp_ieee_div_zero 0
		.amdhsa_exception_fp_ieee_overflow 0
		.amdhsa_exception_fp_ieee_underflow 0
		.amdhsa_exception_fp_ieee_inexact 0
		.amdhsa_exception_int_div_zero 0
	.end_amdhsa_kernel
	.section	.text._ZN9rocsparseL44csr2gebsr_wavefront_per_row_multipass_kernelILi256ELi4ELi8ELi32EdEEv20rocsparse_direction_iiiiii21rocsparse_index_base_PKT3_PKiS7_S2_PS3_PiS9_,"axG",@progbits,_ZN9rocsparseL44csr2gebsr_wavefront_per_row_multipass_kernelILi256ELi4ELi8ELi32EdEEv20rocsparse_direction_iiiiii21rocsparse_index_base_PKT3_PKiS7_S2_PS3_PiS9_,comdat
.Lfunc_end82:
	.size	_ZN9rocsparseL44csr2gebsr_wavefront_per_row_multipass_kernelILi256ELi4ELi8ELi32EdEEv20rocsparse_direction_iiiiii21rocsparse_index_base_PKT3_PKiS7_S2_PS3_PiS9_, .Lfunc_end82-_ZN9rocsparseL44csr2gebsr_wavefront_per_row_multipass_kernelILi256ELi4ELi8ELi32EdEEv20rocsparse_direction_iiiiii21rocsparse_index_base_PKT3_PKiS7_S2_PS3_PiS9_
                                        ; -- End function
	.section	.AMDGPU.csdata,"",@progbits
; Kernel info:
; codeLenInByte = 1184
; NumSgprs: 32
; NumVgprs: 30
; NumAgprs: 0
; TotalNumVgprs: 30
; ScratchSize: 0
; MemoryBound: 0
; FloatMode: 240
; IeeeMode: 1
; LDSByteSize: 2056 bytes/workgroup (compile time only)
; SGPRBlocks: 3
; VGPRBlocks: 3
; NumSGPRsForWavesPerEU: 32
; NumVGPRsForWavesPerEU: 30
; AccumOffset: 32
; Occupancy: 8
; WaveLimiterHint : 0
; COMPUTE_PGM_RSRC2:SCRATCH_EN: 0
; COMPUTE_PGM_RSRC2:USER_SGPR: 2
; COMPUTE_PGM_RSRC2:TRAP_HANDLER: 0
; COMPUTE_PGM_RSRC2:TGID_X_EN: 1
; COMPUTE_PGM_RSRC2:TGID_Y_EN: 0
; COMPUTE_PGM_RSRC2:TGID_Z_EN: 0
; COMPUTE_PGM_RSRC2:TIDIG_COMP_CNT: 0
; COMPUTE_PGM_RSRC3_GFX90A:ACCUM_OFFSET: 7
; COMPUTE_PGM_RSRC3_GFX90A:TG_SPLIT: 0
	.section	.text._ZN9rocsparseL44csr2gebsr_wavefront_per_row_multipass_kernelILi256ELi4ELi16ELi64EdEEv20rocsparse_direction_iiiiii21rocsparse_index_base_PKT3_PKiS7_S2_PS3_PiS9_,"axG",@progbits,_ZN9rocsparseL44csr2gebsr_wavefront_per_row_multipass_kernelILi256ELi4ELi16ELi64EdEEv20rocsparse_direction_iiiiii21rocsparse_index_base_PKT3_PKiS7_S2_PS3_PiS9_,comdat
	.globl	_ZN9rocsparseL44csr2gebsr_wavefront_per_row_multipass_kernelILi256ELi4ELi16ELi64EdEEv20rocsparse_direction_iiiiii21rocsparse_index_base_PKT3_PKiS7_S2_PS3_PiS9_ ; -- Begin function _ZN9rocsparseL44csr2gebsr_wavefront_per_row_multipass_kernelILi256ELi4ELi16ELi64EdEEv20rocsparse_direction_iiiiii21rocsparse_index_base_PKT3_PKiS7_S2_PS3_PiS9_
	.p2align	8
	.type	_ZN9rocsparseL44csr2gebsr_wavefront_per_row_multipass_kernelILi256ELi4ELi16ELi64EdEEv20rocsparse_direction_iiiiii21rocsparse_index_base_PKT3_PKiS7_S2_PS3_PiS9_,@function
_ZN9rocsparseL44csr2gebsr_wavefront_per_row_multipass_kernelILi256ELi4ELi16ELi64EdEEv20rocsparse_direction_iiiiii21rocsparse_index_base_PKT3_PKiS7_S2_PS3_PiS9_: ; @_ZN9rocsparseL44csr2gebsr_wavefront_per_row_multipass_kernelILi256ELi4ELi16ELi64EdEEv20rocsparse_direction_iiiiii21rocsparse_index_base_PKT3_PKiS7_S2_PS3_PiS9_
; %bb.0:
	s_load_dwordx2 s[14:15], s[0:1], 0x0
	s_load_dwordx4 s[4:7], s[0:1], 0xc
	s_load_dword s22, s[0:1], 0x1c
	s_load_dwordx2 s[8:9], s[0:1], 0x28
	v_lshrrev_b32_e32 v12, 6, v0
	v_bfe_u32 v6, v0, 4, 2
	v_lshl_or_b32 v4, s2, 2, v12
	s_waitcnt lgkmcnt(0)
	v_mad_u64_u32 v[2:3], s[2:3], v4, s6, v[6:7]
	v_cmp_gt_i32_e64 s[2:3], s15, v2
	v_cmp_gt_i32_e32 vcc, s6, v6
	s_and_b64 s[2:3], vcc, s[2:3]
	v_mov_b32_e32 v13, 0
	v_mov_b32_e32 v8, 0
	s_and_saveexec_b64 s[10:11], s[2:3]
	s_cbranch_execz .LBB83_2
; %bb.1:
	v_ashrrev_i32_e32 v3, 31, v2
	v_lshl_add_u64 v[8:9], v[2:3], 2, s[8:9]
	global_load_dword v1, v[8:9], off
	s_waitcnt vmcnt(0)
	v_subrev_u32_e32 v8, s22, v1
.LBB83_2:
	s_or_b64 exec, exec, s[10:11]
	s_and_saveexec_b64 s[10:11], s[2:3]
	s_cbranch_execz .LBB83_4
; %bb.3:
	v_ashrrev_i32_e32 v3, 31, v2
	v_lshl_add_u64 v[2:3], v[2:3], 2, s[8:9]
	global_load_dword v1, v[2:3], off offset:4
	s_waitcnt vmcnt(0)
	v_subrev_u32_e32 v13, s22, v1
.LBB83_4:
	s_or_b64 exec, exec, s[10:11]
	s_load_dword s23, s[0:1], 0x38
	v_cmp_gt_i32_e64 s[2:3], s4, v4
	v_mov_b32_e32 v2, 0
	s_and_saveexec_b64 s[8:9], s[2:3]
	s_cbranch_execz .LBB83_6
; %bb.5:
	s_load_dwordx2 s[2:3], s[0:1], 0x48
	v_ashrrev_i32_e32 v5, 31, v4
	s_waitcnt lgkmcnt(0)
	v_lshl_add_u64 v[2:3], v[4:5], 2, s[2:3]
	global_load_dword v1, v[2:3], off
	s_waitcnt vmcnt(0)
	v_subrev_u32_e32 v2, s23, v1
.LBB83_6:
	s_or_b64 exec, exec, s[8:9]
	s_cmp_lt_i32 s5, 1
	s_cbranch_scc1 .LBB83_21
; %bb.7:
	v_and_b32_e32 v4, 15, v0
	s_load_dwordx2 s[2:3], s[0:1], 0x20
	s_load_dwordx2 s[8:9], s[0:1], 0x50
	;; [unrolled: 1-line block ×4, first 2 shown]
	v_cmp_gt_u32_e64 s[0:1], s7, v4
	s_and_b64 s[12:13], vcc, s[0:1]
	s_cmp_eq_u32 s14, 0
	s_cselect_b64 vcc, -1, 0
	s_abs_i32 s4, s7
	v_cvt_f32_u32_e32 v9, s4
	v_and_b32_e32 v0, 0xc0, v0
	v_lshl_or_b32 v14, v6, 4, v0
	v_mbcnt_lo_u32_b32 v0, -1, 0
	v_rcp_iflag_f32_e32 v9, v9
	v_mbcnt_hi_u32_b32 v0, -1, v0
	v_lshlrev_b32_e32 v3, 2, v0
	v_mov_b32_e32 v5, 0
	v_or_b32_e32 v15, 60, v3
	v_or_b32_e32 v0, v14, v4
	;; [unrolled: 1-line block ×3, first 2 shown]
	v_mul_f32_e32 v3, 0x4f7ffffe, v9
	v_lshlrev_b32_e32 v16, 3, v0
	v_mul_lo_u32 v0, v4, s6
	v_mov_b32_e32 v1, v5
	v_lshlrev_b32_e32 v10, 3, v6
	v_mul_lo_u32 v6, v6, s7
	v_cvt_u32_f32_e32 v3, v3
	s_waitcnt lgkmcnt(0)
	v_lshl_add_u64 v[0:1], v[0:1], 3, s[16:17]
	v_mov_b32_e32 v11, v5
	v_ashrrev_i32_e32 v7, 31, v6
	s_ashr_i32 s24, s7, 31
	v_lshl_add_u64 v[0:1], v[0:1], 0, v[10:11]
	v_lshl_add_u64 v[6:7], v[6:7], 3, s[16:17]
	v_lshlrev_b32_e32 v10, 3, v4
	s_mul_hi_u32 s0, s7, s6
	s_mul_i32 s1, s24, s6
	v_lshl_add_u64 v[6:7], v[6:7], 0, v[10:11]
	s_add_i32 s25, s0, s1
	s_sub_i32 s0, 0, s4
	v_cndmask_b32_e32 v0, v0, v6, vcc
	v_mul_lo_u32 v6, s0, v3
	v_mul_hi_u32 v6, v3, v6
	s_mul_i32 s6, s7, s6
	v_cndmask_b32_e32 v1, v1, v7, vcc
	v_add_u32_e32 v18, v3, v6
	s_mov_b64 s[14:15], 0
	v_mov_b32_e32 v6, v5
	v_mov_b32_e32 v7, v5
	s_mov_b64 s[16:17], 0x80
	v_mov_b32_e32 v19, 1
	v_mov_b32_e32 v3, v5
	s_branch .LBB83_10
.LBB83_8:                               ;   in Loop: Header=BB83_10 Depth=1
	s_or_b64 exec, exec, s[18:19]
	v_mov_b32_e32 v9, 1
.LBB83_9:                               ;   in Loop: Header=BB83_10 Depth=1
	s_or_b64 exec, exec, s[0:1]
	v_mov_b32_dpp v3, v20 row_shr:1 row_mask:0xf bank_mask:0xf
	v_min_i32_e32 v3, v3, v20
	v_add_u32_e32 v2, v9, v2
	s_waitcnt lgkmcnt(0)
	v_mov_b32_dpp v10, v3 row_shr:2 row_mask:0xf bank_mask:0xf
	v_min_i32_e32 v3, v10, v3
	s_nop 1
	v_mov_b32_dpp v10, v3 row_shr:4 row_mask:0xf bank_mask:0xe
	v_min_i32_e32 v3, v10, v3
	s_nop 1
	;; [unrolled: 3-line block ×3, first 2 shown]
	v_mov_b32_dpp v10, v3 row_bcast:15 row_mask:0xa bank_mask:0xf
	v_min_i32_e32 v3, v10, v3
	s_nop 1
	v_mov_b32_dpp v10, v3 row_bcast:31 row_mask:0xc bank_mask:0xf
	v_min_i32_e32 v3, v10, v3
	ds_bpermute_b32 v3, v17, v3
	s_waitcnt lgkmcnt(0)
	v_cmp_le_i32_e32 vcc, s5, v3
	s_or_b64 s[14:15], vcc, s[14:15]
	s_andn2_b64 exec, exec, s[14:15]
	s_cbranch_execz .LBB83_21
.LBB83_10:                              ; =>This Loop Header: Depth=1
                                        ;     Child Loop BB83_13 Depth 2
	v_add_u32_e32 v21, v8, v4
	v_cmp_lt_i32_e32 vcc, v21, v13
	v_mov_b32_e32 v20, s5
	v_mov_b32_e32 v23, v13
	ds_write_b8 v12, v5 offset:2048
	ds_write_b64 v16, v[6:7]
	s_waitcnt lgkmcnt(0)
	s_and_saveexec_b64 s[18:19], vcc
	s_cbranch_execz .LBB83_18
; %bb.11:                               ;   in Loop: Header=BB83_10 Depth=1
	v_ashrrev_i32_e32 v9, 31, v8
	v_lshl_add_u64 v[10:11], v[4:5], 0, v[8:9]
	v_mul_lo_u32 v22, v3, s7
	v_lshl_add_u64 v[8:9], v[10:11], 2, s[10:11]
	v_lshl_add_u64 v[10:11], v[10:11], 3, s[2:3]
	s_mov_b64 s[20:21], 0
	v_mov_b32_e32 v20, s5
	v_mov_b32_e32 v23, v13
	s_branch .LBB83_13
.LBB83_12:                              ;   in Loop: Header=BB83_13 Depth=2
	s_or_b64 exec, exec, s[0:1]
	v_add_u32_e32 v21, 16, v21
	v_cmp_ge_i32_e64 s[0:1], v21, v13
	s_xor_b64 s[26:27], vcc, -1
	s_or_b64 s[0:1], s[26:27], s[0:1]
	s_and_b64 s[0:1], exec, s[0:1]
	v_lshl_add_u64 v[8:9], v[8:9], 0, 64
	s_or_b64 s[20:21], s[0:1], s[20:21]
	v_lshl_add_u64 v[10:11], v[10:11], 0, s[16:17]
	s_andn2_b64 exec, exec, s[20:21]
	s_cbranch_execz .LBB83_17
.LBB83_13:                              ;   Parent Loop BB83_10 Depth=1
                                        ; =>  This Inner Loop Header: Depth=2
	global_load_dword v24, v[8:9], off
	s_waitcnt vmcnt(0)
	v_subrev_u32_e32 v24, s22, v24
	v_sub_u32_e32 v26, 0, v24
	v_max_i32_e32 v26, v24, v26
	v_mul_hi_u32 v27, v26, v18
	v_mul_lo_u32 v28, v27, s4
	v_sub_u32_e32 v26, v26, v28
	v_add_u32_e32 v29, 1, v27
	v_cmp_le_u32_e32 vcc, s4, v26
	v_subrev_u32_e32 v28, s4, v26
	v_ashrrev_i32_e32 v25, 31, v24
	v_cndmask_b32_e32 v27, v27, v29, vcc
	v_cndmask_b32_e32 v26, v26, v28, vcc
	v_add_u32_e32 v28, 1, v27
	v_cmp_le_u32_e32 vcc, s4, v26
	v_xor_b32_e32 v25, s24, v25
	s_nop 0
	v_cndmask_b32_e32 v26, v27, v28, vcc
	v_xor_b32_e32 v26, v26, v25
	v_sub_u32_e32 v26, v26, v25
	v_cmp_eq_u32_e32 vcc, v26, v3
	v_cmp_ne_u32_e64 s[0:1], v26, v3
	v_mov_b32_e32 v25, v23
	s_and_saveexec_b64 s[26:27], s[0:1]
	s_xor_b64 s[0:1], exec, s[26:27]
; %bb.14:                               ;   in Loop: Header=BB83_13 Depth=2
	v_min_i32_e32 v20, v26, v20
                                        ; implicit-def: $vgpr24
                                        ; implicit-def: $vgpr25
; %bb.15:                               ;   in Loop: Header=BB83_13 Depth=2
	s_or_saveexec_b64 s[0:1], s[0:1]
	v_mov_b32_e32 v23, v21
	s_xor_b64 exec, exec, s[0:1]
	s_cbranch_execz .LBB83_12
; %bb.16:                               ;   in Loop: Header=BB83_13 Depth=2
	global_load_dwordx2 v[26:27], v[10:11], off
	v_sub_u32_e32 v23, v24, v22
	v_add_lshl_u32 v23, v14, v23, 3
	ds_write_b8 v12, v19 offset:2048
	s_waitcnt vmcnt(0)
	ds_write_b64 v23, v[26:27]
	v_mov_b32_e32 v23, v25
	s_branch .LBB83_12
.LBB83_17:                              ;   in Loop: Header=BB83_10 Depth=1
	s_or_b64 exec, exec, s[20:21]
.LBB83_18:                              ;   in Loop: Header=BB83_10 Depth=1
	s_or_b64 exec, exec, s[18:19]
	v_mov_b32_dpp v8, v23 row_shr:1 row_mask:0xf bank_mask:0xf
	v_min_i32_e32 v8, v8, v23
	s_waitcnt lgkmcnt(0)
	s_nop 0
	v_mov_b32_dpp v9, v8 row_shr:2 row_mask:0xf bank_mask:0xf
	v_min_i32_e32 v8, v9, v8
	s_nop 1
	v_mov_b32_dpp v9, v8 row_shr:4 row_mask:0xf bank_mask:0xe
	v_min_i32_e32 v8, v9, v8
	ds_read_u8 v9, v12 offset:2048
	s_waitcnt lgkmcnt(0)
	v_and_b32_e32 v9, 1, v9
	v_mov_b32_dpp v10, v8 row_shr:8 row_mask:0xf bank_mask:0xc
	v_min_i32_e32 v8, v10, v8
	ds_bpermute_b32 v8, v15, v8
	v_cmp_eq_u32_e32 vcc, 1, v9
	v_mov_b32_e32 v9, 0
	s_and_saveexec_b64 s[0:1], vcc
	s_cbranch_execz .LBB83_9
; %bb.19:                               ;   in Loop: Header=BB83_10 Depth=1
	v_add_u32_e32 v9, s23, v3
	v_ashrrev_i32_e32 v3, 31, v2
	v_lshl_add_u64 v[10:11], v[2:3], 2, s[8:9]
	global_store_dword v[10:11], v9, off
	s_and_saveexec_b64 s[18:19], s[12:13]
	s_cbranch_execz .LBB83_8
; %bb.20:                               ;   in Loop: Header=BB83_10 Depth=1
	ds_read_b64 v[10:11], v16
	v_mul_lo_u32 v9, s25, v2
	v_mul_lo_u32 v3, s6, v3
	v_mad_u64_u32 v[22:23], s[20:21], s6, v2, 0
	v_add3_u32 v23, v23, v3, v9
	v_lshl_add_u64 v[22:23], v[22:23], 3, v[0:1]
	s_waitcnt lgkmcnt(0)
	global_store_dwordx2 v[22:23], v[10:11], off
	s_branch .LBB83_8
.LBB83_21:
	s_endpgm
	.section	.rodata,"a",@progbits
	.p2align	6, 0x0
	.amdhsa_kernel _ZN9rocsparseL44csr2gebsr_wavefront_per_row_multipass_kernelILi256ELi4ELi16ELi64EdEEv20rocsparse_direction_iiiiii21rocsparse_index_base_PKT3_PKiS7_S2_PS3_PiS9_
		.amdhsa_group_segment_fixed_size 2056
		.amdhsa_private_segment_fixed_size 0
		.amdhsa_kernarg_size 88
		.amdhsa_user_sgpr_count 2
		.amdhsa_user_sgpr_dispatch_ptr 0
		.amdhsa_user_sgpr_queue_ptr 0
		.amdhsa_user_sgpr_kernarg_segment_ptr 1
		.amdhsa_user_sgpr_dispatch_id 0
		.amdhsa_user_sgpr_kernarg_preload_length 0
		.amdhsa_user_sgpr_kernarg_preload_offset 0
		.amdhsa_user_sgpr_private_segment_size 0
		.amdhsa_uses_dynamic_stack 0
		.amdhsa_enable_private_segment 0
		.amdhsa_system_sgpr_workgroup_id_x 1
		.amdhsa_system_sgpr_workgroup_id_y 0
		.amdhsa_system_sgpr_workgroup_id_z 0
		.amdhsa_system_sgpr_workgroup_info 0
		.amdhsa_system_vgpr_workitem_id 0
		.amdhsa_next_free_vgpr 30
		.amdhsa_next_free_sgpr 28
		.amdhsa_accum_offset 32
		.amdhsa_reserve_vcc 1
		.amdhsa_float_round_mode_32 0
		.amdhsa_float_round_mode_16_64 0
		.amdhsa_float_denorm_mode_32 3
		.amdhsa_float_denorm_mode_16_64 3
		.amdhsa_dx10_clamp 1
		.amdhsa_ieee_mode 1
		.amdhsa_fp16_overflow 0
		.amdhsa_tg_split 0
		.amdhsa_exception_fp_ieee_invalid_op 0
		.amdhsa_exception_fp_denorm_src 0
		.amdhsa_exception_fp_ieee_div_zero 0
		.amdhsa_exception_fp_ieee_overflow 0
		.amdhsa_exception_fp_ieee_underflow 0
		.amdhsa_exception_fp_ieee_inexact 0
		.amdhsa_exception_int_div_zero 0
	.end_amdhsa_kernel
	.section	.text._ZN9rocsparseL44csr2gebsr_wavefront_per_row_multipass_kernelILi256ELi4ELi16ELi64EdEEv20rocsparse_direction_iiiiii21rocsparse_index_base_PKT3_PKiS7_S2_PS3_PiS9_,"axG",@progbits,_ZN9rocsparseL44csr2gebsr_wavefront_per_row_multipass_kernelILi256ELi4ELi16ELi64EdEEv20rocsparse_direction_iiiiii21rocsparse_index_base_PKT3_PKiS7_S2_PS3_PiS9_,comdat
.Lfunc_end83:
	.size	_ZN9rocsparseL44csr2gebsr_wavefront_per_row_multipass_kernelILi256ELi4ELi16ELi64EdEEv20rocsparse_direction_iiiiii21rocsparse_index_base_PKT3_PKiS7_S2_PS3_PiS9_, .Lfunc_end83-_ZN9rocsparseL44csr2gebsr_wavefront_per_row_multipass_kernelILi256ELi4ELi16ELi64EdEEv20rocsparse_direction_iiiiii21rocsparse_index_base_PKT3_PKiS7_S2_PS3_PiS9_
                                        ; -- End function
	.section	.AMDGPU.csdata,"",@progbits
; Kernel info:
; codeLenInByte = 1228
; NumSgprs: 34
; NumVgprs: 30
; NumAgprs: 0
; TotalNumVgprs: 30
; ScratchSize: 0
; MemoryBound: 0
; FloatMode: 240
; IeeeMode: 1
; LDSByteSize: 2056 bytes/workgroup (compile time only)
; SGPRBlocks: 4
; VGPRBlocks: 3
; NumSGPRsForWavesPerEU: 34
; NumVGPRsForWavesPerEU: 30
; AccumOffset: 32
; Occupancy: 8
; WaveLimiterHint : 0
; COMPUTE_PGM_RSRC2:SCRATCH_EN: 0
; COMPUTE_PGM_RSRC2:USER_SGPR: 2
; COMPUTE_PGM_RSRC2:TRAP_HANDLER: 0
; COMPUTE_PGM_RSRC2:TGID_X_EN: 1
; COMPUTE_PGM_RSRC2:TGID_Y_EN: 0
; COMPUTE_PGM_RSRC2:TGID_Z_EN: 0
; COMPUTE_PGM_RSRC2:TIDIG_COMP_CNT: 0
; COMPUTE_PGM_RSRC3_GFX90A:ACCUM_OFFSET: 7
; COMPUTE_PGM_RSRC3_GFX90A:TG_SPLIT: 0
	.section	.text._ZN9rocsparseL44csr2gebsr_wavefront_per_row_multipass_kernelILi256ELi4ELi16ELi32EdEEv20rocsparse_direction_iiiiii21rocsparse_index_base_PKT3_PKiS7_S2_PS3_PiS9_,"axG",@progbits,_ZN9rocsparseL44csr2gebsr_wavefront_per_row_multipass_kernelILi256ELi4ELi16ELi32EdEEv20rocsparse_direction_iiiiii21rocsparse_index_base_PKT3_PKiS7_S2_PS3_PiS9_,comdat
	.globl	_ZN9rocsparseL44csr2gebsr_wavefront_per_row_multipass_kernelILi256ELi4ELi16ELi32EdEEv20rocsparse_direction_iiiiii21rocsparse_index_base_PKT3_PKiS7_S2_PS3_PiS9_ ; -- Begin function _ZN9rocsparseL44csr2gebsr_wavefront_per_row_multipass_kernelILi256ELi4ELi16ELi32EdEEv20rocsparse_direction_iiiiii21rocsparse_index_base_PKT3_PKiS7_S2_PS3_PiS9_
	.p2align	8
	.type	_ZN9rocsparseL44csr2gebsr_wavefront_per_row_multipass_kernelILi256ELi4ELi16ELi32EdEEv20rocsparse_direction_iiiiii21rocsparse_index_base_PKT3_PKiS7_S2_PS3_PiS9_,@function
_ZN9rocsparseL44csr2gebsr_wavefront_per_row_multipass_kernelILi256ELi4ELi16ELi32EdEEv20rocsparse_direction_iiiiii21rocsparse_index_base_PKT3_PKiS7_S2_PS3_PiS9_: ; @_ZN9rocsparseL44csr2gebsr_wavefront_per_row_multipass_kernelILi256ELi4ELi16ELi32EdEEv20rocsparse_direction_iiiiii21rocsparse_index_base_PKT3_PKiS7_S2_PS3_PiS9_
; %bb.0:
	s_load_dwordx2 s[14:15], s[0:1], 0x0
	s_load_dwordx4 s[4:7], s[0:1], 0xc
	s_load_dword s24, s[0:1], 0x1c
	s_load_dwordx2 s[8:9], s[0:1], 0x28
	v_lshrrev_b32_e32 v18, 5, v0
	v_bfe_u32 v6, v0, 3, 2
	v_lshl_or_b32 v4, s2, 3, v18
	s_waitcnt lgkmcnt(0)
	v_mad_u64_u32 v[2:3], s[2:3], v4, s6, v[6:7]
	v_cmp_gt_i32_e64 s[2:3], s15, v2
	v_cmp_gt_i32_e32 vcc, s6, v6
	s_and_b64 s[2:3], vcc, s[2:3]
	v_mov_b32_e32 v19, 0
	v_mov_b32_e32 v16, 0
	s_and_saveexec_b64 s[10:11], s[2:3]
	s_cbranch_execz .LBB84_2
; %bb.1:
	v_ashrrev_i32_e32 v3, 31, v2
	v_lshl_add_u64 v[8:9], v[2:3], 2, s[8:9]
	global_load_dword v1, v[8:9], off
	s_waitcnt vmcnt(0)
	v_subrev_u32_e32 v16, s24, v1
.LBB84_2:
	s_or_b64 exec, exec, s[10:11]
	s_and_saveexec_b64 s[10:11], s[2:3]
	s_cbranch_execz .LBB84_4
; %bb.3:
	v_ashrrev_i32_e32 v3, 31, v2
	v_lshl_add_u64 v[2:3], v[2:3], 2, s[8:9]
	global_load_dword v1, v[2:3], off offset:4
	s_waitcnt vmcnt(0)
	v_subrev_u32_e32 v19, s24, v1
.LBB84_4:
	s_or_b64 exec, exec, s[10:11]
	s_load_dword s25, s[0:1], 0x38
	v_cmp_gt_i32_e64 s[2:3], s4, v4
	v_mov_b32_e32 v2, 0
	s_and_saveexec_b64 s[8:9], s[2:3]
	s_cbranch_execz .LBB84_6
; %bb.5:
	s_load_dwordx2 s[2:3], s[0:1], 0x48
	v_ashrrev_i32_e32 v5, 31, v4
	s_waitcnt lgkmcnt(0)
	v_lshl_add_u64 v[2:3], v[4:5], 2, s[2:3]
	global_load_dword v1, v[2:3], off
	s_waitcnt vmcnt(0)
	v_subrev_u32_e32 v2, s25, v1
.LBB84_6:
	s_or_b64 exec, exec, s[8:9]
	s_cmp_lt_i32 s5, 1
	s_cbranch_scc1 .LBB84_32
; %bb.7:
	v_and_b32_e32 v20, 7, v0
	v_lshlrev_b32_e32 v0, 6, v18
	v_lshl_or_b32 v21, v6, 4, v0
	v_mbcnt_lo_u32_b32 v0, -1, 0
	v_mbcnt_hi_u32_b32 v0, -1, v0
	s_cmp_lg_u32 s14, 0
	v_lshlrev_b32_e32 v3, 2, v0
	s_cselect_b64 s[14:15], -1, 0
	s_abs_i32 s28, s7
	v_or_b32_e32 v22, 28, v3
	v_or_b32_e32 v23, 0x7c, v3
	v_cvt_f32_u32_e32 v3, s28
	s_load_dwordx2 s[8:9], s[0:1], 0x20
	s_load_dwordx2 s[10:11], s[0:1], 0x50
	;; [unrolled: 1-line block ×4, first 2 shown]
	s_ashr_i32 s4, s7, 31
	s_mul_hi_u32 s0, s7, s6
	v_rcp_iflag_f32_e32 v3, v3
	s_mul_i32 s1, s4, s6
	s_add_i32 s26, s0, s1
	v_lshlrev_b32_e32 v0, 3, v6
	v_mul_f32_e32 v3, 0x4f7ffffe, v3
	v_cvt_u32_f32_e32 v3, v3
	v_mul_lo_u32 v6, v6, s7
	v_cmp_gt_u32_e64 s[0:1], s7, v20
	v_mov_b32_e32 v1, 0
	v_or_b32_e32 v8, v21, v20
	v_ashrrev_i32_e32 v7, 31, v6
	s_and_b64 s[16:17], s[0:1], vcc
	s_sub_i32 s0, 0, s28
	s_waitcnt lgkmcnt(0)
	v_lshl_add_u64 v[4:5], s[2:3], 0, v[0:1]
	v_lshl_add_u64 v[6:7], v[6:7], 3, s[2:3]
	v_lshlrev_b32_e32 v0, 3, v20
	v_lshlrev_b32_e32 v24, 3, v8
	v_or_b32_e32 v8, 8, v20
	v_mul_lo_u32 v10, s0, v3
	v_lshl_add_u64 v[6:7], v[6:7], 0, v[0:1]
	v_mul_lo_u32 v0, v20, s6
	v_cmp_gt_u32_e64 s[2:3], s7, v8
	v_mul_hi_u32 v10, v3, v10
	s_mul_i32 s27, s7, s6
	v_lshl_add_u32 v8, s6, 3, v0
	v_mov_b32_e32 v9, v1
	s_and_b64 s[2:3], vcc, s[2:3]
	v_add_u32_e32 v25, v3, v10
	v_or_b32_e32 v26, -8, v20
	s_mov_b64 s[18:19], 0
	v_mov_b32_e32 v10, v1
	v_mov_b32_e32 v11, v1
	;; [unrolled: 1-line block ×4, first 2 shown]
	s_branch .LBB84_11
.LBB84_8:                               ;   in Loop: Header=BB84_11 Depth=1
	v_mov_b32_e32 v17, s6
.LBB84_9:                               ;   in Loop: Header=BB84_11 Depth=1
	s_or_b64 exec, exec, s[20:21]
.LBB84_10:                              ;   in Loop: Header=BB84_11 Depth=1
	s_or_b64 exec, exec, s[0:1]
	v_mov_b32_dpp v3, v28 row_shr:1 row_mask:0xf bank_mask:0xf
	v_min_i32_e32 v3, v3, v28
	v_add_u32_e32 v2, v17, v2
	s_waitcnt lgkmcnt(0)
	v_mov_b32_dpp v12, v3 row_shr:2 row_mask:0xf bank_mask:0xf
	v_min_i32_e32 v3, v12, v3
	s_nop 1
	v_mov_b32_dpp v12, v3 row_shr:4 row_mask:0xf bank_mask:0xe
	v_min_i32_e32 v3, v12, v3
	s_nop 1
	;; [unrolled: 3-line block ×3, first 2 shown]
	v_mov_b32_dpp v12, v3 row_bcast:15 row_mask:0xa bank_mask:0xf
	v_min_i32_e32 v3, v12, v3
	ds_bpermute_b32 v3, v23, v3
	s_waitcnt lgkmcnt(0)
	v_cmp_le_i32_e32 vcc, s5, v3
	s_or_b64 s[18:19], vcc, s[18:19]
	s_andn2_b64 exec, exec, s[18:19]
	s_cbranch_execz .LBB84_32
.LBB84_11:                              ; =>This Loop Header: Depth=1
                                        ;     Child Loop BB84_12 Depth 2
                                        ;     Child Loop BB84_16 Depth 2
	s_mov_b64 s[0:1], 0
	v_mov_b32_e32 v12, v24
	v_mov_b32_e32 v13, v26
	ds_write_b8 v18, v1 offset:4096
.LBB84_12:                              ;   Parent Loop BB84_11 Depth=1
                                        ; =>  This Inner Loop Header: Depth=2
	v_add_co_u32_e32 v13, vcc, 8, v13
	s_xor_b64 s[20:21], vcc, -1
	s_and_b64 s[20:21], exec, s[20:21]
	ds_write_b64 v12, v[10:11]
	s_or_b64 s[0:1], s[20:21], s[0:1]
	v_add_u32_e32 v12, 64, v12
	s_andn2_b64 exec, exec, s[0:1]
	s_cbranch_execnz .LBB84_12
; %bb.13:                               ;   in Loop: Header=BB84_11 Depth=1
	s_or_b64 exec, exec, s[0:1]
	v_add_u32_e32 v12, v16, v20
	v_cmp_lt_i32_e32 vcc, v12, v19
	v_mov_b32_e32 v28, s5
	v_mov_b32_e32 v13, v19
	s_waitcnt lgkmcnt(0)
	s_and_saveexec_b64 s[20:21], vcc
	s_cbranch_execz .LBB84_21
; %bb.14:                               ;   in Loop: Header=BB84_11 Depth=1
	v_ashrrev_i32_e32 v13, 31, v12
	v_mul_lo_u32 v29, v3, s7
	v_lshl_add_u64 v[14:15], v[12:13], 2, s[12:13]
	v_lshl_add_u64 v[16:17], v[12:13], 3, s[8:9]
	s_mov_b64 s[22:23], 0
	v_mov_b32_e32 v28, s5
	v_mov_b32_e32 v13, v19
	s_branch .LBB84_16
.LBB84_15:                              ;   in Loop: Header=BB84_16 Depth=2
	s_or_b64 exec, exec, s[0:1]
	v_add_u32_e32 v12, 8, v12
	v_cmp_ge_i32_e64 s[0:1], v12, v19
	s_xor_b64 s[30:31], vcc, -1
	s_or_b64 s[0:1], s[30:31], s[0:1]
	s_and_b64 s[0:1], exec, s[0:1]
	v_lshl_add_u64 v[14:15], v[14:15], 0, 32
	s_or_b64 s[22:23], s[0:1], s[22:23]
	v_lshl_add_u64 v[16:17], v[16:17], 0, 64
	s_andn2_b64 exec, exec, s[22:23]
	s_cbranch_execz .LBB84_20
.LBB84_16:                              ;   Parent Loop BB84_11 Depth=1
                                        ; =>  This Inner Loop Header: Depth=2
	global_load_dword v30, v[14:15], off
	s_waitcnt vmcnt(0)
	v_subrev_u32_e32 v30, s24, v30
	v_sub_u32_e32 v32, 0, v30
	v_max_i32_e32 v32, v30, v32
	v_mul_hi_u32 v33, v32, v25
	v_mul_lo_u32 v34, v33, s28
	v_sub_u32_e32 v32, v32, v34
	v_add_u32_e32 v35, 1, v33
	v_cmp_le_u32_e32 vcc, s28, v32
	v_subrev_u32_e32 v34, s28, v32
	v_ashrrev_i32_e32 v31, 31, v30
	v_cndmask_b32_e32 v33, v33, v35, vcc
	v_cndmask_b32_e32 v32, v32, v34, vcc
	v_add_u32_e32 v34, 1, v33
	v_cmp_le_u32_e32 vcc, s28, v32
	v_xor_b32_e32 v31, s4, v31
	s_nop 0
	v_cndmask_b32_e32 v32, v33, v34, vcc
	v_xor_b32_e32 v32, v32, v31
	v_sub_u32_e32 v32, v32, v31
	v_cmp_eq_u32_e32 vcc, v32, v3
	v_cmp_ne_u32_e64 s[0:1], v32, v3
	v_mov_b32_e32 v31, v13
	s_and_saveexec_b64 s[30:31], s[0:1]
	s_xor_b64 s[0:1], exec, s[30:31]
; %bb.17:                               ;   in Loop: Header=BB84_16 Depth=2
	v_min_i32_e32 v28, v32, v28
                                        ; implicit-def: $vgpr30
                                        ; implicit-def: $vgpr31
; %bb.18:                               ;   in Loop: Header=BB84_16 Depth=2
	s_or_saveexec_b64 s[0:1], s[0:1]
	v_mov_b32_e32 v13, v12
	s_xor_b64 exec, exec, s[0:1]
	s_cbranch_execz .LBB84_15
; %bb.19:                               ;   in Loop: Header=BB84_16 Depth=2
	global_load_dwordx2 v[32:33], v[16:17], off
	v_sub_u32_e32 v13, v30, v29
	v_add_lshl_u32 v13, v21, v13, 3
	ds_write_b8 v18, v27 offset:4096
	s_waitcnt vmcnt(0)
	ds_write_b64 v13, v[32:33]
	v_mov_b32_e32 v13, v31
	s_branch .LBB84_15
.LBB84_20:                              ;   in Loop: Header=BB84_11 Depth=1
	s_or_b64 exec, exec, s[22:23]
.LBB84_21:                              ;   in Loop: Header=BB84_11 Depth=1
	s_or_b64 exec, exec, s[20:21]
	v_mov_b32_dpp v12, v13 row_shr:1 row_mask:0xf bank_mask:0xf
	v_min_i32_e32 v12, v12, v13
	s_waitcnt lgkmcnt(0)
	v_mov_b32_e32 v17, 0
	v_mov_b32_dpp v13, v12 row_shr:2 row_mask:0xf bank_mask:0xf
	v_min_i32_e32 v12, v13, v12
	ds_read_u8 v13, v18 offset:4096
	s_nop 0
	v_mov_b32_dpp v14, v12 row_shr:4 row_mask:0xf bank_mask:0xe
	v_min_i32_e32 v12, v14, v12
	ds_bpermute_b32 v16, v22, v12
	s_waitcnt lgkmcnt(1)
	v_and_b32_e32 v12, 1, v13
	v_cmp_eq_u32_e32 vcc, 1, v12
	s_and_saveexec_b64 s[0:1], vcc
	s_cbranch_execz .LBB84_10
; %bb.22:                               ;   in Loop: Header=BB84_11 Depth=1
	v_add_u32_e32 v14, s25, v3
	v_ashrrev_i32_e32 v3, 31, v2
	v_lshl_add_u64 v[12:13], v[2:3], 2, s[10:11]
	global_store_dword v[12:13], v14, off
	v_mul_lo_u32 v14, s26, v2
	v_mul_lo_u32 v3, s27, v3
	v_mad_u64_u32 v[12:13], s[20:21], s27, v2, 0
	v_add3_u32 v13, v13, v3, v14
	v_lshlrev_b64 v[12:13], 3, v[12:13]
	v_lshl_add_u64 v[14:15], v[4:5], 0, v[12:13]
	v_lshl_add_u64 v[12:13], v[6:7], 0, v[12:13]
	s_and_saveexec_b64 s[20:21], s[16:17]
	s_cbranch_execz .LBB84_26
; %bb.23:                               ;   in Loop: Header=BB84_11 Depth=1
	s_and_b64 vcc, exec, s[14:15]
	s_cbranch_vccz .LBB84_29
; %bb.24:                               ;   in Loop: Header=BB84_11 Depth=1
	ds_read_b64 v[30:31], v24
	v_lshl_add_u64 v[32:33], v[0:1], 3, v[14:15]
	s_waitcnt lgkmcnt(0)
	global_store_dwordx2 v[32:33], v[30:31], off
	s_cbranch_execnz .LBB84_26
.LBB84_25:                              ;   in Loop: Header=BB84_11 Depth=1
	ds_read_b64 v[30:31], v24
	s_waitcnt lgkmcnt(0)
	global_store_dwordx2 v[12:13], v[30:31], off
.LBB84_26:                              ;   in Loop: Header=BB84_11 Depth=1
	s_or_b64 exec, exec, s[20:21]
	v_mov_b32_e32 v17, 1
	s_and_saveexec_b64 s[20:21], s[2:3]
	s_cbranch_execz .LBB84_9
; %bb.27:                               ;   in Loop: Header=BB84_11 Depth=1
	s_andn2_b64 vcc, exec, s[14:15]
	s_cbranch_vccnz .LBB84_30
; %bb.28:                               ;   in Loop: Header=BB84_11 Depth=1
	ds_read_b64 v[30:31], v24 offset:64
	v_lshl_add_u64 v[14:15], v[8:9], 3, v[14:15]
	s_mov_b32 s6, 1
	s_waitcnt lgkmcnt(0)
	global_store_dwordx2 v[14:15], v[30:31], off
	s_cbranch_execnz .LBB84_8
	s_branch .LBB84_31
.LBB84_29:                              ;   in Loop: Header=BB84_11 Depth=1
	s_branch .LBB84_25
.LBB84_30:                              ;   in Loop: Header=BB84_11 Depth=1
                                        ; implicit-def: $sgpr6
.LBB84_31:                              ;   in Loop: Header=BB84_11 Depth=1
	ds_read_b64 v[14:15], v24 offset:64
	s_mov_b32 s6, 1
	s_waitcnt lgkmcnt(0)
	global_store_dwordx2 v[12:13], v[14:15], off offset:64
	s_branch .LBB84_8
.LBB84_32:
	s_endpgm
	.section	.rodata,"a",@progbits
	.p2align	6, 0x0
	.amdhsa_kernel _ZN9rocsparseL44csr2gebsr_wavefront_per_row_multipass_kernelILi256ELi4ELi16ELi32EdEEv20rocsparse_direction_iiiiii21rocsparse_index_base_PKT3_PKiS7_S2_PS3_PiS9_
		.amdhsa_group_segment_fixed_size 4104
		.amdhsa_private_segment_fixed_size 0
		.amdhsa_kernarg_size 88
		.amdhsa_user_sgpr_count 2
		.amdhsa_user_sgpr_dispatch_ptr 0
		.amdhsa_user_sgpr_queue_ptr 0
		.amdhsa_user_sgpr_kernarg_segment_ptr 1
		.amdhsa_user_sgpr_dispatch_id 0
		.amdhsa_user_sgpr_kernarg_preload_length 0
		.amdhsa_user_sgpr_kernarg_preload_offset 0
		.amdhsa_user_sgpr_private_segment_size 0
		.amdhsa_uses_dynamic_stack 0
		.amdhsa_enable_private_segment 0
		.amdhsa_system_sgpr_workgroup_id_x 1
		.amdhsa_system_sgpr_workgroup_id_y 0
		.amdhsa_system_sgpr_workgroup_id_z 0
		.amdhsa_system_sgpr_workgroup_info 0
		.amdhsa_system_vgpr_workitem_id 0
		.amdhsa_next_free_vgpr 36
		.amdhsa_next_free_sgpr 32
		.amdhsa_accum_offset 36
		.amdhsa_reserve_vcc 1
		.amdhsa_float_round_mode_32 0
		.amdhsa_float_round_mode_16_64 0
		.amdhsa_float_denorm_mode_32 3
		.amdhsa_float_denorm_mode_16_64 3
		.amdhsa_dx10_clamp 1
		.amdhsa_ieee_mode 1
		.amdhsa_fp16_overflow 0
		.amdhsa_tg_split 0
		.amdhsa_exception_fp_ieee_invalid_op 0
		.amdhsa_exception_fp_denorm_src 0
		.amdhsa_exception_fp_ieee_div_zero 0
		.amdhsa_exception_fp_ieee_overflow 0
		.amdhsa_exception_fp_ieee_underflow 0
		.amdhsa_exception_fp_ieee_inexact 0
		.amdhsa_exception_int_div_zero 0
	.end_amdhsa_kernel
	.section	.text._ZN9rocsparseL44csr2gebsr_wavefront_per_row_multipass_kernelILi256ELi4ELi16ELi32EdEEv20rocsparse_direction_iiiiii21rocsparse_index_base_PKT3_PKiS7_S2_PS3_PiS9_,"axG",@progbits,_ZN9rocsparseL44csr2gebsr_wavefront_per_row_multipass_kernelILi256ELi4ELi16ELi32EdEEv20rocsparse_direction_iiiiii21rocsparse_index_base_PKT3_PKiS7_S2_PS3_PiS9_,comdat
.Lfunc_end84:
	.size	_ZN9rocsparseL44csr2gebsr_wavefront_per_row_multipass_kernelILi256ELi4ELi16ELi32EdEEv20rocsparse_direction_iiiiii21rocsparse_index_base_PKT3_PKiS7_S2_PS3_PiS9_, .Lfunc_end84-_ZN9rocsparseL44csr2gebsr_wavefront_per_row_multipass_kernelILi256ELi4ELi16ELi32EdEEv20rocsparse_direction_iiiiii21rocsparse_index_base_PKT3_PKiS7_S2_PS3_PiS9_
                                        ; -- End function
	.section	.AMDGPU.csdata,"",@progbits
; Kernel info:
; codeLenInByte = 1376
; NumSgprs: 38
; NumVgprs: 36
; NumAgprs: 0
; TotalNumVgprs: 36
; ScratchSize: 0
; MemoryBound: 0
; FloatMode: 240
; IeeeMode: 1
; LDSByteSize: 4104 bytes/workgroup (compile time only)
; SGPRBlocks: 4
; VGPRBlocks: 4
; NumSGPRsForWavesPerEU: 38
; NumVGPRsForWavesPerEU: 36
; AccumOffset: 36
; Occupancy: 8
; WaveLimiterHint : 0
; COMPUTE_PGM_RSRC2:SCRATCH_EN: 0
; COMPUTE_PGM_RSRC2:USER_SGPR: 2
; COMPUTE_PGM_RSRC2:TRAP_HANDLER: 0
; COMPUTE_PGM_RSRC2:TGID_X_EN: 1
; COMPUTE_PGM_RSRC2:TGID_Y_EN: 0
; COMPUTE_PGM_RSRC2:TGID_Z_EN: 0
; COMPUTE_PGM_RSRC2:TIDIG_COMP_CNT: 0
; COMPUTE_PGM_RSRC3_GFX90A:ACCUM_OFFSET: 8
; COMPUTE_PGM_RSRC3_GFX90A:TG_SPLIT: 0
	.section	.text._ZN9rocsparseL44csr2gebsr_wavefront_per_row_multipass_kernelILi256ELi4ELi32ELi64EdEEv20rocsparse_direction_iiiiii21rocsparse_index_base_PKT3_PKiS7_S2_PS3_PiS9_,"axG",@progbits,_ZN9rocsparseL44csr2gebsr_wavefront_per_row_multipass_kernelILi256ELi4ELi32ELi64EdEEv20rocsparse_direction_iiiiii21rocsparse_index_base_PKT3_PKiS7_S2_PS3_PiS9_,comdat
	.globl	_ZN9rocsparseL44csr2gebsr_wavefront_per_row_multipass_kernelILi256ELi4ELi32ELi64EdEEv20rocsparse_direction_iiiiii21rocsparse_index_base_PKT3_PKiS7_S2_PS3_PiS9_ ; -- Begin function _ZN9rocsparseL44csr2gebsr_wavefront_per_row_multipass_kernelILi256ELi4ELi32ELi64EdEEv20rocsparse_direction_iiiiii21rocsparse_index_base_PKT3_PKiS7_S2_PS3_PiS9_
	.p2align	8
	.type	_ZN9rocsparseL44csr2gebsr_wavefront_per_row_multipass_kernelILi256ELi4ELi32ELi64EdEEv20rocsparse_direction_iiiiii21rocsparse_index_base_PKT3_PKiS7_S2_PS3_PiS9_,@function
_ZN9rocsparseL44csr2gebsr_wavefront_per_row_multipass_kernelILi256ELi4ELi32ELi64EdEEv20rocsparse_direction_iiiiii21rocsparse_index_base_PKT3_PKiS7_S2_PS3_PiS9_: ; @_ZN9rocsparseL44csr2gebsr_wavefront_per_row_multipass_kernelILi256ELi4ELi32ELi64EdEEv20rocsparse_direction_iiiiii21rocsparse_index_base_PKT3_PKiS7_S2_PS3_PiS9_
; %bb.0:
	s_load_dwordx2 s[14:15], s[0:1], 0x0
	s_load_dwordx4 s[4:7], s[0:1], 0xc
	s_load_dword s26, s[0:1], 0x1c
	s_load_dwordx2 s[8:9], s[0:1], 0x28
	v_lshrrev_b32_e32 v18, 6, v0
	v_bfe_u32 v6, v0, 4, 2
	v_lshl_or_b32 v4, s2, 2, v18
	s_waitcnt lgkmcnt(0)
	v_mad_u64_u32 v[2:3], s[2:3], v4, s6, v[6:7]
	v_cmp_gt_i32_e64 s[2:3], s15, v2
	v_cmp_gt_i32_e32 vcc, s6, v6
	s_and_b64 s[2:3], vcc, s[2:3]
	v_mov_b32_e32 v19, 0
	v_mov_b32_e32 v16, 0
	s_and_saveexec_b64 s[10:11], s[2:3]
	s_cbranch_execz .LBB85_2
; %bb.1:
	v_ashrrev_i32_e32 v3, 31, v2
	v_lshl_add_u64 v[8:9], v[2:3], 2, s[8:9]
	global_load_dword v1, v[8:9], off
	s_waitcnt vmcnt(0)
	v_subrev_u32_e32 v16, s26, v1
.LBB85_2:
	s_or_b64 exec, exec, s[10:11]
	s_and_saveexec_b64 s[10:11], s[2:3]
	s_cbranch_execz .LBB85_4
; %bb.3:
	v_ashrrev_i32_e32 v3, 31, v2
	v_lshl_add_u64 v[2:3], v[2:3], 2, s[8:9]
	global_load_dword v1, v[2:3], off offset:4
	s_waitcnt vmcnt(0)
	v_subrev_u32_e32 v19, s26, v1
.LBB85_4:
	s_or_b64 exec, exec, s[10:11]
	s_load_dword s27, s[0:1], 0x38
	v_cmp_gt_i32_e64 s[2:3], s4, v4
	v_mov_b32_e32 v2, 0
	s_and_saveexec_b64 s[8:9], s[2:3]
	s_cbranch_execz .LBB85_6
; %bb.5:
	s_load_dwordx2 s[2:3], s[0:1], 0x48
	v_ashrrev_i32_e32 v5, 31, v4
	s_waitcnt lgkmcnt(0)
	v_lshl_add_u64 v[2:3], v[4:5], 2, s[2:3]
	global_load_dword v1, v[2:3], off
	s_waitcnt vmcnt(0)
	v_subrev_u32_e32 v2, s27, v1
.LBB85_6:
	s_or_b64 exec, exec, s[8:9]
	s_cmp_lt_i32 s5, 1
	s_cbranch_scc1 .LBB85_32
; %bb.7:
	v_and_b32_e32 v20, 15, v0
	v_lshlrev_b32_e32 v0, 7, v18
	v_lshl_or_b32 v21, v6, 5, v0
	v_mbcnt_lo_u32_b32 v0, -1, 0
	v_mbcnt_hi_u32_b32 v0, -1, v0
	s_cmp_lg_u32 s14, 0
	v_lshlrev_b32_e32 v3, 2, v0
	s_cselect_b64 s[14:15], -1, 0
	s_abs_i32 s30, s7
	v_or_b32_e32 v22, 60, v3
	v_or_b32_e32 v23, 0xfc, v3
	v_cvt_f32_u32_e32 v3, s30
	s_load_dwordx2 s[8:9], s[0:1], 0x20
	s_load_dwordx2 s[10:11], s[0:1], 0x50
	;; [unrolled: 1-line block ×4, first 2 shown]
	s_ashr_i32 s4, s7, 31
	s_mul_hi_u32 s0, s7, s6
	v_rcp_iflag_f32_e32 v3, v3
	s_mul_i32 s1, s4, s6
	s_add_i32 s28, s0, s1
	v_lshlrev_b32_e32 v0, 3, v6
	v_mul_f32_e32 v3, 0x4f7ffffe, v3
	v_cvt_u32_f32_e32 v3, v3
	v_mul_lo_u32 v6, v6, s7
	v_cmp_gt_u32_e64 s[0:1], s7, v20
	v_mov_b32_e32 v1, 0
	v_or_b32_e32 v8, v21, v20
	v_ashrrev_i32_e32 v7, 31, v6
	s_and_b64 s[16:17], s[0:1], vcc
	s_sub_i32 s0, 0, s30
	s_waitcnt lgkmcnt(0)
	v_lshl_add_u64 v[4:5], s[2:3], 0, v[0:1]
	v_lshl_add_u64 v[6:7], v[6:7], 3, s[2:3]
	v_lshlrev_b32_e32 v0, 3, v20
	v_lshlrev_b32_e32 v24, 3, v8
	v_or_b32_e32 v8, 16, v20
	v_mul_lo_u32 v10, s0, v3
	v_lshl_add_u64 v[6:7], v[6:7], 0, v[0:1]
	v_mul_lo_u32 v0, v20, s6
	v_cmp_gt_u32_e64 s[2:3], s7, v8
	v_mul_hi_u32 v10, v3, v10
	s_mul_i32 s29, s7, s6
	v_lshl_add_u32 v8, s6, 4, v0
	v_mov_b32_e32 v9, v1
	s_and_b64 s[2:3], vcc, s[2:3]
	v_add_u32_e32 v25, v3, v10
	v_or_b32_e32 v26, -16, v20
	s_mov_b64 s[18:19], 0
	v_mov_b32_e32 v10, v1
	v_mov_b32_e32 v11, v1
	s_mov_b64 s[20:21], 0x80
	v_mov_b32_e32 v27, 1
	v_mov_b32_e32 v3, v1
	s_branch .LBB85_11
.LBB85_8:                               ;   in Loop: Header=BB85_11 Depth=1
	v_mov_b32_e32 v17, s6
.LBB85_9:                               ;   in Loop: Header=BB85_11 Depth=1
	s_or_b64 exec, exec, s[22:23]
.LBB85_10:                              ;   in Loop: Header=BB85_11 Depth=1
	s_or_b64 exec, exec, s[0:1]
	v_mov_b32_dpp v3, v28 row_shr:1 row_mask:0xf bank_mask:0xf
	v_min_i32_e32 v3, v3, v28
	v_add_u32_e32 v2, v17, v2
	s_waitcnt lgkmcnt(0)
	v_mov_b32_dpp v12, v3 row_shr:2 row_mask:0xf bank_mask:0xf
	v_min_i32_e32 v3, v12, v3
	s_nop 1
	v_mov_b32_dpp v12, v3 row_shr:4 row_mask:0xf bank_mask:0xe
	v_min_i32_e32 v3, v12, v3
	s_nop 1
	;; [unrolled: 3-line block ×3, first 2 shown]
	v_mov_b32_dpp v12, v3 row_bcast:15 row_mask:0xa bank_mask:0xf
	v_min_i32_e32 v3, v12, v3
	s_nop 1
	v_mov_b32_dpp v12, v3 row_bcast:31 row_mask:0xc bank_mask:0xf
	v_min_i32_e32 v3, v12, v3
	ds_bpermute_b32 v3, v23, v3
	s_waitcnt lgkmcnt(0)
	v_cmp_le_i32_e32 vcc, s5, v3
	s_or_b64 s[18:19], vcc, s[18:19]
	s_andn2_b64 exec, exec, s[18:19]
	s_cbranch_execz .LBB85_32
.LBB85_11:                              ; =>This Loop Header: Depth=1
                                        ;     Child Loop BB85_12 Depth 2
                                        ;     Child Loop BB85_16 Depth 2
	s_mov_b64 s[0:1], 0
	v_mov_b32_e32 v12, v24
	v_mov_b32_e32 v13, v26
	ds_write_b8 v18, v1 offset:4096
.LBB85_12:                              ;   Parent Loop BB85_11 Depth=1
                                        ; =>  This Inner Loop Header: Depth=2
	v_add_co_u32_e32 v13, vcc, 16, v13
	s_xor_b64 s[22:23], vcc, -1
	s_and_b64 s[22:23], exec, s[22:23]
	ds_write_b64 v12, v[10:11]
	s_or_b64 s[0:1], s[22:23], s[0:1]
	v_add_u32_e32 v12, 0x80, v12
	s_andn2_b64 exec, exec, s[0:1]
	s_cbranch_execnz .LBB85_12
; %bb.13:                               ;   in Loop: Header=BB85_11 Depth=1
	s_or_b64 exec, exec, s[0:1]
	v_add_u32_e32 v12, v16, v20
	v_cmp_lt_i32_e32 vcc, v12, v19
	v_mov_b32_e32 v28, s5
	v_mov_b32_e32 v13, v19
	s_waitcnt lgkmcnt(0)
	s_and_saveexec_b64 s[22:23], vcc
	s_cbranch_execz .LBB85_21
; %bb.14:                               ;   in Loop: Header=BB85_11 Depth=1
	v_ashrrev_i32_e32 v13, 31, v12
	v_mul_lo_u32 v29, v3, s7
	v_lshl_add_u64 v[14:15], v[12:13], 2, s[12:13]
	v_lshl_add_u64 v[16:17], v[12:13], 3, s[8:9]
	s_mov_b64 s[24:25], 0
	v_mov_b32_e32 v28, s5
	v_mov_b32_e32 v13, v19
	s_branch .LBB85_16
.LBB85_15:                              ;   in Loop: Header=BB85_16 Depth=2
	s_or_b64 exec, exec, s[0:1]
	v_add_u32_e32 v12, 16, v12
	v_cmp_ge_i32_e64 s[0:1], v12, v19
	s_xor_b64 s[34:35], vcc, -1
	s_or_b64 s[0:1], s[34:35], s[0:1]
	s_and_b64 s[0:1], exec, s[0:1]
	v_lshl_add_u64 v[14:15], v[14:15], 0, 64
	s_or_b64 s[24:25], s[0:1], s[24:25]
	v_lshl_add_u64 v[16:17], v[16:17], 0, s[20:21]
	s_andn2_b64 exec, exec, s[24:25]
	s_cbranch_execz .LBB85_20
.LBB85_16:                              ;   Parent Loop BB85_11 Depth=1
                                        ; =>  This Inner Loop Header: Depth=2
	global_load_dword v30, v[14:15], off
	s_waitcnt vmcnt(0)
	v_subrev_u32_e32 v30, s26, v30
	v_sub_u32_e32 v32, 0, v30
	v_max_i32_e32 v32, v30, v32
	v_mul_hi_u32 v33, v32, v25
	v_mul_lo_u32 v34, v33, s30
	v_sub_u32_e32 v32, v32, v34
	v_add_u32_e32 v35, 1, v33
	v_cmp_le_u32_e32 vcc, s30, v32
	v_subrev_u32_e32 v34, s30, v32
	v_ashrrev_i32_e32 v31, 31, v30
	v_cndmask_b32_e32 v33, v33, v35, vcc
	v_cndmask_b32_e32 v32, v32, v34, vcc
	v_add_u32_e32 v34, 1, v33
	v_cmp_le_u32_e32 vcc, s30, v32
	v_xor_b32_e32 v31, s4, v31
	s_nop 0
	v_cndmask_b32_e32 v32, v33, v34, vcc
	v_xor_b32_e32 v32, v32, v31
	v_sub_u32_e32 v32, v32, v31
	v_cmp_eq_u32_e32 vcc, v32, v3
	v_cmp_ne_u32_e64 s[0:1], v32, v3
	v_mov_b32_e32 v31, v13
	s_and_saveexec_b64 s[34:35], s[0:1]
	s_xor_b64 s[0:1], exec, s[34:35]
; %bb.17:                               ;   in Loop: Header=BB85_16 Depth=2
	v_min_i32_e32 v28, v32, v28
                                        ; implicit-def: $vgpr30
                                        ; implicit-def: $vgpr31
; %bb.18:                               ;   in Loop: Header=BB85_16 Depth=2
	s_or_saveexec_b64 s[0:1], s[0:1]
	v_mov_b32_e32 v13, v12
	s_xor_b64 exec, exec, s[0:1]
	s_cbranch_execz .LBB85_15
; %bb.19:                               ;   in Loop: Header=BB85_16 Depth=2
	global_load_dwordx2 v[32:33], v[16:17], off
	v_sub_u32_e32 v13, v30, v29
	v_add_lshl_u32 v13, v21, v13, 3
	ds_write_b8 v18, v27 offset:4096
	s_waitcnt vmcnt(0)
	ds_write_b64 v13, v[32:33]
	v_mov_b32_e32 v13, v31
	s_branch .LBB85_15
.LBB85_20:                              ;   in Loop: Header=BB85_11 Depth=1
	s_or_b64 exec, exec, s[24:25]
.LBB85_21:                              ;   in Loop: Header=BB85_11 Depth=1
	s_or_b64 exec, exec, s[22:23]
	v_mov_b32_dpp v12, v13 row_shr:1 row_mask:0xf bank_mask:0xf
	v_min_i32_e32 v12, v12, v13
	s_waitcnt lgkmcnt(0)
	v_mov_b32_e32 v17, 0
	v_mov_b32_dpp v13, v12 row_shr:2 row_mask:0xf bank_mask:0xf
	v_min_i32_e32 v12, v13, v12
	s_nop 1
	v_mov_b32_dpp v13, v12 row_shr:4 row_mask:0xf bank_mask:0xe
	v_min_i32_e32 v12, v13, v12
	ds_read_u8 v13, v18 offset:4096
	s_nop 0
	v_mov_b32_dpp v14, v12 row_shr:8 row_mask:0xf bank_mask:0xc
	v_min_i32_e32 v12, v14, v12
	ds_bpermute_b32 v16, v22, v12
	s_waitcnt lgkmcnt(1)
	v_and_b32_e32 v12, 1, v13
	v_cmp_eq_u32_e32 vcc, 1, v12
	s_and_saveexec_b64 s[0:1], vcc
	s_cbranch_execz .LBB85_10
; %bb.22:                               ;   in Loop: Header=BB85_11 Depth=1
	v_add_u32_e32 v14, s27, v3
	v_ashrrev_i32_e32 v3, 31, v2
	v_lshl_add_u64 v[12:13], v[2:3], 2, s[10:11]
	global_store_dword v[12:13], v14, off
	v_mul_lo_u32 v14, s28, v2
	v_mul_lo_u32 v3, s29, v3
	v_mad_u64_u32 v[12:13], s[22:23], s29, v2, 0
	v_add3_u32 v13, v13, v3, v14
	v_lshlrev_b64 v[12:13], 3, v[12:13]
	v_lshl_add_u64 v[14:15], v[4:5], 0, v[12:13]
	v_lshl_add_u64 v[12:13], v[6:7], 0, v[12:13]
	s_and_saveexec_b64 s[22:23], s[16:17]
	s_cbranch_execz .LBB85_26
; %bb.23:                               ;   in Loop: Header=BB85_11 Depth=1
	s_and_b64 vcc, exec, s[14:15]
	s_cbranch_vccz .LBB85_29
; %bb.24:                               ;   in Loop: Header=BB85_11 Depth=1
	ds_read_b64 v[30:31], v24
	v_lshl_add_u64 v[32:33], v[0:1], 3, v[14:15]
	s_waitcnt lgkmcnt(0)
	global_store_dwordx2 v[32:33], v[30:31], off
	s_cbranch_execnz .LBB85_26
.LBB85_25:                              ;   in Loop: Header=BB85_11 Depth=1
	ds_read_b64 v[30:31], v24
	s_waitcnt lgkmcnt(0)
	global_store_dwordx2 v[12:13], v[30:31], off
.LBB85_26:                              ;   in Loop: Header=BB85_11 Depth=1
	s_or_b64 exec, exec, s[22:23]
	v_mov_b32_e32 v17, 1
	s_and_saveexec_b64 s[22:23], s[2:3]
	s_cbranch_execz .LBB85_9
; %bb.27:                               ;   in Loop: Header=BB85_11 Depth=1
	s_andn2_b64 vcc, exec, s[14:15]
	s_cbranch_vccnz .LBB85_30
; %bb.28:                               ;   in Loop: Header=BB85_11 Depth=1
	ds_read_b64 v[30:31], v24 offset:128
	v_lshl_add_u64 v[14:15], v[8:9], 3, v[14:15]
	s_mov_b32 s6, 1
	s_waitcnt lgkmcnt(0)
	global_store_dwordx2 v[14:15], v[30:31], off
	s_cbranch_execnz .LBB85_8
	s_branch .LBB85_31
.LBB85_29:                              ;   in Loop: Header=BB85_11 Depth=1
	s_branch .LBB85_25
.LBB85_30:                              ;   in Loop: Header=BB85_11 Depth=1
                                        ; implicit-def: $sgpr6
.LBB85_31:                              ;   in Loop: Header=BB85_11 Depth=1
	ds_read_b64 v[14:15], v24 offset:128
	s_mov_b32 s6, 1
	s_waitcnt lgkmcnt(0)
	global_store_dwordx2 v[12:13], v[14:15], off offset:128
	s_branch .LBB85_8
.LBB85_32:
	s_endpgm
	.section	.rodata,"a",@progbits
	.p2align	6, 0x0
	.amdhsa_kernel _ZN9rocsparseL44csr2gebsr_wavefront_per_row_multipass_kernelILi256ELi4ELi32ELi64EdEEv20rocsparse_direction_iiiiii21rocsparse_index_base_PKT3_PKiS7_S2_PS3_PiS9_
		.amdhsa_group_segment_fixed_size 4104
		.amdhsa_private_segment_fixed_size 0
		.amdhsa_kernarg_size 88
		.amdhsa_user_sgpr_count 2
		.amdhsa_user_sgpr_dispatch_ptr 0
		.amdhsa_user_sgpr_queue_ptr 0
		.amdhsa_user_sgpr_kernarg_segment_ptr 1
		.amdhsa_user_sgpr_dispatch_id 0
		.amdhsa_user_sgpr_kernarg_preload_length 0
		.amdhsa_user_sgpr_kernarg_preload_offset 0
		.amdhsa_user_sgpr_private_segment_size 0
		.amdhsa_uses_dynamic_stack 0
		.amdhsa_enable_private_segment 0
		.amdhsa_system_sgpr_workgroup_id_x 1
		.amdhsa_system_sgpr_workgroup_id_y 0
		.amdhsa_system_sgpr_workgroup_id_z 0
		.amdhsa_system_sgpr_workgroup_info 0
		.amdhsa_system_vgpr_workitem_id 0
		.amdhsa_next_free_vgpr 36
		.amdhsa_next_free_sgpr 36
		.amdhsa_accum_offset 36
		.amdhsa_reserve_vcc 1
		.amdhsa_float_round_mode_32 0
		.amdhsa_float_round_mode_16_64 0
		.amdhsa_float_denorm_mode_32 3
		.amdhsa_float_denorm_mode_16_64 3
		.amdhsa_dx10_clamp 1
		.amdhsa_ieee_mode 1
		.amdhsa_fp16_overflow 0
		.amdhsa_tg_split 0
		.amdhsa_exception_fp_ieee_invalid_op 0
		.amdhsa_exception_fp_denorm_src 0
		.amdhsa_exception_fp_ieee_div_zero 0
		.amdhsa_exception_fp_ieee_overflow 0
		.amdhsa_exception_fp_ieee_underflow 0
		.amdhsa_exception_fp_ieee_inexact 0
		.amdhsa_exception_int_div_zero 0
	.end_amdhsa_kernel
	.section	.text._ZN9rocsparseL44csr2gebsr_wavefront_per_row_multipass_kernelILi256ELi4ELi32ELi64EdEEv20rocsparse_direction_iiiiii21rocsparse_index_base_PKT3_PKiS7_S2_PS3_PiS9_,"axG",@progbits,_ZN9rocsparseL44csr2gebsr_wavefront_per_row_multipass_kernelILi256ELi4ELi32ELi64EdEEv20rocsparse_direction_iiiiii21rocsparse_index_base_PKT3_PKiS7_S2_PS3_PiS9_,comdat
.Lfunc_end85:
	.size	_ZN9rocsparseL44csr2gebsr_wavefront_per_row_multipass_kernelILi256ELi4ELi32ELi64EdEEv20rocsparse_direction_iiiiii21rocsparse_index_base_PKT3_PKiS7_S2_PS3_PiS9_, .Lfunc_end85-_ZN9rocsparseL44csr2gebsr_wavefront_per_row_multipass_kernelILi256ELi4ELi32ELi64EdEEv20rocsparse_direction_iiiiii21rocsparse_index_base_PKT3_PKiS7_S2_PS3_PiS9_
                                        ; -- End function
	.section	.AMDGPU.csdata,"",@progbits
; Kernel info:
; codeLenInByte = 1420
; NumSgprs: 42
; NumVgprs: 36
; NumAgprs: 0
; TotalNumVgprs: 36
; ScratchSize: 0
; MemoryBound: 0
; FloatMode: 240
; IeeeMode: 1
; LDSByteSize: 4104 bytes/workgroup (compile time only)
; SGPRBlocks: 5
; VGPRBlocks: 4
; NumSGPRsForWavesPerEU: 42
; NumVGPRsForWavesPerEU: 36
; AccumOffset: 36
; Occupancy: 8
; WaveLimiterHint : 0
; COMPUTE_PGM_RSRC2:SCRATCH_EN: 0
; COMPUTE_PGM_RSRC2:USER_SGPR: 2
; COMPUTE_PGM_RSRC2:TRAP_HANDLER: 0
; COMPUTE_PGM_RSRC2:TGID_X_EN: 1
; COMPUTE_PGM_RSRC2:TGID_Y_EN: 0
; COMPUTE_PGM_RSRC2:TGID_Z_EN: 0
; COMPUTE_PGM_RSRC2:TIDIG_COMP_CNT: 0
; COMPUTE_PGM_RSRC3_GFX90A:ACCUM_OFFSET: 8
; COMPUTE_PGM_RSRC3_GFX90A:TG_SPLIT: 0
	.section	.text._ZN9rocsparseL44csr2gebsr_wavefront_per_row_multipass_kernelILi256ELi4ELi32ELi32EdEEv20rocsparse_direction_iiiiii21rocsparse_index_base_PKT3_PKiS7_S2_PS3_PiS9_,"axG",@progbits,_ZN9rocsparseL44csr2gebsr_wavefront_per_row_multipass_kernelILi256ELi4ELi32ELi32EdEEv20rocsparse_direction_iiiiii21rocsparse_index_base_PKT3_PKiS7_S2_PS3_PiS9_,comdat
	.globl	_ZN9rocsparseL44csr2gebsr_wavefront_per_row_multipass_kernelILi256ELi4ELi32ELi32EdEEv20rocsparse_direction_iiiiii21rocsparse_index_base_PKT3_PKiS7_S2_PS3_PiS9_ ; -- Begin function _ZN9rocsparseL44csr2gebsr_wavefront_per_row_multipass_kernelILi256ELi4ELi32ELi32EdEEv20rocsparse_direction_iiiiii21rocsparse_index_base_PKT3_PKiS7_S2_PS3_PiS9_
	.p2align	8
	.type	_ZN9rocsparseL44csr2gebsr_wavefront_per_row_multipass_kernelILi256ELi4ELi32ELi32EdEEv20rocsparse_direction_iiiiii21rocsparse_index_base_PKT3_PKiS7_S2_PS3_PiS9_,@function
_ZN9rocsparseL44csr2gebsr_wavefront_per_row_multipass_kernelILi256ELi4ELi32ELi32EdEEv20rocsparse_direction_iiiiii21rocsparse_index_base_PKT3_PKiS7_S2_PS3_PiS9_: ; @_ZN9rocsparseL44csr2gebsr_wavefront_per_row_multipass_kernelILi256ELi4ELi32ELi32EdEEv20rocsparse_direction_iiiiii21rocsparse_index_base_PKT3_PKiS7_S2_PS3_PiS9_
; %bb.0:
	s_load_dwordx2 s[4:5], s[0:1], 0x0
	s_load_dwordx4 s[8:11], s[0:1], 0xc
	s_load_dword s30, s[0:1], 0x1c
	s_load_dwordx2 s[6:7], s[0:1], 0x28
	v_lshrrev_b32_e32 v22, 5, v0
	v_bfe_u32 v6, v0, 3, 2
	v_lshl_or_b32 v4, s2, 3, v22
	s_waitcnt lgkmcnt(0)
	v_mad_u64_u32 v[2:3], s[2:3], v4, s10, v[6:7]
	v_cmp_gt_i32_e64 s[2:3], s5, v2
	v_cmp_gt_i32_e32 vcc, s10, v6
	s_and_b64 s[2:3], vcc, s[2:3]
	v_mov_b32_e32 v23, 0
	v_mov_b32_e32 v20, 0
	s_and_saveexec_b64 s[12:13], s[2:3]
	s_cbranch_execz .LBB86_2
; %bb.1:
	v_ashrrev_i32_e32 v3, 31, v2
	v_lshl_add_u64 v[8:9], v[2:3], 2, s[6:7]
	global_load_dword v1, v[8:9], off
	s_waitcnt vmcnt(0)
	v_subrev_u32_e32 v20, s30, v1
.LBB86_2:
	s_or_b64 exec, exec, s[12:13]
	s_and_saveexec_b64 s[12:13], s[2:3]
	s_cbranch_execz .LBB86_4
; %bb.3:
	v_ashrrev_i32_e32 v3, 31, v2
	v_lshl_add_u64 v[2:3], v[2:3], 2, s[6:7]
	global_load_dword v1, v[2:3], off offset:4
	s_waitcnt vmcnt(0)
	v_subrev_u32_e32 v23, s30, v1
.LBB86_4:
	s_or_b64 exec, exec, s[12:13]
	s_load_dword s31, s[0:1], 0x38
	v_cmp_gt_i32_e64 s[2:3], s8, v4
	v_mov_b32_e32 v2, 0
	s_and_saveexec_b64 s[6:7], s[2:3]
	s_cbranch_execz .LBB86_6
; %bb.5:
	s_load_dwordx2 s[2:3], s[0:1], 0x48
	v_ashrrev_i32_e32 v5, 31, v4
	s_waitcnt lgkmcnt(0)
	v_lshl_add_u64 v[2:3], v[4:5], 2, s[2:3]
	global_load_dword v1, v[2:3], off
	s_waitcnt vmcnt(0)
	v_subrev_u32_e32 v2, s31, v1
.LBB86_6:
	s_or_b64 exec, exec, s[6:7]
	s_cmp_lt_i32 s9, 1
	s_cbranch_scc1 .LBB86_42
; %bb.7:
	v_and_b32_e32 v24, 7, v0
	v_lshlrev_b32_e32 v0, 7, v22
	s_load_dwordx2 s[12:13], s[0:1], 0x20
	s_load_dwordx2 s[14:15], s[0:1], 0x50
	;; [unrolled: 1-line block ×4, first 2 shown]
	v_lshl_or_b32 v25, v6, 5, v0
	v_mbcnt_lo_u32_b32 v0, -1, 0
	v_mbcnt_hi_u32_b32 v0, -1, v0
	v_lshlrev_b32_e32 v3, 2, v0
	v_lshlrev_b32_e32 v0, 3, v6
	v_mul_lo_u32 v6, v6, s11
	v_mov_b32_e32 v1, 0
	s_cmp_lg_u32 s4, 0
	v_ashrrev_i32_e32 v7, 31, v6
	v_or_b32_e32 v26, 28, v3
	s_cselect_b64 s[18:19], -1, 0
	s_ashr_i32 s8, s11, 31
	s_waitcnt lgkmcnt(0)
	v_lshl_add_u64 v[4:5], s[2:3], 0, v[0:1]
	v_lshl_add_u64 v[6:7], v[6:7], 3, s[2:3]
	v_lshlrev_b32_e32 v0, 3, v24
	v_or_b32_e32 v27, 0x7c, v3
	v_or_b32_e32 v3, 8, v24
	s_mul_hi_u32 s0, s11, s10
	s_mul_i32 s1, s8, s10
	s_mul_i32 s34, s11, s10
	v_lshl_add_u64 v[6:7], v[6:7], 0, v[0:1]
	v_mul_lo_u32 v0, v24, s10
	v_cmp_gt_u32_e64 s[2:3], s11, v3
	s_lshl_b32 s20, s10, 3
	v_or_b32_e32 v3, 16, v24
	s_abs_i32 s10, s11
	v_cmp_gt_u32_e64 s[4:5], s11, v3
	v_cvt_f32_u32_e32 v3, s10
	v_or_b32_e32 v8, v25, v24
	v_lshlrev_b32_e32 v28, 3, v8
	v_add_u32_e32 v8, s20, v0
	v_rcp_iflag_f32_e32 v3, v3
	s_add_i32 s33, s0, s1
	v_cmp_gt_u32_e64 s[0:1], s11, v24
	v_add_u32_e32 v10, s20, v8
	v_mul_f32_e32 v3, 0x4f7ffffe, v3
	v_cvt_u32_f32_e32 v3, v3
	v_or_b32_e32 v12, 24, v24
	v_cmp_gt_u32_e64 s[6:7], s11, v12
	v_add_u32_e32 v12, s20, v10
	s_and_b64 s[20:21], s[0:1], vcc
	s_sub_i32 s0, 0, s10
	v_mul_lo_u32 v14, s0, v3
	v_mul_hi_u32 v14, v3, v14
	v_mov_b32_e32 v9, v1
	v_mov_b32_e32 v11, v1
	;; [unrolled: 1-line block ×3, first 2 shown]
	s_and_b64 s[2:3], vcc, s[2:3]
	s_and_b64 s[4:5], vcc, s[4:5]
	;; [unrolled: 1-line block ×3, first 2 shown]
	v_add_u32_e32 v29, v3, v14
	v_or_b32_e32 v30, -8, v24
	s_mov_b64 s[22:23], 0
	v_mov_b32_e32 v14, v1
	v_mov_b32_e32 v15, v1
	v_mov_b32_e32 v31, 1
	v_mov_b32_e32 v3, v1
	s_branch .LBB86_11
.LBB86_8:                               ;   in Loop: Header=BB86_11 Depth=1
	v_mov_b32_e32 v21, s28
.LBB86_9:                               ;   in Loop: Header=BB86_11 Depth=1
	s_or_b64 exec, exec, s[26:27]
.LBB86_10:                              ;   in Loop: Header=BB86_11 Depth=1
	s_or_b64 exec, exec, s[24:25]
	v_mov_b32_dpp v3, v32 row_shr:1 row_mask:0xf bank_mask:0xf
	v_min_i32_e32 v3, v3, v32
	v_add_u32_e32 v2, v21, v2
	s_waitcnt lgkmcnt(0)
	v_mov_b32_dpp v16, v3 row_shr:2 row_mask:0xf bank_mask:0xf
	v_min_i32_e32 v3, v16, v3
	s_nop 1
	v_mov_b32_dpp v16, v3 row_shr:4 row_mask:0xf bank_mask:0xe
	v_min_i32_e32 v3, v16, v3
	s_nop 1
	;; [unrolled: 3-line block ×3, first 2 shown]
	v_mov_b32_dpp v16, v3 row_bcast:15 row_mask:0xa bank_mask:0xf
	v_min_i32_e32 v3, v16, v3
	ds_bpermute_b32 v3, v27, v3
	s_waitcnt lgkmcnt(0)
	v_cmp_le_i32_e32 vcc, s9, v3
	s_or_b64 s[22:23], vcc, s[22:23]
	s_andn2_b64 exec, exec, s[22:23]
	s_cbranch_execz .LBB86_42
.LBB86_11:                              ; =>This Loop Header: Depth=1
                                        ;     Child Loop BB86_12 Depth 2
                                        ;     Child Loop BB86_16 Depth 2
	s_mov_b64 s[0:1], 0
	v_mov_b32_e32 v16, v28
	v_mov_b32_e32 v17, v30
	ds_write_b8 v22, v1 offset:8192
.LBB86_12:                              ;   Parent Loop BB86_11 Depth=1
                                        ; =>  This Inner Loop Header: Depth=2
	v_add_u32_e32 v17, 8, v17
	v_cmp_lt_u32_e32 vcc, 23, v17
	ds_write_b64 v16, v[14:15]
	s_or_b64 s[0:1], vcc, s[0:1]
	v_add_u32_e32 v16, 64, v16
	s_andn2_b64 exec, exec, s[0:1]
	s_cbranch_execnz .LBB86_12
; %bb.13:                               ;   in Loop: Header=BB86_11 Depth=1
	s_or_b64 exec, exec, s[0:1]
	v_add_u32_e32 v16, v20, v24
	v_cmp_lt_i32_e32 vcc, v16, v23
	v_mov_b32_e32 v32, s9
	v_mov_b32_e32 v17, v23
	s_waitcnt lgkmcnt(0)
	s_and_saveexec_b64 s[24:25], vcc
	s_cbranch_execz .LBB86_21
; %bb.14:                               ;   in Loop: Header=BB86_11 Depth=1
	v_ashrrev_i32_e32 v17, 31, v16
	v_mul_lo_u32 v33, v3, s11
	v_lshl_add_u64 v[18:19], v[16:17], 2, s[16:17]
	v_lshl_add_u64 v[20:21], v[16:17], 3, s[12:13]
	s_mov_b64 s[26:27], 0
	v_mov_b32_e32 v32, s9
	v_mov_b32_e32 v17, v23
	s_branch .LBB86_16
.LBB86_15:                              ;   in Loop: Header=BB86_16 Depth=2
	s_or_b64 exec, exec, s[0:1]
	v_add_u32_e32 v16, 8, v16
	v_cmp_ge_i32_e64 s[0:1], v16, v23
	s_xor_b64 s[28:29], vcc, -1
	s_or_b64 s[0:1], s[28:29], s[0:1]
	s_and_b64 s[0:1], exec, s[0:1]
	v_lshl_add_u64 v[18:19], v[18:19], 0, 32
	s_or_b64 s[26:27], s[0:1], s[26:27]
	v_lshl_add_u64 v[20:21], v[20:21], 0, 64
	s_andn2_b64 exec, exec, s[26:27]
	s_cbranch_execz .LBB86_20
.LBB86_16:                              ;   Parent Loop BB86_11 Depth=1
                                        ; =>  This Inner Loop Header: Depth=2
	global_load_dword v34, v[18:19], off
	s_waitcnt vmcnt(0)
	v_subrev_u32_e32 v34, s30, v34
	v_sub_u32_e32 v36, 0, v34
	v_max_i32_e32 v36, v34, v36
	v_mul_hi_u32 v37, v36, v29
	v_mul_lo_u32 v38, v37, s10
	v_sub_u32_e32 v36, v36, v38
	v_add_u32_e32 v39, 1, v37
	v_cmp_le_u32_e32 vcc, s10, v36
	v_subrev_u32_e32 v38, s10, v36
	v_ashrrev_i32_e32 v35, 31, v34
	v_cndmask_b32_e32 v37, v37, v39, vcc
	v_cndmask_b32_e32 v36, v36, v38, vcc
	v_add_u32_e32 v38, 1, v37
	v_cmp_le_u32_e32 vcc, s10, v36
	v_xor_b32_e32 v35, s8, v35
	s_nop 0
	v_cndmask_b32_e32 v36, v37, v38, vcc
	v_xor_b32_e32 v36, v36, v35
	v_sub_u32_e32 v36, v36, v35
	v_cmp_eq_u32_e32 vcc, v36, v3
	v_cmp_ne_u32_e64 s[0:1], v36, v3
	v_mov_b32_e32 v35, v17
	s_and_saveexec_b64 s[28:29], s[0:1]
	s_xor_b64 s[0:1], exec, s[28:29]
; %bb.17:                               ;   in Loop: Header=BB86_16 Depth=2
	v_min_i32_e32 v32, v36, v32
                                        ; implicit-def: $vgpr34
                                        ; implicit-def: $vgpr35
; %bb.18:                               ;   in Loop: Header=BB86_16 Depth=2
	s_or_saveexec_b64 s[0:1], s[0:1]
	v_mov_b32_e32 v17, v16
	s_xor_b64 exec, exec, s[0:1]
	s_cbranch_execz .LBB86_15
; %bb.19:                               ;   in Loop: Header=BB86_16 Depth=2
	global_load_dwordx2 v[36:37], v[20:21], off
	v_sub_u32_e32 v17, v34, v33
	v_add_lshl_u32 v17, v25, v17, 3
	ds_write_b8 v22, v31 offset:8192
	s_waitcnt vmcnt(0)
	ds_write_b64 v17, v[36:37]
	v_mov_b32_e32 v17, v35
	s_branch .LBB86_15
.LBB86_20:                              ;   in Loop: Header=BB86_11 Depth=1
	s_or_b64 exec, exec, s[26:27]
.LBB86_21:                              ;   in Loop: Header=BB86_11 Depth=1
	s_or_b64 exec, exec, s[24:25]
	v_mov_b32_dpp v16, v17 row_shr:1 row_mask:0xf bank_mask:0xf
	v_min_i32_e32 v16, v16, v17
	s_waitcnt lgkmcnt(0)
	v_mov_b32_e32 v21, 0
	v_mov_b32_dpp v17, v16 row_shr:2 row_mask:0xf bank_mask:0xf
	v_min_i32_e32 v16, v17, v16
	ds_read_u8 v17, v22 offset:8192
	s_nop 0
	v_mov_b32_dpp v18, v16 row_shr:4 row_mask:0xf bank_mask:0xe
	v_min_i32_e32 v16, v18, v16
	ds_bpermute_b32 v20, v26, v16
	s_waitcnt lgkmcnt(1)
	v_and_b32_e32 v16, 1, v17
	v_cmp_eq_u32_e32 vcc, 1, v16
	s_and_saveexec_b64 s[24:25], vcc
	s_cbranch_execz .LBB86_10
; %bb.22:                               ;   in Loop: Header=BB86_11 Depth=1
	v_add_u32_e32 v18, s31, v3
	v_ashrrev_i32_e32 v3, 31, v2
	v_lshl_add_u64 v[16:17], v[2:3], 2, s[14:15]
	global_store_dword v[16:17], v18, off
	v_mul_lo_u32 v18, s33, v2
	v_mul_lo_u32 v3, s34, v3
	v_mad_u64_u32 v[16:17], s[0:1], s34, v2, 0
	v_add3_u32 v17, v17, v3, v18
	v_lshlrev_b64 v[16:17], 3, v[16:17]
	v_lshl_add_u64 v[18:19], v[4:5], 0, v[16:17]
	v_lshl_add_u64 v[16:17], v[6:7], 0, v[16:17]
	s_and_saveexec_b64 s[0:1], s[20:21]
	s_cbranch_execz .LBB86_26
; %bb.23:                               ;   in Loop: Header=BB86_11 Depth=1
	s_and_b64 vcc, exec, s[18:19]
	s_cbranch_vccz .LBB86_37
; %bb.24:                               ;   in Loop: Header=BB86_11 Depth=1
	ds_read_b64 v[34:35], v28
	v_lshl_add_u64 v[36:37], v[0:1], 3, v[18:19]
	s_waitcnt lgkmcnt(0)
	global_store_dwordx2 v[36:37], v[34:35], off
	s_cbranch_execnz .LBB86_26
.LBB86_25:                              ;   in Loop: Header=BB86_11 Depth=1
	ds_read_b64 v[34:35], v28
	s_waitcnt lgkmcnt(0)
	global_store_dwordx2 v[16:17], v[34:35], off
.LBB86_26:                              ;   in Loop: Header=BB86_11 Depth=1
	s_or_b64 exec, exec, s[0:1]
	v_cndmask_b32_e64 v3, 0, 1, s[18:19]
	v_cmp_ne_u32_e64 s[0:1], 1, v3
	s_and_saveexec_b64 s[26:27], s[2:3]
	s_cbranch_execz .LBB86_30
; %bb.27:                               ;   in Loop: Header=BB86_11 Depth=1
	s_and_b64 vcc, exec, s[0:1]
	s_cbranch_vccnz .LBB86_38
; %bb.28:                               ;   in Loop: Header=BB86_11 Depth=1
	ds_read_b64 v[34:35], v28 offset:64
	v_lshl_add_u64 v[36:37], v[8:9], 3, v[18:19]
	s_waitcnt lgkmcnt(0)
	global_store_dwordx2 v[36:37], v[34:35], off
	s_cbranch_execnz .LBB86_30
.LBB86_29:                              ;   in Loop: Header=BB86_11 Depth=1
	ds_read_b64 v[34:35], v28 offset:64
	s_waitcnt lgkmcnt(0)
	global_store_dwordx2 v[16:17], v[34:35], off offset:64
.LBB86_30:                              ;   in Loop: Header=BB86_11 Depth=1
	s_or_b64 exec, exec, s[26:27]
	s_and_saveexec_b64 s[26:27], s[4:5]
	s_cbranch_execz .LBB86_34
; %bb.31:                               ;   in Loop: Header=BB86_11 Depth=1
	s_and_b64 vcc, exec, s[0:1]
	s_cbranch_vccnz .LBB86_39
; %bb.32:                               ;   in Loop: Header=BB86_11 Depth=1
	ds_read_b64 v[34:35], v28 offset:128
	v_lshl_add_u64 v[36:37], v[10:11], 3, v[18:19]
	s_waitcnt lgkmcnt(0)
	global_store_dwordx2 v[36:37], v[34:35], off
	s_cbranch_execnz .LBB86_34
.LBB86_33:                              ;   in Loop: Header=BB86_11 Depth=1
	ds_read_b64 v[34:35], v28 offset:128
	s_waitcnt lgkmcnt(0)
	global_store_dwordx2 v[16:17], v[34:35], off offset:128
.LBB86_34:                              ;   in Loop: Header=BB86_11 Depth=1
	s_or_b64 exec, exec, s[26:27]
	v_mov_b32_e32 v21, 1
	s_and_saveexec_b64 s[26:27], s[6:7]
	s_cbranch_execz .LBB86_9
; %bb.35:                               ;   in Loop: Header=BB86_11 Depth=1
	s_and_b64 vcc, exec, s[0:1]
	s_cbranch_vccnz .LBB86_40
; %bb.36:                               ;   in Loop: Header=BB86_11 Depth=1
	ds_read_b64 v[34:35], v28 offset:192
	v_lshl_add_u64 v[18:19], v[12:13], 3, v[18:19]
	s_mov_b32 s28, 1
	s_waitcnt lgkmcnt(0)
	global_store_dwordx2 v[18:19], v[34:35], off
	s_cbranch_execnz .LBB86_8
	s_branch .LBB86_41
.LBB86_37:                              ;   in Loop: Header=BB86_11 Depth=1
	s_branch .LBB86_25
.LBB86_38:                              ;   in Loop: Header=BB86_11 Depth=1
	s_branch .LBB86_29
.LBB86_39:                              ;   in Loop: Header=BB86_11 Depth=1
	s_branch .LBB86_33
.LBB86_40:                              ;   in Loop: Header=BB86_11 Depth=1
                                        ; implicit-def: $sgpr28
.LBB86_41:                              ;   in Loop: Header=BB86_11 Depth=1
	ds_read_b64 v[18:19], v28 offset:192
	s_mov_b32 s28, 1
	s_waitcnt lgkmcnt(0)
	global_store_dwordx2 v[16:17], v[18:19], off offset:192
	s_branch .LBB86_8
.LBB86_42:
	s_endpgm
	.section	.rodata,"a",@progbits
	.p2align	6, 0x0
	.amdhsa_kernel _ZN9rocsparseL44csr2gebsr_wavefront_per_row_multipass_kernelILi256ELi4ELi32ELi32EdEEv20rocsparse_direction_iiiiii21rocsparse_index_base_PKT3_PKiS7_S2_PS3_PiS9_
		.amdhsa_group_segment_fixed_size 8200
		.amdhsa_private_segment_fixed_size 0
		.amdhsa_kernarg_size 88
		.amdhsa_user_sgpr_count 2
		.amdhsa_user_sgpr_dispatch_ptr 0
		.amdhsa_user_sgpr_queue_ptr 0
		.amdhsa_user_sgpr_kernarg_segment_ptr 1
		.amdhsa_user_sgpr_dispatch_id 0
		.amdhsa_user_sgpr_kernarg_preload_length 0
		.amdhsa_user_sgpr_kernarg_preload_offset 0
		.amdhsa_user_sgpr_private_segment_size 0
		.amdhsa_uses_dynamic_stack 0
		.amdhsa_enable_private_segment 0
		.amdhsa_system_sgpr_workgroup_id_x 1
		.amdhsa_system_sgpr_workgroup_id_y 0
		.amdhsa_system_sgpr_workgroup_id_z 0
		.amdhsa_system_sgpr_workgroup_info 0
		.amdhsa_system_vgpr_workitem_id 0
		.amdhsa_next_free_vgpr 40
		.amdhsa_next_free_sgpr 35
		.amdhsa_accum_offset 40
		.amdhsa_reserve_vcc 1
		.amdhsa_float_round_mode_32 0
		.amdhsa_float_round_mode_16_64 0
		.amdhsa_float_denorm_mode_32 3
		.amdhsa_float_denorm_mode_16_64 3
		.amdhsa_dx10_clamp 1
		.amdhsa_ieee_mode 1
		.amdhsa_fp16_overflow 0
		.amdhsa_tg_split 0
		.amdhsa_exception_fp_ieee_invalid_op 0
		.amdhsa_exception_fp_denorm_src 0
		.amdhsa_exception_fp_ieee_div_zero 0
		.amdhsa_exception_fp_ieee_overflow 0
		.amdhsa_exception_fp_ieee_underflow 0
		.amdhsa_exception_fp_ieee_inexact 0
		.amdhsa_exception_int_div_zero 0
	.end_amdhsa_kernel
	.section	.text._ZN9rocsparseL44csr2gebsr_wavefront_per_row_multipass_kernelILi256ELi4ELi32ELi32EdEEv20rocsparse_direction_iiiiii21rocsparse_index_base_PKT3_PKiS7_S2_PS3_PiS9_,"axG",@progbits,_ZN9rocsparseL44csr2gebsr_wavefront_per_row_multipass_kernelILi256ELi4ELi32ELi32EdEEv20rocsparse_direction_iiiiii21rocsparse_index_base_PKT3_PKiS7_S2_PS3_PiS9_,comdat
.Lfunc_end86:
	.size	_ZN9rocsparseL44csr2gebsr_wavefront_per_row_multipass_kernelILi256ELi4ELi32ELi32EdEEv20rocsparse_direction_iiiiii21rocsparse_index_base_PKT3_PKiS7_S2_PS3_PiS9_, .Lfunc_end86-_ZN9rocsparseL44csr2gebsr_wavefront_per_row_multipass_kernelILi256ELi4ELi32ELi32EdEEv20rocsparse_direction_iiiiii21rocsparse_index_base_PKT3_PKiS7_S2_PS3_PiS9_
                                        ; -- End function
	.section	.AMDGPU.csdata,"",@progbits
; Kernel info:
; codeLenInByte = 1588
; NumSgprs: 41
; NumVgprs: 40
; NumAgprs: 0
; TotalNumVgprs: 40
; ScratchSize: 0
; MemoryBound: 0
; FloatMode: 240
; IeeeMode: 1
; LDSByteSize: 8200 bytes/workgroup (compile time only)
; SGPRBlocks: 5
; VGPRBlocks: 4
; NumSGPRsForWavesPerEU: 41
; NumVGPRsForWavesPerEU: 40
; AccumOffset: 40
; Occupancy: 7
; WaveLimiterHint : 0
; COMPUTE_PGM_RSRC2:SCRATCH_EN: 0
; COMPUTE_PGM_RSRC2:USER_SGPR: 2
; COMPUTE_PGM_RSRC2:TRAP_HANDLER: 0
; COMPUTE_PGM_RSRC2:TGID_X_EN: 1
; COMPUTE_PGM_RSRC2:TGID_Y_EN: 0
; COMPUTE_PGM_RSRC2:TGID_Z_EN: 0
; COMPUTE_PGM_RSRC2:TIDIG_COMP_CNT: 0
; COMPUTE_PGM_RSRC3_GFX90A:ACCUM_OFFSET: 9
; COMPUTE_PGM_RSRC3_GFX90A:TG_SPLIT: 0
	.section	.text._ZN9rocsparseL44csr2gebsr_wavefront_per_row_multipass_kernelILi256ELi4ELi64ELi64EdEEv20rocsparse_direction_iiiiii21rocsparse_index_base_PKT3_PKiS7_S2_PS3_PiS9_,"axG",@progbits,_ZN9rocsparseL44csr2gebsr_wavefront_per_row_multipass_kernelILi256ELi4ELi64ELi64EdEEv20rocsparse_direction_iiiiii21rocsparse_index_base_PKT3_PKiS7_S2_PS3_PiS9_,comdat
	.globl	_ZN9rocsparseL44csr2gebsr_wavefront_per_row_multipass_kernelILi256ELi4ELi64ELi64EdEEv20rocsparse_direction_iiiiii21rocsparse_index_base_PKT3_PKiS7_S2_PS3_PiS9_ ; -- Begin function _ZN9rocsparseL44csr2gebsr_wavefront_per_row_multipass_kernelILi256ELi4ELi64ELi64EdEEv20rocsparse_direction_iiiiii21rocsparse_index_base_PKT3_PKiS7_S2_PS3_PiS9_
	.p2align	8
	.type	_ZN9rocsparseL44csr2gebsr_wavefront_per_row_multipass_kernelILi256ELi4ELi64ELi64EdEEv20rocsparse_direction_iiiiii21rocsparse_index_base_PKT3_PKiS7_S2_PS3_PiS9_,@function
_ZN9rocsparseL44csr2gebsr_wavefront_per_row_multipass_kernelILi256ELi4ELi64ELi64EdEEv20rocsparse_direction_iiiiii21rocsparse_index_base_PKT3_PKiS7_S2_PS3_PiS9_: ; @_ZN9rocsparseL44csr2gebsr_wavefront_per_row_multipass_kernelILi256ELi4ELi64ELi64EdEEv20rocsparse_direction_iiiiii21rocsparse_index_base_PKT3_PKiS7_S2_PS3_PiS9_
; %bb.0:
	s_load_dwordx2 s[4:5], s[0:1], 0x0
	s_load_dwordx4 s[8:11], s[0:1], 0xc
	s_load_dword s33, s[0:1], 0x1c
	s_load_dwordx2 s[6:7], s[0:1], 0x28
	v_lshrrev_b32_e32 v22, 6, v0
	v_bfe_u32 v6, v0, 4, 2
	v_lshl_or_b32 v4, s2, 2, v22
	s_waitcnt lgkmcnt(0)
	v_mad_u64_u32 v[2:3], s[2:3], v4, s10, v[6:7]
	v_cmp_gt_i32_e64 s[2:3], s5, v2
	v_cmp_gt_i32_e32 vcc, s10, v6
	s_and_b64 s[2:3], vcc, s[2:3]
	v_mov_b32_e32 v23, 0
	v_mov_b32_e32 v20, 0
	s_and_saveexec_b64 s[12:13], s[2:3]
	s_cbranch_execz .LBB87_2
; %bb.1:
	v_ashrrev_i32_e32 v3, 31, v2
	v_lshl_add_u64 v[8:9], v[2:3], 2, s[6:7]
	global_load_dword v1, v[8:9], off
	s_waitcnt vmcnt(0)
	v_subrev_u32_e32 v20, s33, v1
.LBB87_2:
	s_or_b64 exec, exec, s[12:13]
	s_and_saveexec_b64 s[12:13], s[2:3]
	s_cbranch_execz .LBB87_4
; %bb.3:
	v_ashrrev_i32_e32 v3, 31, v2
	v_lshl_add_u64 v[2:3], v[2:3], 2, s[6:7]
	global_load_dword v1, v[2:3], off offset:4
	s_waitcnt vmcnt(0)
	v_subrev_u32_e32 v23, s33, v1
.LBB87_4:
	s_or_b64 exec, exec, s[12:13]
	s_load_dword s34, s[0:1], 0x38
	v_cmp_gt_i32_e64 s[2:3], s8, v4
	v_mov_b32_e32 v2, 0
	s_and_saveexec_b64 s[6:7], s[2:3]
	s_cbranch_execz .LBB87_6
; %bb.5:
	s_load_dwordx2 s[2:3], s[0:1], 0x48
	v_ashrrev_i32_e32 v5, 31, v4
	s_waitcnt lgkmcnt(0)
	v_lshl_add_u64 v[2:3], v[4:5], 2, s[2:3]
	global_load_dword v1, v[2:3], off
	s_waitcnt vmcnt(0)
	v_subrev_u32_e32 v2, s34, v1
.LBB87_6:
	s_or_b64 exec, exec, s[6:7]
	s_cmp_lt_i32 s9, 1
	s_cbranch_scc1 .LBB87_42
; %bb.7:
	v_and_b32_e32 v24, 15, v0
	v_lshlrev_b32_e32 v0, 8, v22
	s_load_dwordx2 s[12:13], s[0:1], 0x20
	s_load_dwordx2 s[14:15], s[0:1], 0x50
	;; [unrolled: 1-line block ×4, first 2 shown]
	v_lshl_or_b32 v25, v6, 6, v0
	v_mbcnt_lo_u32_b32 v0, -1, 0
	v_mbcnt_hi_u32_b32 v0, -1, v0
	v_lshlrev_b32_e32 v3, 2, v0
	v_lshlrev_b32_e32 v0, 3, v6
	v_mul_lo_u32 v6, v6, s11
	v_mov_b32_e32 v1, 0
	s_cmp_lg_u32 s4, 0
	v_ashrrev_i32_e32 v7, 31, v6
	v_or_b32_e32 v26, 60, v3
	s_cselect_b64 s[18:19], -1, 0
	s_ashr_i32 s8, s11, 31
	s_waitcnt lgkmcnt(0)
	v_lshl_add_u64 v[4:5], s[2:3], 0, v[0:1]
	v_lshl_add_u64 v[6:7], v[6:7], 3, s[2:3]
	v_lshlrev_b32_e32 v0, 3, v24
	v_or_b32_e32 v27, 0xfc, v3
	v_or_b32_e32 v3, 16, v24
	s_mul_hi_u32 s0, s11, s10
	s_mul_i32 s1, s8, s10
	s_mul_i32 s36, s11, s10
	v_lshl_add_u64 v[6:7], v[6:7], 0, v[0:1]
	v_mul_lo_u32 v0, v24, s10
	v_cmp_gt_u32_e64 s[2:3], s11, v3
	s_lshl_b32 s20, s10, 4
	v_or_b32_e32 v3, 32, v24
	s_abs_i32 s10, s11
	v_cmp_gt_u32_e64 s[4:5], s11, v3
	v_cvt_f32_u32_e32 v3, s10
	v_or_b32_e32 v8, v25, v24
	v_lshlrev_b32_e32 v28, 3, v8
	v_add_u32_e32 v8, s20, v0
	v_rcp_iflag_f32_e32 v3, v3
	s_add_i32 s35, s0, s1
	v_cmp_gt_u32_e64 s[0:1], s11, v24
	v_add_u32_e32 v10, s20, v8
	v_mul_f32_e32 v3, 0x4f7ffffe, v3
	v_cvt_u32_f32_e32 v3, v3
	v_or_b32_e32 v12, 48, v24
	v_cmp_gt_u32_e64 s[6:7], s11, v12
	v_add_u32_e32 v12, s20, v10
	s_and_b64 s[20:21], s[0:1], vcc
	s_sub_i32 s0, 0, s10
	v_mul_lo_u32 v14, s0, v3
	v_mul_hi_u32 v14, v3, v14
	v_mov_b32_e32 v9, v1
	v_mov_b32_e32 v11, v1
	;; [unrolled: 1-line block ×3, first 2 shown]
	s_and_b64 s[2:3], vcc, s[2:3]
	s_and_b64 s[4:5], vcc, s[4:5]
	;; [unrolled: 1-line block ×3, first 2 shown]
	v_add_u32_e32 v29, v3, v14
	v_or_b32_e32 v30, -16, v24
	s_mov_b64 s[22:23], 0
	v_mov_b32_e32 v14, v1
	v_mov_b32_e32 v15, v1
	s_mov_b64 s[24:25], 0x80
	v_mov_b32_e32 v31, 1
	v_mov_b32_e32 v3, v1
	s_branch .LBB87_11
.LBB87_8:                               ;   in Loop: Header=BB87_11 Depth=1
	v_mov_b32_e32 v21, s30
.LBB87_9:                               ;   in Loop: Header=BB87_11 Depth=1
	s_or_b64 exec, exec, s[28:29]
.LBB87_10:                              ;   in Loop: Header=BB87_11 Depth=1
	s_or_b64 exec, exec, s[26:27]
	v_mov_b32_dpp v3, v32 row_shr:1 row_mask:0xf bank_mask:0xf
	v_min_i32_e32 v3, v3, v32
	v_add_u32_e32 v2, v21, v2
	s_waitcnt lgkmcnt(0)
	v_mov_b32_dpp v16, v3 row_shr:2 row_mask:0xf bank_mask:0xf
	v_min_i32_e32 v3, v16, v3
	s_nop 1
	v_mov_b32_dpp v16, v3 row_shr:4 row_mask:0xf bank_mask:0xe
	v_min_i32_e32 v3, v16, v3
	s_nop 1
	;; [unrolled: 3-line block ×3, first 2 shown]
	v_mov_b32_dpp v16, v3 row_bcast:15 row_mask:0xa bank_mask:0xf
	v_min_i32_e32 v3, v16, v3
	s_nop 1
	v_mov_b32_dpp v16, v3 row_bcast:31 row_mask:0xc bank_mask:0xf
	v_min_i32_e32 v3, v16, v3
	ds_bpermute_b32 v3, v27, v3
	s_waitcnt lgkmcnt(0)
	v_cmp_le_i32_e32 vcc, s9, v3
	s_or_b64 s[22:23], vcc, s[22:23]
	s_andn2_b64 exec, exec, s[22:23]
	s_cbranch_execz .LBB87_42
.LBB87_11:                              ; =>This Loop Header: Depth=1
                                        ;     Child Loop BB87_12 Depth 2
                                        ;     Child Loop BB87_16 Depth 2
	s_mov_b64 s[0:1], 0
	v_mov_b32_e32 v16, v28
	v_mov_b32_e32 v17, v30
	ds_write_b8 v22, v1 offset:8192
.LBB87_12:                              ;   Parent Loop BB87_11 Depth=1
                                        ; =>  This Inner Loop Header: Depth=2
	v_add_u32_e32 v17, 16, v17
	v_cmp_lt_u32_e32 vcc, 47, v17
	ds_write_b64 v16, v[14:15]
	s_or_b64 s[0:1], vcc, s[0:1]
	v_add_u32_e32 v16, 0x80, v16
	s_andn2_b64 exec, exec, s[0:1]
	s_cbranch_execnz .LBB87_12
; %bb.13:                               ;   in Loop: Header=BB87_11 Depth=1
	s_or_b64 exec, exec, s[0:1]
	v_add_u32_e32 v16, v20, v24
	v_cmp_lt_i32_e32 vcc, v16, v23
	v_mov_b32_e32 v32, s9
	v_mov_b32_e32 v17, v23
	s_waitcnt lgkmcnt(0)
	s_and_saveexec_b64 s[26:27], vcc
	s_cbranch_execz .LBB87_21
; %bb.14:                               ;   in Loop: Header=BB87_11 Depth=1
	v_ashrrev_i32_e32 v17, 31, v16
	v_mul_lo_u32 v33, v3, s11
	v_lshl_add_u64 v[18:19], v[16:17], 2, s[16:17]
	v_lshl_add_u64 v[20:21], v[16:17], 3, s[12:13]
	s_mov_b64 s[28:29], 0
	v_mov_b32_e32 v32, s9
	v_mov_b32_e32 v17, v23
	s_branch .LBB87_16
.LBB87_15:                              ;   in Loop: Header=BB87_16 Depth=2
	s_or_b64 exec, exec, s[0:1]
	v_add_u32_e32 v16, 16, v16
	v_cmp_ge_i32_e64 s[0:1], v16, v23
	s_xor_b64 s[30:31], vcc, -1
	s_or_b64 s[0:1], s[30:31], s[0:1]
	s_and_b64 s[0:1], exec, s[0:1]
	v_lshl_add_u64 v[18:19], v[18:19], 0, 64
	s_or_b64 s[28:29], s[0:1], s[28:29]
	v_lshl_add_u64 v[20:21], v[20:21], 0, s[24:25]
	s_andn2_b64 exec, exec, s[28:29]
	s_cbranch_execz .LBB87_20
.LBB87_16:                              ;   Parent Loop BB87_11 Depth=1
                                        ; =>  This Inner Loop Header: Depth=2
	global_load_dword v34, v[18:19], off
	s_waitcnt vmcnt(0)
	v_subrev_u32_e32 v34, s33, v34
	v_sub_u32_e32 v36, 0, v34
	v_max_i32_e32 v36, v34, v36
	v_mul_hi_u32 v37, v36, v29
	v_mul_lo_u32 v38, v37, s10
	v_sub_u32_e32 v36, v36, v38
	v_add_u32_e32 v39, 1, v37
	v_cmp_le_u32_e32 vcc, s10, v36
	v_subrev_u32_e32 v38, s10, v36
	v_ashrrev_i32_e32 v35, 31, v34
	v_cndmask_b32_e32 v37, v37, v39, vcc
	v_cndmask_b32_e32 v36, v36, v38, vcc
	v_add_u32_e32 v38, 1, v37
	v_cmp_le_u32_e32 vcc, s10, v36
	v_xor_b32_e32 v35, s8, v35
	s_nop 0
	v_cndmask_b32_e32 v36, v37, v38, vcc
	v_xor_b32_e32 v36, v36, v35
	v_sub_u32_e32 v36, v36, v35
	v_cmp_eq_u32_e32 vcc, v36, v3
	v_cmp_ne_u32_e64 s[0:1], v36, v3
	v_mov_b32_e32 v35, v17
	s_and_saveexec_b64 s[30:31], s[0:1]
	s_xor_b64 s[0:1], exec, s[30:31]
; %bb.17:                               ;   in Loop: Header=BB87_16 Depth=2
	v_min_i32_e32 v32, v36, v32
                                        ; implicit-def: $vgpr34
                                        ; implicit-def: $vgpr35
; %bb.18:                               ;   in Loop: Header=BB87_16 Depth=2
	s_or_saveexec_b64 s[0:1], s[0:1]
	v_mov_b32_e32 v17, v16
	s_xor_b64 exec, exec, s[0:1]
	s_cbranch_execz .LBB87_15
; %bb.19:                               ;   in Loop: Header=BB87_16 Depth=2
	global_load_dwordx2 v[36:37], v[20:21], off
	v_sub_u32_e32 v17, v34, v33
	v_add_lshl_u32 v17, v25, v17, 3
	ds_write_b8 v22, v31 offset:8192
	s_waitcnt vmcnt(0)
	ds_write_b64 v17, v[36:37]
	v_mov_b32_e32 v17, v35
	s_branch .LBB87_15
.LBB87_20:                              ;   in Loop: Header=BB87_11 Depth=1
	s_or_b64 exec, exec, s[28:29]
.LBB87_21:                              ;   in Loop: Header=BB87_11 Depth=1
	s_or_b64 exec, exec, s[26:27]
	v_mov_b32_dpp v16, v17 row_shr:1 row_mask:0xf bank_mask:0xf
	v_min_i32_e32 v16, v16, v17
	s_waitcnt lgkmcnt(0)
	v_mov_b32_e32 v21, 0
	v_mov_b32_dpp v17, v16 row_shr:2 row_mask:0xf bank_mask:0xf
	v_min_i32_e32 v16, v17, v16
	s_nop 1
	v_mov_b32_dpp v17, v16 row_shr:4 row_mask:0xf bank_mask:0xe
	v_min_i32_e32 v16, v17, v16
	ds_read_u8 v17, v22 offset:8192
	s_nop 0
	v_mov_b32_dpp v18, v16 row_shr:8 row_mask:0xf bank_mask:0xc
	v_min_i32_e32 v16, v18, v16
	ds_bpermute_b32 v20, v26, v16
	s_waitcnt lgkmcnt(1)
	v_and_b32_e32 v16, 1, v17
	v_cmp_eq_u32_e32 vcc, 1, v16
	s_and_saveexec_b64 s[26:27], vcc
	s_cbranch_execz .LBB87_10
; %bb.22:                               ;   in Loop: Header=BB87_11 Depth=1
	v_add_u32_e32 v18, s34, v3
	v_ashrrev_i32_e32 v3, 31, v2
	v_lshl_add_u64 v[16:17], v[2:3], 2, s[14:15]
	global_store_dword v[16:17], v18, off
	v_mul_lo_u32 v18, s35, v2
	v_mul_lo_u32 v3, s36, v3
	v_mad_u64_u32 v[16:17], s[0:1], s36, v2, 0
	v_add3_u32 v17, v17, v3, v18
	v_lshlrev_b64 v[16:17], 3, v[16:17]
	v_lshl_add_u64 v[18:19], v[4:5], 0, v[16:17]
	v_lshl_add_u64 v[16:17], v[6:7], 0, v[16:17]
	s_and_saveexec_b64 s[0:1], s[20:21]
	s_cbranch_execz .LBB87_26
; %bb.23:                               ;   in Loop: Header=BB87_11 Depth=1
	s_and_b64 vcc, exec, s[18:19]
	s_cbranch_vccz .LBB87_37
; %bb.24:                               ;   in Loop: Header=BB87_11 Depth=1
	ds_read_b64 v[34:35], v28
	v_lshl_add_u64 v[36:37], v[0:1], 3, v[18:19]
	s_waitcnt lgkmcnt(0)
	global_store_dwordx2 v[36:37], v[34:35], off
	s_cbranch_execnz .LBB87_26
.LBB87_25:                              ;   in Loop: Header=BB87_11 Depth=1
	ds_read_b64 v[34:35], v28
	s_waitcnt lgkmcnt(0)
	global_store_dwordx2 v[16:17], v[34:35], off
.LBB87_26:                              ;   in Loop: Header=BB87_11 Depth=1
	s_or_b64 exec, exec, s[0:1]
	v_cndmask_b32_e64 v3, 0, 1, s[18:19]
	v_cmp_ne_u32_e64 s[0:1], 1, v3
	s_and_saveexec_b64 s[28:29], s[2:3]
	s_cbranch_execz .LBB87_30
; %bb.27:                               ;   in Loop: Header=BB87_11 Depth=1
	s_and_b64 vcc, exec, s[0:1]
	s_cbranch_vccnz .LBB87_38
; %bb.28:                               ;   in Loop: Header=BB87_11 Depth=1
	ds_read_b64 v[34:35], v28 offset:128
	v_lshl_add_u64 v[36:37], v[8:9], 3, v[18:19]
	s_waitcnt lgkmcnt(0)
	global_store_dwordx2 v[36:37], v[34:35], off
	s_cbranch_execnz .LBB87_30
.LBB87_29:                              ;   in Loop: Header=BB87_11 Depth=1
	ds_read_b64 v[34:35], v28 offset:128
	s_waitcnt lgkmcnt(0)
	global_store_dwordx2 v[16:17], v[34:35], off offset:128
.LBB87_30:                              ;   in Loop: Header=BB87_11 Depth=1
	s_or_b64 exec, exec, s[28:29]
	s_and_saveexec_b64 s[28:29], s[4:5]
	s_cbranch_execz .LBB87_34
; %bb.31:                               ;   in Loop: Header=BB87_11 Depth=1
	s_and_b64 vcc, exec, s[0:1]
	s_cbranch_vccnz .LBB87_39
; %bb.32:                               ;   in Loop: Header=BB87_11 Depth=1
	ds_read_b64 v[34:35], v28 offset:256
	v_lshl_add_u64 v[36:37], v[10:11], 3, v[18:19]
	s_waitcnt lgkmcnt(0)
	global_store_dwordx2 v[36:37], v[34:35], off
	s_cbranch_execnz .LBB87_34
.LBB87_33:                              ;   in Loop: Header=BB87_11 Depth=1
	ds_read_b64 v[34:35], v28 offset:256
	s_waitcnt lgkmcnt(0)
	global_store_dwordx2 v[16:17], v[34:35], off offset:256
.LBB87_34:                              ;   in Loop: Header=BB87_11 Depth=1
	s_or_b64 exec, exec, s[28:29]
	v_mov_b32_e32 v21, 1
	s_and_saveexec_b64 s[28:29], s[6:7]
	s_cbranch_execz .LBB87_9
; %bb.35:                               ;   in Loop: Header=BB87_11 Depth=1
	s_and_b64 vcc, exec, s[0:1]
	s_cbranch_vccnz .LBB87_40
; %bb.36:                               ;   in Loop: Header=BB87_11 Depth=1
	ds_read_b64 v[34:35], v28 offset:384
	v_lshl_add_u64 v[18:19], v[12:13], 3, v[18:19]
	s_mov_b32 s30, 1
	s_waitcnt lgkmcnt(0)
	global_store_dwordx2 v[18:19], v[34:35], off
	s_cbranch_execnz .LBB87_8
	s_branch .LBB87_41
.LBB87_37:                              ;   in Loop: Header=BB87_11 Depth=1
	s_branch .LBB87_25
.LBB87_38:                              ;   in Loop: Header=BB87_11 Depth=1
	s_branch .LBB87_29
.LBB87_39:                              ;   in Loop: Header=BB87_11 Depth=1
	s_branch .LBB87_33
.LBB87_40:                              ;   in Loop: Header=BB87_11 Depth=1
                                        ; implicit-def: $sgpr30
.LBB87_41:                              ;   in Loop: Header=BB87_11 Depth=1
	ds_read_b64 v[18:19], v28 offset:384
	s_mov_b32 s30, 1
	s_waitcnt lgkmcnt(0)
	global_store_dwordx2 v[16:17], v[18:19], off offset:384
	s_branch .LBB87_8
.LBB87_42:
	s_endpgm
	.section	.rodata,"a",@progbits
	.p2align	6, 0x0
	.amdhsa_kernel _ZN9rocsparseL44csr2gebsr_wavefront_per_row_multipass_kernelILi256ELi4ELi64ELi64EdEEv20rocsparse_direction_iiiiii21rocsparse_index_base_PKT3_PKiS7_S2_PS3_PiS9_
		.amdhsa_group_segment_fixed_size 8200
		.amdhsa_private_segment_fixed_size 0
		.amdhsa_kernarg_size 88
		.amdhsa_user_sgpr_count 2
		.amdhsa_user_sgpr_dispatch_ptr 0
		.amdhsa_user_sgpr_queue_ptr 0
		.amdhsa_user_sgpr_kernarg_segment_ptr 1
		.amdhsa_user_sgpr_dispatch_id 0
		.amdhsa_user_sgpr_kernarg_preload_length 0
		.amdhsa_user_sgpr_kernarg_preload_offset 0
		.amdhsa_user_sgpr_private_segment_size 0
		.amdhsa_uses_dynamic_stack 0
		.amdhsa_enable_private_segment 0
		.amdhsa_system_sgpr_workgroup_id_x 1
		.amdhsa_system_sgpr_workgroup_id_y 0
		.amdhsa_system_sgpr_workgroup_id_z 0
		.amdhsa_system_sgpr_workgroup_info 0
		.amdhsa_system_vgpr_workitem_id 0
		.amdhsa_next_free_vgpr 40
		.amdhsa_next_free_sgpr 37
		.amdhsa_accum_offset 40
		.amdhsa_reserve_vcc 1
		.amdhsa_float_round_mode_32 0
		.amdhsa_float_round_mode_16_64 0
		.amdhsa_float_denorm_mode_32 3
		.amdhsa_float_denorm_mode_16_64 3
		.amdhsa_dx10_clamp 1
		.amdhsa_ieee_mode 1
		.amdhsa_fp16_overflow 0
		.amdhsa_tg_split 0
		.amdhsa_exception_fp_ieee_invalid_op 0
		.amdhsa_exception_fp_denorm_src 0
		.amdhsa_exception_fp_ieee_div_zero 0
		.amdhsa_exception_fp_ieee_overflow 0
		.amdhsa_exception_fp_ieee_underflow 0
		.amdhsa_exception_fp_ieee_inexact 0
		.amdhsa_exception_int_div_zero 0
	.end_amdhsa_kernel
	.section	.text._ZN9rocsparseL44csr2gebsr_wavefront_per_row_multipass_kernelILi256ELi4ELi64ELi64EdEEv20rocsparse_direction_iiiiii21rocsparse_index_base_PKT3_PKiS7_S2_PS3_PiS9_,"axG",@progbits,_ZN9rocsparseL44csr2gebsr_wavefront_per_row_multipass_kernelILi256ELi4ELi64ELi64EdEEv20rocsparse_direction_iiiiii21rocsparse_index_base_PKT3_PKiS7_S2_PS3_PiS9_,comdat
.Lfunc_end87:
	.size	_ZN9rocsparseL44csr2gebsr_wavefront_per_row_multipass_kernelILi256ELi4ELi64ELi64EdEEv20rocsparse_direction_iiiiii21rocsparse_index_base_PKT3_PKiS7_S2_PS3_PiS9_, .Lfunc_end87-_ZN9rocsparseL44csr2gebsr_wavefront_per_row_multipass_kernelILi256ELi4ELi64ELi64EdEEv20rocsparse_direction_iiiiii21rocsparse_index_base_PKT3_PKiS7_S2_PS3_PiS9_
                                        ; -- End function
	.section	.AMDGPU.csdata,"",@progbits
; Kernel info:
; codeLenInByte = 1632
; NumSgprs: 43
; NumVgprs: 40
; NumAgprs: 0
; TotalNumVgprs: 40
; ScratchSize: 0
; MemoryBound: 0
; FloatMode: 240
; IeeeMode: 1
; LDSByteSize: 8200 bytes/workgroup (compile time only)
; SGPRBlocks: 5
; VGPRBlocks: 4
; NumSGPRsForWavesPerEU: 43
; NumVGPRsForWavesPerEU: 40
; AccumOffset: 40
; Occupancy: 7
; WaveLimiterHint : 0
; COMPUTE_PGM_RSRC2:SCRATCH_EN: 0
; COMPUTE_PGM_RSRC2:USER_SGPR: 2
; COMPUTE_PGM_RSRC2:TRAP_HANDLER: 0
; COMPUTE_PGM_RSRC2:TGID_X_EN: 1
; COMPUTE_PGM_RSRC2:TGID_Y_EN: 0
; COMPUTE_PGM_RSRC2:TGID_Z_EN: 0
; COMPUTE_PGM_RSRC2:TIDIG_COMP_CNT: 0
; COMPUTE_PGM_RSRC3_GFX90A:ACCUM_OFFSET: 9
; COMPUTE_PGM_RSRC3_GFX90A:TG_SPLIT: 0
	.section	.text._ZN9rocsparseL44csr2gebsr_wavefront_per_row_multipass_kernelILi256ELi4ELi64ELi32EdEEv20rocsparse_direction_iiiiii21rocsparse_index_base_PKT3_PKiS7_S2_PS3_PiS9_,"axG",@progbits,_ZN9rocsparseL44csr2gebsr_wavefront_per_row_multipass_kernelILi256ELi4ELi64ELi32EdEEv20rocsparse_direction_iiiiii21rocsparse_index_base_PKT3_PKiS7_S2_PS3_PiS9_,comdat
	.globl	_ZN9rocsparseL44csr2gebsr_wavefront_per_row_multipass_kernelILi256ELi4ELi64ELi32EdEEv20rocsparse_direction_iiiiii21rocsparse_index_base_PKT3_PKiS7_S2_PS3_PiS9_ ; -- Begin function _ZN9rocsparseL44csr2gebsr_wavefront_per_row_multipass_kernelILi256ELi4ELi64ELi32EdEEv20rocsparse_direction_iiiiii21rocsparse_index_base_PKT3_PKiS7_S2_PS3_PiS9_
	.p2align	8
	.type	_ZN9rocsparseL44csr2gebsr_wavefront_per_row_multipass_kernelILi256ELi4ELi64ELi32EdEEv20rocsparse_direction_iiiiii21rocsparse_index_base_PKT3_PKiS7_S2_PS3_PiS9_,@function
_ZN9rocsparseL44csr2gebsr_wavefront_per_row_multipass_kernelILi256ELi4ELi64ELi32EdEEv20rocsparse_direction_iiiiii21rocsparse_index_base_PKT3_PKiS7_S2_PS3_PiS9_: ; @_ZN9rocsparseL44csr2gebsr_wavefront_per_row_multipass_kernelILi256ELi4ELi64ELi32EdEEv20rocsparse_direction_iiiiii21rocsparse_index_base_PKT3_PKiS7_S2_PS3_PiS9_
; %bb.0:
	s_load_dwordx2 s[4:5], s[0:1], 0x0
	s_load_dwordx4 s[16:19], s[0:1], 0xc
	s_load_dword s33, s[0:1], 0x1c
	s_load_dwordx2 s[6:7], s[0:1], 0x28
	v_lshrrev_b32_e32 v32, 5, v0
	v_bfe_u32 v8, v0, 3, 2
	v_lshl_or_b32 v4, s2, 3, v32
	s_waitcnt lgkmcnt(0)
	v_mad_u64_u32 v[2:3], s[2:3], v4, s18, v[8:9]
	v_cmp_gt_i32_e64 s[2:3], s5, v2
	v_cmp_gt_i32_e32 vcc, s18, v8
	s_and_b64 s[2:3], vcc, s[2:3]
	v_mov_b32_e32 v33, 0
	v_mov_b32_e32 v22, 0
	s_and_saveexec_b64 s[8:9], s[2:3]
	s_cbranch_execz .LBB88_2
; %bb.1:
	v_ashrrev_i32_e32 v3, 31, v2
	v_lshl_add_u64 v[6:7], v[2:3], 2, s[6:7]
	global_load_dword v1, v[6:7], off
	s_waitcnt vmcnt(0)
	v_subrev_u32_e32 v22, s33, v1
.LBB88_2:
	s_or_b64 exec, exec, s[8:9]
	s_and_saveexec_b64 s[8:9], s[2:3]
	s_cbranch_execz .LBB88_4
; %bb.3:
	v_ashrrev_i32_e32 v3, 31, v2
	v_lshl_add_u64 v[2:3], v[2:3], 2, s[6:7]
	global_load_dword v1, v[2:3], off offset:4
	s_waitcnt vmcnt(0)
	v_subrev_u32_e32 v33, s33, v1
.LBB88_4:
	s_or_b64 exec, exec, s[8:9]
	s_load_dword s40, s[0:1], 0x38
	v_cmp_gt_i32_e64 s[2:3], s16, v4
	v_mov_b32_e32 v2, 0
	s_and_saveexec_b64 s[6:7], s[2:3]
	s_cbranch_execz .LBB88_6
; %bb.5:
	s_load_dwordx2 s[2:3], s[0:1], 0x48
	v_ashrrev_i32_e32 v5, 31, v4
	s_waitcnt lgkmcnt(0)
	v_lshl_add_u64 v[2:3], v[4:5], 2, s[2:3]
	global_load_dword v1, v[2:3], off
	s_waitcnt vmcnt(0)
	v_subrev_u32_e32 v2, s40, v1
.LBB88_6:
	s_or_b64 exec, exec, s[6:7]
	s_cmp_lt_i32 s17, 1
	s_cbranch_scc1 .LBB88_60
; %bb.7:
	s_load_dwordx2 s[20:21], s[0:1], 0x20
	s_load_dwordx2 s[22:23], s[0:1], 0x50
	s_load_dwordx2 s[2:3], s[0:1], 0x40
	s_load_dwordx2 s[24:25], s[0:1], 0x30
	v_lshlrev_b32_e32 v1, 8, v32
	v_lshl_or_b32 v34, v8, 6, v1
	v_lshlrev_b32_e32 v4, 3, v8
	v_mul_lo_u32 v8, v8, s19
	v_and_b32_e32 v0, 7, v0
	v_mbcnt_lo_u32_b32 v1, -1, 0
	s_cmp_lg_u32 s4, 0
	v_mov_b32_e32 v5, 0
	v_ashrrev_i32_e32 v9, 31, v8
	v_mbcnt_hi_u32_b32 v1, -1, v1
	s_cselect_b64 s[26:27], -1, 0
	s_ashr_i32 s16, s19, 31
	s_waitcnt lgkmcnt(0)
	v_lshl_add_u64 v[6:7], s[2:3], 0, v[4:5]
	v_lshl_add_u64 v[8:9], v[8:9], 3, s[2:3]
	v_lshlrev_b32_e32 v4, 3, v0
	v_lshlrev_b32_e32 v3, 2, v1
	v_or_b32_e32 v10, v34, v0
	s_mul_hi_u32 s0, s19, s18
	s_mul_i32 s1, s16, s18
	s_mul_i32 s42, s19, s18
	v_lshl_add_u64 v[8:9], v[8:9], 0, v[4:5]
	v_mul_lo_u32 v4, v0, s18
	s_lshl_b32 s18, s18, 3
	v_or_b32_e32 v36, 28, v3
	v_or_b32_e32 v37, 0x7c, v3
	v_lshlrev_b32_e32 v38, 3, v10
	v_or_b32_e32 v3, 8, v0
	v_add_u32_e32 v10, s18, v4
	v_cmp_gt_u32_e64 s[2:3], s19, v3
	v_or_b32_e32 v3, 16, v0
	v_add_u32_e32 v12, s18, v10
	v_cmp_gt_u32_e64 s[4:5], s19, v3
	;; [unrolled: 3-line block ×6, first 2 shown]
	v_or_b32_e32 v3, 56, v0
	v_add_u32_e32 v24, s18, v20
	s_abs_i32 s18, s19
	v_cmp_gt_u32_e64 s[14:15], s19, v3
	v_cvt_f32_u32_e32 v3, s18
	s_add_i32 s41, s0, s1
	v_cmp_gt_u32_e64 s[0:1], s19, v0
	s_and_b64 s[28:29], s[0:1], vcc
	v_rcp_iflag_f32_e32 v3, v3
	s_sub_i32 s0, 0, s18
	s_mov_b32 s36, 0
	s_mov_b32 s37, s36
	v_mul_f32_e32 v3, 0x4f7ffffe, v3
	v_cvt_u32_f32_e32 v3, v3
	v_mov_b32_e32 v35, 0
	v_mov_b32_e32 v1, v5
	;; [unrolled: 1-line block ×3, first 2 shown]
	v_mul_lo_u32 v23, s0, v3
	v_mul_hi_u32 v23, v3, v23
	v_add_u32_e32 v39, v3, v23
	v_cndmask_b32_e64 v3, 0, 1, s[26:27]
	v_mov_b32_e32 v13, v5
	v_mov_b32_e32 v15, v5
	;; [unrolled: 1-line block ×6, first 2 shown]
	s_and_b64 s[30:31], vcc, s[2:3]
	s_and_b64 s[4:5], vcc, s[4:5]
	s_and_b64 s[6:7], vcc, s[6:7]
	s_and_b64 s[8:9], vcc, s[8:9]
	s_and_b64 s[10:11], vcc, s[10:11]
	s_and_b64 s[12:13], vcc, s[12:13]
	s_and_b64 s[14:15], vcc, s[14:15]
	s_mov_b64 s[34:35], 0
	v_mov_b64_e32 v[26:27], s[36:37]
	v_cmp_ne_u32_e64 s[0:1], 1, v3
	v_mov_b32_e32 v40, 1
	v_mov_b32_e32 v3, 0
	s_branch .LBB88_11
.LBB88_8:                               ;   in Loop: Header=BB88_11 Depth=1
	v_mov_b32_e32 v23, s43
.LBB88_9:                               ;   in Loop: Header=BB88_11 Depth=1
	s_or_b64 exec, exec, s[36:37]
.LBB88_10:                              ;   in Loop: Header=BB88_11 Depth=1
	s_or_b64 exec, exec, s[2:3]
	v_mov_b32_dpp v3, v41 row_shr:1 row_mask:0xf bank_mask:0xf
	v_min_i32_e32 v3, v3, v41
	v_add_u32_e32 v2, v23, v2
	s_waitcnt lgkmcnt(0)
	v_mov_b32_dpp v28, v3 row_shr:2 row_mask:0xf bank_mask:0xf
	v_min_i32_e32 v3, v28, v3
	s_nop 1
	v_mov_b32_dpp v28, v3 row_shr:4 row_mask:0xf bank_mask:0xe
	v_min_i32_e32 v3, v28, v3
	s_nop 1
	;; [unrolled: 3-line block ×3, first 2 shown]
	v_mov_b32_dpp v28, v3 row_bcast:15 row_mask:0xa bank_mask:0xf
	v_min_i32_e32 v3, v28, v3
	ds_bpermute_b32 v3, v37, v3
	s_waitcnt lgkmcnt(0)
	v_cmp_le_i32_e32 vcc, s17, v3
	s_or_b64 s[34:35], vcc, s[34:35]
	s_andn2_b64 exec, exec, s[34:35]
	s_cbranch_execz .LBB88_60
.LBB88_11:                              ; =>This Loop Header: Depth=1
                                        ;     Child Loop BB88_14 Depth 2
	v_add_u32_e32 v30, v22, v0
	v_cmp_lt_i32_e32 vcc, v30, v33
	v_mov_b32_e32 v41, s17
	v_mov_b32_e32 v42, v33
	ds_write_b8 v32, v35 offset:16384
	ds_write2_b64 v38, v[26:27], v[26:27] offset1:8
	ds_write2_b64 v38, v[26:27], v[26:27] offset0:16 offset1:24
	ds_write2_b64 v38, v[26:27], v[26:27] offset0:32 offset1:40
	;; [unrolled: 1-line block ×3, first 2 shown]
	s_waitcnt lgkmcnt(0)
	s_and_saveexec_b64 s[36:37], vcc
	s_cbranch_execz .LBB88_19
; %bb.12:                               ;   in Loop: Header=BB88_11 Depth=1
	v_ashrrev_i32_e32 v23, 31, v22
	v_lshl_add_u64 v[28:29], v[0:1], 0, v[22:23]
	v_mul_lo_u32 v31, v3, s19
	v_lshl_add_u64 v[22:23], v[28:29], 2, s[24:25]
	v_lshl_add_u64 v[28:29], v[28:29], 3, s[20:21]
	s_mov_b64 s[38:39], 0
	v_mov_b32_e32 v41, s17
	v_mov_b32_e32 v42, v33
	s_branch .LBB88_14
.LBB88_13:                              ;   in Loop: Header=BB88_14 Depth=2
	s_or_b64 exec, exec, s[2:3]
	v_add_u32_e32 v30, 8, v30
	v_cmp_ge_i32_e64 s[2:3], v30, v33
	s_xor_b64 s[44:45], vcc, -1
	s_or_b64 s[2:3], s[44:45], s[2:3]
	s_and_b64 s[2:3], exec, s[2:3]
	v_lshl_add_u64 v[22:23], v[22:23], 0, 32
	s_or_b64 s[38:39], s[2:3], s[38:39]
	v_lshl_add_u64 v[28:29], v[28:29], 0, 64
	s_andn2_b64 exec, exec, s[38:39]
	s_cbranch_execz .LBB88_18
.LBB88_14:                              ;   Parent Loop BB88_11 Depth=1
                                        ; =>  This Inner Loop Header: Depth=2
	global_load_dword v43, v[22:23], off
	s_waitcnt vmcnt(0)
	v_subrev_u32_e32 v43, s33, v43
	v_sub_u32_e32 v45, 0, v43
	v_max_i32_e32 v45, v43, v45
	v_mul_hi_u32 v46, v45, v39
	v_mul_lo_u32 v47, v46, s18
	v_sub_u32_e32 v45, v45, v47
	v_add_u32_e32 v48, 1, v46
	v_cmp_le_u32_e32 vcc, s18, v45
	v_subrev_u32_e32 v47, s18, v45
	v_ashrrev_i32_e32 v44, 31, v43
	v_cndmask_b32_e32 v46, v46, v48, vcc
	v_cndmask_b32_e32 v45, v45, v47, vcc
	v_add_u32_e32 v47, 1, v46
	v_cmp_le_u32_e32 vcc, s18, v45
	v_xor_b32_e32 v44, s16, v44
	s_nop 0
	v_cndmask_b32_e32 v45, v46, v47, vcc
	v_xor_b32_e32 v45, v45, v44
	v_sub_u32_e32 v45, v45, v44
	v_cmp_eq_u32_e32 vcc, v45, v3
	v_cmp_ne_u32_e64 s[2:3], v45, v3
	v_mov_b32_e32 v44, v42
	s_and_saveexec_b64 s[44:45], s[2:3]
	s_xor_b64 s[2:3], exec, s[44:45]
; %bb.15:                               ;   in Loop: Header=BB88_14 Depth=2
	v_min_i32_e32 v41, v45, v41
                                        ; implicit-def: $vgpr43
                                        ; implicit-def: $vgpr44
; %bb.16:                               ;   in Loop: Header=BB88_14 Depth=2
	s_or_saveexec_b64 s[2:3], s[2:3]
	v_mov_b32_e32 v42, v30
	s_xor_b64 exec, exec, s[2:3]
	s_cbranch_execz .LBB88_13
; %bb.17:                               ;   in Loop: Header=BB88_14 Depth=2
	global_load_dwordx2 v[46:47], v[28:29], off
	v_sub_u32_e32 v42, v43, v31
	v_add_lshl_u32 v42, v34, v42, 3
	ds_write_b8 v32, v40 offset:16384
	s_waitcnt vmcnt(0)
	ds_write_b64 v42, v[46:47]
	v_mov_b32_e32 v42, v44
	s_branch .LBB88_13
.LBB88_18:                              ;   in Loop: Header=BB88_11 Depth=1
	s_or_b64 exec, exec, s[38:39]
.LBB88_19:                              ;   in Loop: Header=BB88_11 Depth=1
	s_or_b64 exec, exec, s[36:37]
	v_mov_b32_dpp v22, v42 row_shr:1 row_mask:0xf bank_mask:0xf
	v_min_i32_e32 v22, v22, v42
	s_waitcnt lgkmcnt(0)
	s_nop 0
	v_mov_b32_dpp v23, v22 row_shr:2 row_mask:0xf bank_mask:0xf
	v_min_i32_e32 v22, v23, v22
	ds_read_u8 v23, v32 offset:16384
	s_waitcnt lgkmcnt(0)
	v_and_b32_e32 v23, 1, v23
	v_mov_b32_dpp v28, v22 row_shr:4 row_mask:0xf bank_mask:0xe
	v_min_i32_e32 v22, v28, v22
	ds_bpermute_b32 v22, v36, v22
	v_cmp_eq_u32_e32 vcc, 1, v23
	v_mov_b32_e32 v23, 0
	s_and_saveexec_b64 s[2:3], vcc
	s_cbranch_execz .LBB88_10
; %bb.20:                               ;   in Loop: Header=BB88_11 Depth=1
	v_add_u32_e32 v23, s40, v3
	v_ashrrev_i32_e32 v3, 31, v2
	v_lshl_add_u64 v[28:29], v[2:3], 2, s[22:23]
	global_store_dword v[28:29], v23, off
	v_mul_lo_u32 v23, s41, v2
	v_mul_lo_u32 v3, s42, v3
	v_mad_u64_u32 v[28:29], s[36:37], s42, v2, 0
	v_add3_u32 v29, v29, v3, v23
	v_lshlrev_b64 v[28:29], 3, v[28:29]
	v_lshl_add_u64 v[30:31], v[6:7], 0, v[28:29]
	v_lshl_add_u64 v[28:29], v[8:9], 0, v[28:29]
	s_and_saveexec_b64 s[36:37], s[28:29]
	s_cbranch_execz .LBB88_24
; %bb.21:                               ;   in Loop: Header=BB88_11 Depth=1
	s_and_b64 vcc, exec, s[26:27]
	s_cbranch_vccz .LBB88_51
; %bb.22:                               ;   in Loop: Header=BB88_11 Depth=1
	ds_read_b64 v[42:43], v38
	v_lshl_add_u64 v[44:45], v[4:5], 3, v[30:31]
	s_waitcnt lgkmcnt(0)
	global_store_dwordx2 v[44:45], v[42:43], off
	s_cbranch_execnz .LBB88_24
.LBB88_23:                              ;   in Loop: Header=BB88_11 Depth=1
	ds_read_b64 v[42:43], v38
	s_waitcnt lgkmcnt(0)
	global_store_dwordx2 v[28:29], v[42:43], off
.LBB88_24:                              ;   in Loop: Header=BB88_11 Depth=1
	s_or_b64 exec, exec, s[36:37]
	s_and_saveexec_b64 s[36:37], s[30:31]
	s_cbranch_execz .LBB88_28
; %bb.25:                               ;   in Loop: Header=BB88_11 Depth=1
	s_and_b64 vcc, exec, s[0:1]
	s_cbranch_vccnz .LBB88_52
; %bb.26:                               ;   in Loop: Header=BB88_11 Depth=1
	ds_read_b64 v[42:43], v38 offset:64
	v_lshl_add_u64 v[44:45], v[10:11], 3, v[30:31]
	s_waitcnt lgkmcnt(0)
	global_store_dwordx2 v[44:45], v[42:43], off
	s_cbranch_execnz .LBB88_28
.LBB88_27:                              ;   in Loop: Header=BB88_11 Depth=1
	ds_read_b64 v[42:43], v38 offset:64
	s_waitcnt lgkmcnt(0)
	global_store_dwordx2 v[28:29], v[42:43], off offset:64
.LBB88_28:                              ;   in Loop: Header=BB88_11 Depth=1
	s_or_b64 exec, exec, s[36:37]
	s_and_saveexec_b64 s[36:37], s[4:5]
	s_cbranch_execz .LBB88_32
; %bb.29:                               ;   in Loop: Header=BB88_11 Depth=1
	s_and_b64 vcc, exec, s[0:1]
	s_cbranch_vccnz .LBB88_53
; %bb.30:                               ;   in Loop: Header=BB88_11 Depth=1
	ds_read_b64 v[42:43], v38 offset:128
	v_lshl_add_u64 v[44:45], v[12:13], 3, v[30:31]
	s_waitcnt lgkmcnt(0)
	global_store_dwordx2 v[44:45], v[42:43], off
	s_cbranch_execnz .LBB88_32
.LBB88_31:                              ;   in Loop: Header=BB88_11 Depth=1
	ds_read_b64 v[42:43], v38 offset:128
	s_waitcnt lgkmcnt(0)
	global_store_dwordx2 v[28:29], v[42:43], off offset:128
.LBB88_32:                              ;   in Loop: Header=BB88_11 Depth=1
	s_or_b64 exec, exec, s[36:37]
	s_and_saveexec_b64 s[36:37], s[6:7]
	s_cbranch_execz .LBB88_36
; %bb.33:                               ;   in Loop: Header=BB88_11 Depth=1
	s_and_b64 vcc, exec, s[0:1]
	s_cbranch_vccnz .LBB88_54
; %bb.34:                               ;   in Loop: Header=BB88_11 Depth=1
	ds_read_b64 v[42:43], v38 offset:192
	v_lshl_add_u64 v[44:45], v[14:15], 3, v[30:31]
	s_waitcnt lgkmcnt(0)
	global_store_dwordx2 v[44:45], v[42:43], off
	s_cbranch_execnz .LBB88_36
.LBB88_35:                              ;   in Loop: Header=BB88_11 Depth=1
	ds_read_b64 v[42:43], v38 offset:192
	s_waitcnt lgkmcnt(0)
	global_store_dwordx2 v[28:29], v[42:43], off offset:192
.LBB88_36:                              ;   in Loop: Header=BB88_11 Depth=1
	s_or_b64 exec, exec, s[36:37]
	s_and_saveexec_b64 s[36:37], s[8:9]
	s_cbranch_execz .LBB88_40
; %bb.37:                               ;   in Loop: Header=BB88_11 Depth=1
	s_and_b64 vcc, exec, s[0:1]
	s_cbranch_vccnz .LBB88_55
; %bb.38:                               ;   in Loop: Header=BB88_11 Depth=1
	ds_read_b64 v[42:43], v38 offset:256
	v_lshl_add_u64 v[44:45], v[16:17], 3, v[30:31]
	s_waitcnt lgkmcnt(0)
	global_store_dwordx2 v[44:45], v[42:43], off
	s_cbranch_execnz .LBB88_40
.LBB88_39:                              ;   in Loop: Header=BB88_11 Depth=1
	ds_read_b64 v[42:43], v38 offset:256
	s_waitcnt lgkmcnt(0)
	global_store_dwordx2 v[28:29], v[42:43], off offset:256
.LBB88_40:                              ;   in Loop: Header=BB88_11 Depth=1
	s_or_b64 exec, exec, s[36:37]
	s_and_saveexec_b64 s[36:37], s[10:11]
	s_cbranch_execz .LBB88_44
; %bb.41:                               ;   in Loop: Header=BB88_11 Depth=1
	s_and_b64 vcc, exec, s[0:1]
	s_cbranch_vccnz .LBB88_56
; %bb.42:                               ;   in Loop: Header=BB88_11 Depth=1
	ds_read_b64 v[42:43], v38 offset:320
	v_lshl_add_u64 v[44:45], v[18:19], 3, v[30:31]
	s_waitcnt lgkmcnt(0)
	global_store_dwordx2 v[44:45], v[42:43], off
	s_cbranch_execnz .LBB88_44
.LBB88_43:                              ;   in Loop: Header=BB88_11 Depth=1
	ds_read_b64 v[42:43], v38 offset:320
	s_waitcnt lgkmcnt(0)
	global_store_dwordx2 v[28:29], v[42:43], off offset:320
.LBB88_44:                              ;   in Loop: Header=BB88_11 Depth=1
	s_or_b64 exec, exec, s[36:37]
	s_and_saveexec_b64 s[36:37], s[12:13]
	s_cbranch_execz .LBB88_48
; %bb.45:                               ;   in Loop: Header=BB88_11 Depth=1
	s_and_b64 vcc, exec, s[0:1]
	s_cbranch_vccnz .LBB88_57
; %bb.46:                               ;   in Loop: Header=BB88_11 Depth=1
	ds_read_b64 v[42:43], v38 offset:384
	v_lshl_add_u64 v[44:45], v[20:21], 3, v[30:31]
	s_waitcnt lgkmcnt(0)
	global_store_dwordx2 v[44:45], v[42:43], off
	s_cbranch_execnz .LBB88_48
.LBB88_47:                              ;   in Loop: Header=BB88_11 Depth=1
	ds_read_b64 v[42:43], v38 offset:384
	s_waitcnt lgkmcnt(0)
	global_store_dwordx2 v[28:29], v[42:43], off offset:384
.LBB88_48:                              ;   in Loop: Header=BB88_11 Depth=1
	s_or_b64 exec, exec, s[36:37]
	v_mov_b32_e32 v23, 1
	s_and_saveexec_b64 s[36:37], s[14:15]
	s_cbranch_execz .LBB88_9
; %bb.49:                               ;   in Loop: Header=BB88_11 Depth=1
	s_and_b64 vcc, exec, s[0:1]
	s_cbranch_vccnz .LBB88_58
; %bb.50:                               ;   in Loop: Header=BB88_11 Depth=1
	ds_read_b64 v[42:43], v38 offset:448
	v_lshl_add_u64 v[30:31], v[24:25], 3, v[30:31]
	s_mov_b32 s43, 1
	s_waitcnt lgkmcnt(0)
	global_store_dwordx2 v[30:31], v[42:43], off
	s_cbranch_execnz .LBB88_8
	s_branch .LBB88_59
.LBB88_51:                              ;   in Loop: Header=BB88_11 Depth=1
	s_branch .LBB88_23
.LBB88_52:                              ;   in Loop: Header=BB88_11 Depth=1
	s_branch .LBB88_27
.LBB88_53:                              ;   in Loop: Header=BB88_11 Depth=1
	s_branch .LBB88_31
.LBB88_54:                              ;   in Loop: Header=BB88_11 Depth=1
	s_branch .LBB88_35
.LBB88_55:                              ;   in Loop: Header=BB88_11 Depth=1
	s_branch .LBB88_39
.LBB88_56:                              ;   in Loop: Header=BB88_11 Depth=1
	s_branch .LBB88_43
.LBB88_57:                              ;   in Loop: Header=BB88_11 Depth=1
	s_branch .LBB88_47
.LBB88_58:                              ;   in Loop: Header=BB88_11 Depth=1
                                        ; implicit-def: $sgpr43
.LBB88_59:                              ;   in Loop: Header=BB88_11 Depth=1
	ds_read_b64 v[30:31], v38 offset:448
	s_mov_b32 s43, 1
	s_waitcnt lgkmcnt(0)
	global_store_dwordx2 v[28:29], v[30:31], off offset:448
	s_branch .LBB88_8
.LBB88_60:
	s_endpgm
	.section	.rodata,"a",@progbits
	.p2align	6, 0x0
	.amdhsa_kernel _ZN9rocsparseL44csr2gebsr_wavefront_per_row_multipass_kernelILi256ELi4ELi64ELi32EdEEv20rocsparse_direction_iiiiii21rocsparse_index_base_PKT3_PKiS7_S2_PS3_PiS9_
		.amdhsa_group_segment_fixed_size 16392
		.amdhsa_private_segment_fixed_size 0
		.amdhsa_kernarg_size 88
		.amdhsa_user_sgpr_count 2
		.amdhsa_user_sgpr_dispatch_ptr 0
		.amdhsa_user_sgpr_queue_ptr 0
		.amdhsa_user_sgpr_kernarg_segment_ptr 1
		.amdhsa_user_sgpr_dispatch_id 0
		.amdhsa_user_sgpr_kernarg_preload_length 0
		.amdhsa_user_sgpr_kernarg_preload_offset 0
		.amdhsa_user_sgpr_private_segment_size 0
		.amdhsa_uses_dynamic_stack 0
		.amdhsa_enable_private_segment 0
		.amdhsa_system_sgpr_workgroup_id_x 1
		.amdhsa_system_sgpr_workgroup_id_y 0
		.amdhsa_system_sgpr_workgroup_id_z 0
		.amdhsa_system_sgpr_workgroup_info 0
		.amdhsa_system_vgpr_workitem_id 0
		.amdhsa_next_free_vgpr 49
		.amdhsa_next_free_sgpr 46
		.amdhsa_accum_offset 52
		.amdhsa_reserve_vcc 1
		.amdhsa_float_round_mode_32 0
		.amdhsa_float_round_mode_16_64 0
		.amdhsa_float_denorm_mode_32 3
		.amdhsa_float_denorm_mode_16_64 3
		.amdhsa_dx10_clamp 1
		.amdhsa_ieee_mode 1
		.amdhsa_fp16_overflow 0
		.amdhsa_tg_split 0
		.amdhsa_exception_fp_ieee_invalid_op 0
		.amdhsa_exception_fp_denorm_src 0
		.amdhsa_exception_fp_ieee_div_zero 0
		.amdhsa_exception_fp_ieee_overflow 0
		.amdhsa_exception_fp_ieee_underflow 0
		.amdhsa_exception_fp_ieee_inexact 0
		.amdhsa_exception_int_div_zero 0
	.end_amdhsa_kernel
	.section	.text._ZN9rocsparseL44csr2gebsr_wavefront_per_row_multipass_kernelILi256ELi4ELi64ELi32EdEEv20rocsparse_direction_iiiiii21rocsparse_index_base_PKT3_PKiS7_S2_PS3_PiS9_,"axG",@progbits,_ZN9rocsparseL44csr2gebsr_wavefront_per_row_multipass_kernelILi256ELi4ELi64ELi32EdEEv20rocsparse_direction_iiiiii21rocsparse_index_base_PKT3_PKiS7_S2_PS3_PiS9_,comdat
.Lfunc_end88:
	.size	_ZN9rocsparseL44csr2gebsr_wavefront_per_row_multipass_kernelILi256ELi4ELi64ELi32EdEEv20rocsparse_direction_iiiiii21rocsparse_index_base_PKT3_PKiS7_S2_PS3_PiS9_, .Lfunc_end88-_ZN9rocsparseL44csr2gebsr_wavefront_per_row_multipass_kernelILi256ELi4ELi64ELi32EdEEv20rocsparse_direction_iiiiii21rocsparse_index_base_PKT3_PKiS7_S2_PS3_PiS9_
                                        ; -- End function
	.section	.AMDGPU.csdata,"",@progbits
; Kernel info:
; codeLenInByte = 1988
; NumSgprs: 52
; NumVgprs: 49
; NumAgprs: 0
; TotalNumVgprs: 49
; ScratchSize: 0
; MemoryBound: 0
; FloatMode: 240
; IeeeMode: 1
; LDSByteSize: 16392 bytes/workgroup (compile time only)
; SGPRBlocks: 6
; VGPRBlocks: 6
; NumSGPRsForWavesPerEU: 52
; NumVGPRsForWavesPerEU: 49
; AccumOffset: 52
; Occupancy: 3
; WaveLimiterHint : 0
; COMPUTE_PGM_RSRC2:SCRATCH_EN: 0
; COMPUTE_PGM_RSRC2:USER_SGPR: 2
; COMPUTE_PGM_RSRC2:TRAP_HANDLER: 0
; COMPUTE_PGM_RSRC2:TGID_X_EN: 1
; COMPUTE_PGM_RSRC2:TGID_Y_EN: 0
; COMPUTE_PGM_RSRC2:TGID_Z_EN: 0
; COMPUTE_PGM_RSRC2:TIDIG_COMP_CNT: 0
; COMPUTE_PGM_RSRC3_GFX90A:ACCUM_OFFSET: 12
; COMPUTE_PGM_RSRC3_GFX90A:TG_SPLIT: 0
	.section	.text._ZN9rocsparseL44csr2gebsr_wavefront_per_row_multipass_kernelILi256ELi8ELi2ELi16EdEEv20rocsparse_direction_iiiiii21rocsparse_index_base_PKT3_PKiS7_S2_PS3_PiS9_,"axG",@progbits,_ZN9rocsparseL44csr2gebsr_wavefront_per_row_multipass_kernelILi256ELi8ELi2ELi16EdEEv20rocsparse_direction_iiiiii21rocsparse_index_base_PKT3_PKiS7_S2_PS3_PiS9_,comdat
	.globl	_ZN9rocsparseL44csr2gebsr_wavefront_per_row_multipass_kernelILi256ELi8ELi2ELi16EdEEv20rocsparse_direction_iiiiii21rocsparse_index_base_PKT3_PKiS7_S2_PS3_PiS9_ ; -- Begin function _ZN9rocsparseL44csr2gebsr_wavefront_per_row_multipass_kernelILi256ELi8ELi2ELi16EdEEv20rocsparse_direction_iiiiii21rocsparse_index_base_PKT3_PKiS7_S2_PS3_PiS9_
	.p2align	8
	.type	_ZN9rocsparseL44csr2gebsr_wavefront_per_row_multipass_kernelILi256ELi8ELi2ELi16EdEEv20rocsparse_direction_iiiiii21rocsparse_index_base_PKT3_PKiS7_S2_PS3_PiS9_,@function
_ZN9rocsparseL44csr2gebsr_wavefront_per_row_multipass_kernelILi256ELi8ELi2ELi16EdEEv20rocsparse_direction_iiiiii21rocsparse_index_base_PKT3_PKiS7_S2_PS3_PiS9_: ; @_ZN9rocsparseL44csr2gebsr_wavefront_per_row_multipass_kernelILi256ELi8ELi2ELi16EdEEv20rocsparse_direction_iiiiii21rocsparse_index_base_PKT3_PKiS7_S2_PS3_PiS9_
; %bb.0:
	s_load_dwordx2 s[14:15], s[0:1], 0x0
	s_load_dwordx4 s[4:7], s[0:1], 0xc
	s_load_dword s20, s[0:1], 0x1c
	s_load_dwordx2 s[8:9], s[0:1], 0x28
	v_lshrrev_b32_e32 v12, 4, v0
	v_bfe_u32 v6, v0, 1, 3
	v_lshl_or_b32 v4, s2, 4, v12
	s_waitcnt lgkmcnt(0)
	v_mad_u64_u32 v[2:3], s[2:3], v4, s6, v[6:7]
	v_cmp_gt_i32_e64 s[2:3], s15, v2
	v_cmp_gt_i32_e32 vcc, s6, v6
	s_and_b64 s[2:3], vcc, s[2:3]
	v_mov_b32_e32 v13, 0
	v_mov_b32_e32 v8, 0
	s_and_saveexec_b64 s[10:11], s[2:3]
	s_cbranch_execz .LBB89_2
; %bb.1:
	v_ashrrev_i32_e32 v3, 31, v2
	v_lshl_add_u64 v[8:9], v[2:3], 2, s[8:9]
	global_load_dword v1, v[8:9], off
	s_waitcnt vmcnt(0)
	v_subrev_u32_e32 v8, s20, v1
.LBB89_2:
	s_or_b64 exec, exec, s[10:11]
	s_and_saveexec_b64 s[10:11], s[2:3]
	s_cbranch_execz .LBB89_4
; %bb.3:
	v_ashrrev_i32_e32 v3, 31, v2
	v_lshl_add_u64 v[2:3], v[2:3], 2, s[8:9]
	global_load_dword v1, v[2:3], off offset:4
	s_waitcnt vmcnt(0)
	v_subrev_u32_e32 v13, s20, v1
.LBB89_4:
	s_or_b64 exec, exec, s[10:11]
	s_load_dword s21, s[0:1], 0x38
	v_cmp_gt_i32_e64 s[2:3], s4, v4
	v_mov_b32_e32 v2, 0
	s_and_saveexec_b64 s[8:9], s[2:3]
	s_cbranch_execz .LBB89_6
; %bb.5:
	s_load_dwordx2 s[2:3], s[0:1], 0x48
	v_ashrrev_i32_e32 v5, 31, v4
	s_waitcnt lgkmcnt(0)
	v_lshl_add_u64 v[2:3], v[4:5], 2, s[2:3]
	global_load_dword v1, v[2:3], off
	s_waitcnt vmcnt(0)
	v_subrev_u32_e32 v2, s21, v1
.LBB89_6:
	s_or_b64 exec, exec, s[8:9]
	s_cmp_lt_i32 s5, 1
	s_cbranch_scc1 .LBB89_21
; %bb.7:
	v_and_b32_e32 v4, 1, v0
	s_load_dwordx2 s[2:3], s[0:1], 0x20
	s_load_dwordx2 s[8:9], s[0:1], 0x50
	s_load_dwordx2 s[16:17], s[0:1], 0x40
	s_load_dwordx2 s[10:11], s[0:1], 0x30
	v_cmp_gt_u32_e64 s[0:1], s7, v4
	s_and_b64 s[12:13], vcc, s[0:1]
	s_cmp_eq_u32 s14, 0
	s_cselect_b64 vcc, -1, 0
	s_abs_i32 s4, s7
	v_cvt_f32_u32_e32 v9, s4
	v_and_b32_e32 v0, 0xf0, v0
	v_lshl_or_b32 v14, v6, 1, v0
	v_mbcnt_lo_u32_b32 v0, -1, 0
	v_rcp_iflag_f32_e32 v9, v9
	v_mbcnt_hi_u32_b32 v0, -1, v0
	v_lshlrev_b32_e32 v3, 2, v0
	v_mov_b32_e32 v5, 0
	v_or_b32_e32 v15, 4, v3
	v_or_b32_e32 v0, v14, v4
	;; [unrolled: 1-line block ×3, first 2 shown]
	v_mul_f32_e32 v3, 0x4f7ffffe, v9
	v_lshlrev_b32_e32 v16, 3, v0
	v_mul_lo_u32 v0, v4, s6
	v_mov_b32_e32 v1, v5
	v_lshlrev_b32_e32 v10, 3, v6
	v_mul_lo_u32 v6, v6, s7
	v_cvt_u32_f32_e32 v3, v3
	s_waitcnt lgkmcnt(0)
	v_lshl_add_u64 v[0:1], v[0:1], 3, s[16:17]
	v_mov_b32_e32 v11, v5
	v_ashrrev_i32_e32 v7, 31, v6
	s_ashr_i32 s22, s7, 31
	v_lshl_add_u64 v[0:1], v[0:1], 0, v[10:11]
	v_lshl_add_u64 v[6:7], v[6:7], 3, s[16:17]
	v_lshlrev_b32_e32 v10, 3, v4
	s_mul_hi_u32 s0, s7, s6
	s_mul_i32 s1, s22, s6
	v_lshl_add_u64 v[6:7], v[6:7], 0, v[10:11]
	s_add_i32 s23, s0, s1
	s_sub_i32 s0, 0, s4
	v_cndmask_b32_e32 v0, v0, v6, vcc
	v_mul_lo_u32 v6, s0, v3
	v_mul_hi_u32 v6, v3, v6
	s_mul_i32 s6, s7, s6
	v_cndmask_b32_e32 v1, v1, v7, vcc
	v_add_u32_e32 v18, v3, v6
	s_mov_b64 s[14:15], 0
	v_mov_b32_e32 v6, v5
	v_mov_b32_e32 v7, v5
	;; [unrolled: 1-line block ×4, first 2 shown]
	s_branch .LBB89_10
.LBB89_8:                               ;   in Loop: Header=BB89_10 Depth=1
	s_or_b64 exec, exec, s[16:17]
	v_mov_b32_e32 v9, 1
.LBB89_9:                               ;   in Loop: Header=BB89_10 Depth=1
	s_or_b64 exec, exec, s[0:1]
	v_mov_b32_dpp v3, v20 row_shr:1 row_mask:0xf bank_mask:0xf
	v_min_i32_e32 v3, v3, v20
	v_add_u32_e32 v2, v9, v2
	s_waitcnt lgkmcnt(0)
	v_mov_b32_dpp v10, v3 row_shr:2 row_mask:0xf bank_mask:0xf
	v_min_i32_e32 v3, v10, v3
	s_nop 1
	v_mov_b32_dpp v10, v3 row_shr:4 row_mask:0xf bank_mask:0xe
	v_min_i32_e32 v3, v10, v3
	s_nop 1
	v_mov_b32_dpp v10, v3 row_shr:8 row_mask:0xf bank_mask:0xc
	v_min_i32_e32 v3, v10, v3
	ds_bpermute_b32 v3, v17, v3
	s_waitcnt lgkmcnt(0)
	v_cmp_le_i32_e32 vcc, s5, v3
	s_or_b64 s[14:15], vcc, s[14:15]
	s_andn2_b64 exec, exec, s[14:15]
	s_cbranch_execz .LBB89_21
.LBB89_10:                              ; =>This Loop Header: Depth=1
                                        ;     Child Loop BB89_13 Depth 2
	v_add_u32_e32 v21, v8, v4
	v_cmp_lt_i32_e32 vcc, v21, v13
	v_mov_b32_e32 v20, s5
	v_mov_b32_e32 v23, v13
	ds_write_b8 v12, v5 offset:2048
	ds_write_b64 v16, v[6:7]
	s_waitcnt lgkmcnt(0)
	s_and_saveexec_b64 s[16:17], vcc
	s_cbranch_execz .LBB89_18
; %bb.11:                               ;   in Loop: Header=BB89_10 Depth=1
	v_ashrrev_i32_e32 v9, 31, v8
	v_lshl_add_u64 v[10:11], v[4:5], 0, v[8:9]
	v_mul_lo_u32 v22, v3, s7
	v_lshl_add_u64 v[8:9], v[10:11], 2, s[10:11]
	v_lshl_add_u64 v[10:11], v[10:11], 3, s[2:3]
	s_mov_b64 s[18:19], 0
	v_mov_b32_e32 v20, s5
	v_mov_b32_e32 v23, v13
	s_branch .LBB89_13
.LBB89_12:                              ;   in Loop: Header=BB89_13 Depth=2
	s_or_b64 exec, exec, s[0:1]
	v_add_u32_e32 v21, 2, v21
	v_cmp_ge_i32_e64 s[0:1], v21, v13
	s_xor_b64 s[24:25], vcc, -1
	s_or_b64 s[0:1], s[24:25], s[0:1]
	s_and_b64 s[0:1], exec, s[0:1]
	v_lshl_add_u64 v[8:9], v[8:9], 0, 8
	s_or_b64 s[18:19], s[0:1], s[18:19]
	v_lshl_add_u64 v[10:11], v[10:11], 0, 16
	s_andn2_b64 exec, exec, s[18:19]
	s_cbranch_execz .LBB89_17
.LBB89_13:                              ;   Parent Loop BB89_10 Depth=1
                                        ; =>  This Inner Loop Header: Depth=2
	global_load_dword v24, v[8:9], off
	s_waitcnt vmcnt(0)
	v_subrev_u32_e32 v24, s20, v24
	v_sub_u32_e32 v26, 0, v24
	v_max_i32_e32 v26, v24, v26
	v_mul_hi_u32 v27, v26, v18
	v_mul_lo_u32 v28, v27, s4
	v_sub_u32_e32 v26, v26, v28
	v_add_u32_e32 v29, 1, v27
	v_cmp_le_u32_e32 vcc, s4, v26
	v_subrev_u32_e32 v28, s4, v26
	v_ashrrev_i32_e32 v25, 31, v24
	v_cndmask_b32_e32 v27, v27, v29, vcc
	v_cndmask_b32_e32 v26, v26, v28, vcc
	v_add_u32_e32 v28, 1, v27
	v_cmp_le_u32_e32 vcc, s4, v26
	v_xor_b32_e32 v25, s22, v25
	s_nop 0
	v_cndmask_b32_e32 v26, v27, v28, vcc
	v_xor_b32_e32 v26, v26, v25
	v_sub_u32_e32 v26, v26, v25
	v_cmp_eq_u32_e32 vcc, v26, v3
	v_cmp_ne_u32_e64 s[0:1], v26, v3
	v_mov_b32_e32 v25, v23
	s_and_saveexec_b64 s[24:25], s[0:1]
	s_xor_b64 s[0:1], exec, s[24:25]
; %bb.14:                               ;   in Loop: Header=BB89_13 Depth=2
	v_min_i32_e32 v20, v26, v20
                                        ; implicit-def: $vgpr24
                                        ; implicit-def: $vgpr25
; %bb.15:                               ;   in Loop: Header=BB89_13 Depth=2
	s_or_saveexec_b64 s[0:1], s[0:1]
	v_mov_b32_e32 v23, v21
	s_xor_b64 exec, exec, s[0:1]
	s_cbranch_execz .LBB89_12
; %bb.16:                               ;   in Loop: Header=BB89_13 Depth=2
	global_load_dwordx2 v[26:27], v[10:11], off
	v_sub_u32_e32 v23, v24, v22
	v_add_lshl_u32 v23, v14, v23, 3
	ds_write_b8 v12, v19 offset:2048
	s_waitcnt vmcnt(0)
	ds_write_b64 v23, v[26:27]
	v_mov_b32_e32 v23, v25
	s_branch .LBB89_12
.LBB89_17:                              ;   in Loop: Header=BB89_10 Depth=1
	s_or_b64 exec, exec, s[18:19]
.LBB89_18:                              ;   in Loop: Header=BB89_10 Depth=1
	s_or_b64 exec, exec, s[16:17]
	s_waitcnt lgkmcnt(0)
	ds_read_u8 v9, v12 offset:2048
	v_mov_b32_dpp v8, v23 row_shr:1 row_mask:0xf bank_mask:0xf
	v_min_i32_e32 v8, v8, v23
	ds_bpermute_b32 v8, v15, v8
	s_waitcnt lgkmcnt(1)
	v_and_b32_e32 v9, 1, v9
	v_cmp_eq_u32_e32 vcc, 1, v9
	v_mov_b32_e32 v9, 0
	s_and_saveexec_b64 s[0:1], vcc
	s_cbranch_execz .LBB89_9
; %bb.19:                               ;   in Loop: Header=BB89_10 Depth=1
	v_add_u32_e32 v9, s21, v3
	v_ashrrev_i32_e32 v3, 31, v2
	v_lshl_add_u64 v[10:11], v[2:3], 2, s[8:9]
	global_store_dword v[10:11], v9, off
	s_and_saveexec_b64 s[16:17], s[12:13]
	s_cbranch_execz .LBB89_8
; %bb.20:                               ;   in Loop: Header=BB89_10 Depth=1
	ds_read_b64 v[10:11], v16
	v_mul_lo_u32 v9, s23, v2
	v_mul_lo_u32 v3, s6, v3
	v_mad_u64_u32 v[22:23], s[18:19], s6, v2, 0
	v_add3_u32 v23, v23, v3, v9
	v_lshl_add_u64 v[22:23], v[22:23], 3, v[0:1]
	s_waitcnt lgkmcnt(0)
	global_store_dwordx2 v[22:23], v[10:11], off
	s_branch .LBB89_8
.LBB89_21:
	s_endpgm
	.section	.rodata,"a",@progbits
	.p2align	6, 0x0
	.amdhsa_kernel _ZN9rocsparseL44csr2gebsr_wavefront_per_row_multipass_kernelILi256ELi8ELi2ELi16EdEEv20rocsparse_direction_iiiiii21rocsparse_index_base_PKT3_PKiS7_S2_PS3_PiS9_
		.amdhsa_group_segment_fixed_size 2064
		.amdhsa_private_segment_fixed_size 0
		.amdhsa_kernarg_size 88
		.amdhsa_user_sgpr_count 2
		.amdhsa_user_sgpr_dispatch_ptr 0
		.amdhsa_user_sgpr_queue_ptr 0
		.amdhsa_user_sgpr_kernarg_segment_ptr 1
		.amdhsa_user_sgpr_dispatch_id 0
		.amdhsa_user_sgpr_kernarg_preload_length 0
		.amdhsa_user_sgpr_kernarg_preload_offset 0
		.amdhsa_user_sgpr_private_segment_size 0
		.amdhsa_uses_dynamic_stack 0
		.amdhsa_enable_private_segment 0
		.amdhsa_system_sgpr_workgroup_id_x 1
		.amdhsa_system_sgpr_workgroup_id_y 0
		.amdhsa_system_sgpr_workgroup_id_z 0
		.amdhsa_system_sgpr_workgroup_info 0
		.amdhsa_system_vgpr_workitem_id 0
		.amdhsa_next_free_vgpr 30
		.amdhsa_next_free_sgpr 26
		.amdhsa_accum_offset 32
		.amdhsa_reserve_vcc 1
		.amdhsa_float_round_mode_32 0
		.amdhsa_float_round_mode_16_64 0
		.amdhsa_float_denorm_mode_32 3
		.amdhsa_float_denorm_mode_16_64 3
		.amdhsa_dx10_clamp 1
		.amdhsa_ieee_mode 1
		.amdhsa_fp16_overflow 0
		.amdhsa_tg_split 0
		.amdhsa_exception_fp_ieee_invalid_op 0
		.amdhsa_exception_fp_denorm_src 0
		.amdhsa_exception_fp_ieee_div_zero 0
		.amdhsa_exception_fp_ieee_overflow 0
		.amdhsa_exception_fp_ieee_underflow 0
		.amdhsa_exception_fp_ieee_inexact 0
		.amdhsa_exception_int_div_zero 0
	.end_amdhsa_kernel
	.section	.text._ZN9rocsparseL44csr2gebsr_wavefront_per_row_multipass_kernelILi256ELi8ELi2ELi16EdEEv20rocsparse_direction_iiiiii21rocsparse_index_base_PKT3_PKiS7_S2_PS3_PiS9_,"axG",@progbits,_ZN9rocsparseL44csr2gebsr_wavefront_per_row_multipass_kernelILi256ELi8ELi2ELi16EdEEv20rocsparse_direction_iiiiii21rocsparse_index_base_PKT3_PKiS7_S2_PS3_PiS9_,comdat
.Lfunc_end89:
	.size	_ZN9rocsparseL44csr2gebsr_wavefront_per_row_multipass_kernelILi256ELi8ELi2ELi16EdEEv20rocsparse_direction_iiiiii21rocsparse_index_base_PKT3_PKiS7_S2_PS3_PiS9_, .Lfunc_end89-_ZN9rocsparseL44csr2gebsr_wavefront_per_row_multipass_kernelILi256ELi8ELi2ELi16EdEEv20rocsparse_direction_iiiiii21rocsparse_index_base_PKT3_PKiS7_S2_PS3_PiS9_
                                        ; -- End function
	.section	.AMDGPU.csdata,"",@progbits
; Kernel info:
; codeLenInByte = 1140
; NumSgprs: 32
; NumVgprs: 30
; NumAgprs: 0
; TotalNumVgprs: 30
; ScratchSize: 0
; MemoryBound: 0
; FloatMode: 240
; IeeeMode: 1
; LDSByteSize: 2064 bytes/workgroup (compile time only)
; SGPRBlocks: 3
; VGPRBlocks: 3
; NumSGPRsForWavesPerEU: 32
; NumVGPRsForWavesPerEU: 30
; AccumOffset: 32
; Occupancy: 8
; WaveLimiterHint : 0
; COMPUTE_PGM_RSRC2:SCRATCH_EN: 0
; COMPUTE_PGM_RSRC2:USER_SGPR: 2
; COMPUTE_PGM_RSRC2:TRAP_HANDLER: 0
; COMPUTE_PGM_RSRC2:TGID_X_EN: 1
; COMPUTE_PGM_RSRC2:TGID_Y_EN: 0
; COMPUTE_PGM_RSRC2:TGID_Z_EN: 0
; COMPUTE_PGM_RSRC2:TIDIG_COMP_CNT: 0
; COMPUTE_PGM_RSRC3_GFX90A:ACCUM_OFFSET: 7
; COMPUTE_PGM_RSRC3_GFX90A:TG_SPLIT: 0
	.section	.text._ZN9rocsparseL44csr2gebsr_wavefront_per_row_multipass_kernelILi256ELi8ELi4ELi32EdEEv20rocsparse_direction_iiiiii21rocsparse_index_base_PKT3_PKiS7_S2_PS3_PiS9_,"axG",@progbits,_ZN9rocsparseL44csr2gebsr_wavefront_per_row_multipass_kernelILi256ELi8ELi4ELi32EdEEv20rocsparse_direction_iiiiii21rocsparse_index_base_PKT3_PKiS7_S2_PS3_PiS9_,comdat
	.globl	_ZN9rocsparseL44csr2gebsr_wavefront_per_row_multipass_kernelILi256ELi8ELi4ELi32EdEEv20rocsparse_direction_iiiiii21rocsparse_index_base_PKT3_PKiS7_S2_PS3_PiS9_ ; -- Begin function _ZN9rocsparseL44csr2gebsr_wavefront_per_row_multipass_kernelILi256ELi8ELi4ELi32EdEEv20rocsparse_direction_iiiiii21rocsparse_index_base_PKT3_PKiS7_S2_PS3_PiS9_
	.p2align	8
	.type	_ZN9rocsparseL44csr2gebsr_wavefront_per_row_multipass_kernelILi256ELi8ELi4ELi32EdEEv20rocsparse_direction_iiiiii21rocsparse_index_base_PKT3_PKiS7_S2_PS3_PiS9_,@function
_ZN9rocsparseL44csr2gebsr_wavefront_per_row_multipass_kernelILi256ELi8ELi4ELi32EdEEv20rocsparse_direction_iiiiii21rocsparse_index_base_PKT3_PKiS7_S2_PS3_PiS9_: ; @_ZN9rocsparseL44csr2gebsr_wavefront_per_row_multipass_kernelILi256ELi8ELi4ELi32EdEEv20rocsparse_direction_iiiiii21rocsparse_index_base_PKT3_PKiS7_S2_PS3_PiS9_
; %bb.0:
	s_load_dwordx2 s[14:15], s[0:1], 0x0
	s_load_dwordx4 s[4:7], s[0:1], 0xc
	s_load_dword s20, s[0:1], 0x1c
	s_load_dwordx2 s[8:9], s[0:1], 0x28
	v_lshrrev_b32_e32 v12, 5, v0
	v_bfe_u32 v6, v0, 2, 3
	v_lshl_or_b32 v4, s2, 3, v12
	s_waitcnt lgkmcnt(0)
	v_mad_u64_u32 v[2:3], s[2:3], v4, s6, v[6:7]
	v_cmp_gt_i32_e64 s[2:3], s15, v2
	v_cmp_gt_i32_e32 vcc, s6, v6
	s_and_b64 s[2:3], vcc, s[2:3]
	v_mov_b32_e32 v13, 0
	v_mov_b32_e32 v8, 0
	s_and_saveexec_b64 s[10:11], s[2:3]
	s_cbranch_execz .LBB90_2
; %bb.1:
	v_ashrrev_i32_e32 v3, 31, v2
	v_lshl_add_u64 v[8:9], v[2:3], 2, s[8:9]
	global_load_dword v1, v[8:9], off
	s_waitcnt vmcnt(0)
	v_subrev_u32_e32 v8, s20, v1
.LBB90_2:
	s_or_b64 exec, exec, s[10:11]
	s_and_saveexec_b64 s[10:11], s[2:3]
	s_cbranch_execz .LBB90_4
; %bb.3:
	v_ashrrev_i32_e32 v3, 31, v2
	v_lshl_add_u64 v[2:3], v[2:3], 2, s[8:9]
	global_load_dword v1, v[2:3], off offset:4
	s_waitcnt vmcnt(0)
	v_subrev_u32_e32 v13, s20, v1
.LBB90_4:
	s_or_b64 exec, exec, s[10:11]
	s_load_dword s21, s[0:1], 0x38
	v_cmp_gt_i32_e64 s[2:3], s4, v4
	v_mov_b32_e32 v2, 0
	s_and_saveexec_b64 s[8:9], s[2:3]
	s_cbranch_execz .LBB90_6
; %bb.5:
	s_load_dwordx2 s[2:3], s[0:1], 0x48
	v_ashrrev_i32_e32 v5, 31, v4
	s_waitcnt lgkmcnt(0)
	v_lshl_add_u64 v[2:3], v[4:5], 2, s[2:3]
	global_load_dword v1, v[2:3], off
	s_waitcnt vmcnt(0)
	v_subrev_u32_e32 v2, s21, v1
.LBB90_6:
	s_or_b64 exec, exec, s[8:9]
	s_cmp_lt_i32 s5, 1
	s_cbranch_scc1 .LBB90_21
; %bb.7:
	v_and_b32_e32 v4, 3, v0
	s_load_dwordx2 s[2:3], s[0:1], 0x20
	s_load_dwordx2 s[8:9], s[0:1], 0x50
	;; [unrolled: 1-line block ×4, first 2 shown]
	v_cmp_gt_u32_e64 s[0:1], s7, v4
	s_and_b64 s[12:13], vcc, s[0:1]
	s_cmp_eq_u32 s14, 0
	s_cselect_b64 vcc, -1, 0
	s_abs_i32 s4, s7
	v_cvt_f32_u32_e32 v9, s4
	v_and_b32_e32 v0, 0xe0, v0
	v_lshl_or_b32 v14, v6, 2, v0
	v_mbcnt_lo_u32_b32 v0, -1, 0
	v_rcp_iflag_f32_e32 v9, v9
	v_mbcnt_hi_u32_b32 v0, -1, v0
	v_lshlrev_b32_e32 v3, 2, v0
	v_mov_b32_e32 v5, 0
	v_or_b32_e32 v15, 12, v3
	v_or_b32_e32 v0, v14, v4
	;; [unrolled: 1-line block ×3, first 2 shown]
	v_mul_f32_e32 v3, 0x4f7ffffe, v9
	v_lshlrev_b32_e32 v16, 3, v0
	v_mul_lo_u32 v0, v4, s6
	v_mov_b32_e32 v1, v5
	v_lshlrev_b32_e32 v10, 3, v6
	v_mul_lo_u32 v6, v6, s7
	v_cvt_u32_f32_e32 v3, v3
	s_waitcnt lgkmcnt(0)
	v_lshl_add_u64 v[0:1], v[0:1], 3, s[16:17]
	v_mov_b32_e32 v11, v5
	v_ashrrev_i32_e32 v7, 31, v6
	s_ashr_i32 s22, s7, 31
	v_lshl_add_u64 v[0:1], v[0:1], 0, v[10:11]
	v_lshl_add_u64 v[6:7], v[6:7], 3, s[16:17]
	v_lshlrev_b32_e32 v10, 3, v4
	s_mul_hi_u32 s0, s7, s6
	s_mul_i32 s1, s22, s6
	v_lshl_add_u64 v[6:7], v[6:7], 0, v[10:11]
	s_add_i32 s23, s0, s1
	s_sub_i32 s0, 0, s4
	v_cndmask_b32_e32 v0, v0, v6, vcc
	v_mul_lo_u32 v6, s0, v3
	v_mul_hi_u32 v6, v3, v6
	s_mul_i32 s6, s7, s6
	v_cndmask_b32_e32 v1, v1, v7, vcc
	v_add_u32_e32 v18, v3, v6
	s_mov_b64 s[14:15], 0
	v_mov_b32_e32 v6, v5
	v_mov_b32_e32 v7, v5
	;; [unrolled: 1-line block ×4, first 2 shown]
	s_branch .LBB90_10
.LBB90_8:                               ;   in Loop: Header=BB90_10 Depth=1
	s_or_b64 exec, exec, s[16:17]
	v_mov_b32_e32 v9, 1
.LBB90_9:                               ;   in Loop: Header=BB90_10 Depth=1
	s_or_b64 exec, exec, s[0:1]
	v_mov_b32_dpp v3, v20 row_shr:1 row_mask:0xf bank_mask:0xf
	v_min_i32_e32 v3, v3, v20
	v_add_u32_e32 v2, v9, v2
	s_waitcnt lgkmcnt(0)
	v_mov_b32_dpp v10, v3 row_shr:2 row_mask:0xf bank_mask:0xf
	v_min_i32_e32 v3, v10, v3
	s_nop 1
	v_mov_b32_dpp v10, v3 row_shr:4 row_mask:0xf bank_mask:0xe
	v_min_i32_e32 v3, v10, v3
	s_nop 1
	;; [unrolled: 3-line block ×3, first 2 shown]
	v_mov_b32_dpp v10, v3 row_bcast:15 row_mask:0xa bank_mask:0xf
	v_min_i32_e32 v3, v10, v3
	ds_bpermute_b32 v3, v17, v3
	s_waitcnt lgkmcnt(0)
	v_cmp_le_i32_e32 vcc, s5, v3
	s_or_b64 s[14:15], vcc, s[14:15]
	s_andn2_b64 exec, exec, s[14:15]
	s_cbranch_execz .LBB90_21
.LBB90_10:                              ; =>This Loop Header: Depth=1
                                        ;     Child Loop BB90_13 Depth 2
	v_add_u32_e32 v21, v8, v4
	v_cmp_lt_i32_e32 vcc, v21, v13
	v_mov_b32_e32 v20, s5
	v_mov_b32_e32 v23, v13
	ds_write_b8 v12, v5 offset:2048
	ds_write_b64 v16, v[6:7]
	s_waitcnt lgkmcnt(0)
	s_and_saveexec_b64 s[16:17], vcc
	s_cbranch_execz .LBB90_18
; %bb.11:                               ;   in Loop: Header=BB90_10 Depth=1
	v_ashrrev_i32_e32 v9, 31, v8
	v_lshl_add_u64 v[10:11], v[4:5], 0, v[8:9]
	v_mul_lo_u32 v22, v3, s7
	v_lshl_add_u64 v[8:9], v[10:11], 2, s[10:11]
	v_lshl_add_u64 v[10:11], v[10:11], 3, s[2:3]
	s_mov_b64 s[18:19], 0
	v_mov_b32_e32 v20, s5
	v_mov_b32_e32 v23, v13
	s_branch .LBB90_13
.LBB90_12:                              ;   in Loop: Header=BB90_13 Depth=2
	s_or_b64 exec, exec, s[0:1]
	v_add_u32_e32 v21, 4, v21
	v_cmp_ge_i32_e64 s[0:1], v21, v13
	s_xor_b64 s[24:25], vcc, -1
	s_or_b64 s[0:1], s[24:25], s[0:1]
	s_and_b64 s[0:1], exec, s[0:1]
	v_lshl_add_u64 v[8:9], v[8:9], 0, 16
	s_or_b64 s[18:19], s[0:1], s[18:19]
	v_lshl_add_u64 v[10:11], v[10:11], 0, 32
	s_andn2_b64 exec, exec, s[18:19]
	s_cbranch_execz .LBB90_17
.LBB90_13:                              ;   Parent Loop BB90_10 Depth=1
                                        ; =>  This Inner Loop Header: Depth=2
	global_load_dword v24, v[8:9], off
	s_waitcnt vmcnt(0)
	v_subrev_u32_e32 v24, s20, v24
	v_sub_u32_e32 v26, 0, v24
	v_max_i32_e32 v26, v24, v26
	v_mul_hi_u32 v27, v26, v18
	v_mul_lo_u32 v28, v27, s4
	v_sub_u32_e32 v26, v26, v28
	v_add_u32_e32 v29, 1, v27
	v_cmp_le_u32_e32 vcc, s4, v26
	v_subrev_u32_e32 v28, s4, v26
	v_ashrrev_i32_e32 v25, 31, v24
	v_cndmask_b32_e32 v27, v27, v29, vcc
	v_cndmask_b32_e32 v26, v26, v28, vcc
	v_add_u32_e32 v28, 1, v27
	v_cmp_le_u32_e32 vcc, s4, v26
	v_xor_b32_e32 v25, s22, v25
	s_nop 0
	v_cndmask_b32_e32 v26, v27, v28, vcc
	v_xor_b32_e32 v26, v26, v25
	v_sub_u32_e32 v26, v26, v25
	v_cmp_eq_u32_e32 vcc, v26, v3
	v_cmp_ne_u32_e64 s[0:1], v26, v3
	v_mov_b32_e32 v25, v23
	s_and_saveexec_b64 s[24:25], s[0:1]
	s_xor_b64 s[0:1], exec, s[24:25]
; %bb.14:                               ;   in Loop: Header=BB90_13 Depth=2
	v_min_i32_e32 v20, v26, v20
                                        ; implicit-def: $vgpr24
                                        ; implicit-def: $vgpr25
; %bb.15:                               ;   in Loop: Header=BB90_13 Depth=2
	s_or_saveexec_b64 s[0:1], s[0:1]
	v_mov_b32_e32 v23, v21
	s_xor_b64 exec, exec, s[0:1]
	s_cbranch_execz .LBB90_12
; %bb.16:                               ;   in Loop: Header=BB90_13 Depth=2
	global_load_dwordx2 v[26:27], v[10:11], off
	v_sub_u32_e32 v23, v24, v22
	v_add_lshl_u32 v23, v14, v23, 3
	ds_write_b8 v12, v19 offset:2048
	s_waitcnt vmcnt(0)
	ds_write_b64 v23, v[26:27]
	v_mov_b32_e32 v23, v25
	s_branch .LBB90_12
.LBB90_17:                              ;   in Loop: Header=BB90_10 Depth=1
	s_or_b64 exec, exec, s[18:19]
.LBB90_18:                              ;   in Loop: Header=BB90_10 Depth=1
	s_or_b64 exec, exec, s[16:17]
	v_mov_b32_dpp v8, v23 row_shr:1 row_mask:0xf bank_mask:0xf
	v_min_i32_e32 v8, v8, v23
	s_waitcnt lgkmcnt(0)
	ds_read_u8 v9, v12 offset:2048
	v_mov_b32_dpp v10, v8 row_shr:2 row_mask:0xf bank_mask:0xf
	v_min_i32_e32 v8, v10, v8
	ds_bpermute_b32 v8, v15, v8
	s_waitcnt lgkmcnt(1)
	v_and_b32_e32 v9, 1, v9
	v_cmp_eq_u32_e32 vcc, 1, v9
	v_mov_b32_e32 v9, 0
	s_and_saveexec_b64 s[0:1], vcc
	s_cbranch_execz .LBB90_9
; %bb.19:                               ;   in Loop: Header=BB90_10 Depth=1
	v_add_u32_e32 v9, s21, v3
	v_ashrrev_i32_e32 v3, 31, v2
	v_lshl_add_u64 v[10:11], v[2:3], 2, s[8:9]
	global_store_dword v[10:11], v9, off
	s_and_saveexec_b64 s[16:17], s[12:13]
	s_cbranch_execz .LBB90_8
; %bb.20:                               ;   in Loop: Header=BB90_10 Depth=1
	ds_read_b64 v[10:11], v16
	v_mul_lo_u32 v9, s23, v2
	v_mul_lo_u32 v3, s6, v3
	v_mad_u64_u32 v[22:23], s[18:19], s6, v2, 0
	v_add3_u32 v23, v23, v3, v9
	v_lshl_add_u64 v[22:23], v[22:23], 3, v[0:1]
	s_waitcnt lgkmcnt(0)
	global_store_dwordx2 v[22:23], v[10:11], off
	s_branch .LBB90_8
.LBB90_21:
	s_endpgm
	.section	.rodata,"a",@progbits
	.p2align	6, 0x0
	.amdhsa_kernel _ZN9rocsparseL44csr2gebsr_wavefront_per_row_multipass_kernelILi256ELi8ELi4ELi32EdEEv20rocsparse_direction_iiiiii21rocsparse_index_base_PKT3_PKiS7_S2_PS3_PiS9_
		.amdhsa_group_segment_fixed_size 2056
		.amdhsa_private_segment_fixed_size 0
		.amdhsa_kernarg_size 88
		.amdhsa_user_sgpr_count 2
		.amdhsa_user_sgpr_dispatch_ptr 0
		.amdhsa_user_sgpr_queue_ptr 0
		.amdhsa_user_sgpr_kernarg_segment_ptr 1
		.amdhsa_user_sgpr_dispatch_id 0
		.amdhsa_user_sgpr_kernarg_preload_length 0
		.amdhsa_user_sgpr_kernarg_preload_offset 0
		.amdhsa_user_sgpr_private_segment_size 0
		.amdhsa_uses_dynamic_stack 0
		.amdhsa_enable_private_segment 0
		.amdhsa_system_sgpr_workgroup_id_x 1
		.amdhsa_system_sgpr_workgroup_id_y 0
		.amdhsa_system_sgpr_workgroup_id_z 0
		.amdhsa_system_sgpr_workgroup_info 0
		.amdhsa_system_vgpr_workitem_id 0
		.amdhsa_next_free_vgpr 30
		.amdhsa_next_free_sgpr 26
		.amdhsa_accum_offset 32
		.amdhsa_reserve_vcc 1
		.amdhsa_float_round_mode_32 0
		.amdhsa_float_round_mode_16_64 0
		.amdhsa_float_denorm_mode_32 3
		.amdhsa_float_denorm_mode_16_64 3
		.amdhsa_dx10_clamp 1
		.amdhsa_ieee_mode 1
		.amdhsa_fp16_overflow 0
		.amdhsa_tg_split 0
		.amdhsa_exception_fp_ieee_invalid_op 0
		.amdhsa_exception_fp_denorm_src 0
		.amdhsa_exception_fp_ieee_div_zero 0
		.amdhsa_exception_fp_ieee_overflow 0
		.amdhsa_exception_fp_ieee_underflow 0
		.amdhsa_exception_fp_ieee_inexact 0
		.amdhsa_exception_int_div_zero 0
	.end_amdhsa_kernel
	.section	.text._ZN9rocsparseL44csr2gebsr_wavefront_per_row_multipass_kernelILi256ELi8ELi4ELi32EdEEv20rocsparse_direction_iiiiii21rocsparse_index_base_PKT3_PKiS7_S2_PS3_PiS9_,"axG",@progbits,_ZN9rocsparseL44csr2gebsr_wavefront_per_row_multipass_kernelILi256ELi8ELi4ELi32EdEEv20rocsparse_direction_iiiiii21rocsparse_index_base_PKT3_PKiS7_S2_PS3_PiS9_,comdat
.Lfunc_end90:
	.size	_ZN9rocsparseL44csr2gebsr_wavefront_per_row_multipass_kernelILi256ELi8ELi4ELi32EdEEv20rocsparse_direction_iiiiii21rocsparse_index_base_PKT3_PKiS7_S2_PS3_PiS9_, .Lfunc_end90-_ZN9rocsparseL44csr2gebsr_wavefront_per_row_multipass_kernelILi256ELi8ELi4ELi32EdEEv20rocsparse_direction_iiiiii21rocsparse_index_base_PKT3_PKiS7_S2_PS3_PiS9_
                                        ; -- End function
	.section	.AMDGPU.csdata,"",@progbits
; Kernel info:
; codeLenInByte = 1172
; NumSgprs: 32
; NumVgprs: 30
; NumAgprs: 0
; TotalNumVgprs: 30
; ScratchSize: 0
; MemoryBound: 0
; FloatMode: 240
; IeeeMode: 1
; LDSByteSize: 2056 bytes/workgroup (compile time only)
; SGPRBlocks: 3
; VGPRBlocks: 3
; NumSGPRsForWavesPerEU: 32
; NumVGPRsForWavesPerEU: 30
; AccumOffset: 32
; Occupancy: 8
; WaveLimiterHint : 0
; COMPUTE_PGM_RSRC2:SCRATCH_EN: 0
; COMPUTE_PGM_RSRC2:USER_SGPR: 2
; COMPUTE_PGM_RSRC2:TRAP_HANDLER: 0
; COMPUTE_PGM_RSRC2:TGID_X_EN: 1
; COMPUTE_PGM_RSRC2:TGID_Y_EN: 0
; COMPUTE_PGM_RSRC2:TGID_Z_EN: 0
; COMPUTE_PGM_RSRC2:TIDIG_COMP_CNT: 0
; COMPUTE_PGM_RSRC3_GFX90A:ACCUM_OFFSET: 7
; COMPUTE_PGM_RSRC3_GFX90A:TG_SPLIT: 0
	.section	.text._ZN9rocsparseL44csr2gebsr_wavefront_per_row_multipass_kernelILi256ELi8ELi8ELi64EdEEv20rocsparse_direction_iiiiii21rocsparse_index_base_PKT3_PKiS7_S2_PS3_PiS9_,"axG",@progbits,_ZN9rocsparseL44csr2gebsr_wavefront_per_row_multipass_kernelILi256ELi8ELi8ELi64EdEEv20rocsparse_direction_iiiiii21rocsparse_index_base_PKT3_PKiS7_S2_PS3_PiS9_,comdat
	.globl	_ZN9rocsparseL44csr2gebsr_wavefront_per_row_multipass_kernelILi256ELi8ELi8ELi64EdEEv20rocsparse_direction_iiiiii21rocsparse_index_base_PKT3_PKiS7_S2_PS3_PiS9_ ; -- Begin function _ZN9rocsparseL44csr2gebsr_wavefront_per_row_multipass_kernelILi256ELi8ELi8ELi64EdEEv20rocsparse_direction_iiiiii21rocsparse_index_base_PKT3_PKiS7_S2_PS3_PiS9_
	.p2align	8
	.type	_ZN9rocsparseL44csr2gebsr_wavefront_per_row_multipass_kernelILi256ELi8ELi8ELi64EdEEv20rocsparse_direction_iiiiii21rocsparse_index_base_PKT3_PKiS7_S2_PS3_PiS9_,@function
_ZN9rocsparseL44csr2gebsr_wavefront_per_row_multipass_kernelILi256ELi8ELi8ELi64EdEEv20rocsparse_direction_iiiiii21rocsparse_index_base_PKT3_PKiS7_S2_PS3_PiS9_: ; @_ZN9rocsparseL44csr2gebsr_wavefront_per_row_multipass_kernelILi256ELi8ELi8ELi64EdEEv20rocsparse_direction_iiiiii21rocsparse_index_base_PKT3_PKiS7_S2_PS3_PiS9_
; %bb.0:
	s_load_dwordx2 s[14:15], s[0:1], 0x0
	s_load_dwordx4 s[4:7], s[0:1], 0xc
	s_load_dword s20, s[0:1], 0x1c
	s_load_dwordx2 s[8:9], s[0:1], 0x28
	v_lshrrev_b32_e32 v12, 6, v0
	v_bfe_u32 v6, v0, 3, 3
	v_lshl_or_b32 v4, s2, 2, v12
	s_waitcnt lgkmcnt(0)
	v_mad_u64_u32 v[2:3], s[2:3], v4, s6, v[6:7]
	v_cmp_gt_i32_e64 s[2:3], s15, v2
	v_cmp_gt_i32_e32 vcc, s6, v6
	s_and_b64 s[2:3], vcc, s[2:3]
	v_mov_b32_e32 v13, 0
	v_mov_b32_e32 v8, 0
	s_and_saveexec_b64 s[10:11], s[2:3]
	s_cbranch_execz .LBB91_2
; %bb.1:
	v_ashrrev_i32_e32 v3, 31, v2
	v_lshl_add_u64 v[8:9], v[2:3], 2, s[8:9]
	global_load_dword v1, v[8:9], off
	s_waitcnt vmcnt(0)
	v_subrev_u32_e32 v8, s20, v1
.LBB91_2:
	s_or_b64 exec, exec, s[10:11]
	s_and_saveexec_b64 s[10:11], s[2:3]
	s_cbranch_execz .LBB91_4
; %bb.3:
	v_ashrrev_i32_e32 v3, 31, v2
	v_lshl_add_u64 v[2:3], v[2:3], 2, s[8:9]
	global_load_dword v1, v[2:3], off offset:4
	s_waitcnt vmcnt(0)
	v_subrev_u32_e32 v13, s20, v1
.LBB91_4:
	s_or_b64 exec, exec, s[10:11]
	s_load_dword s21, s[0:1], 0x38
	v_cmp_gt_i32_e64 s[2:3], s4, v4
	v_mov_b32_e32 v2, 0
	s_and_saveexec_b64 s[8:9], s[2:3]
	s_cbranch_execz .LBB91_6
; %bb.5:
	s_load_dwordx2 s[2:3], s[0:1], 0x48
	v_ashrrev_i32_e32 v5, 31, v4
	s_waitcnt lgkmcnt(0)
	v_lshl_add_u64 v[2:3], v[4:5], 2, s[2:3]
	global_load_dword v1, v[2:3], off
	s_waitcnt vmcnt(0)
	v_subrev_u32_e32 v2, s21, v1
.LBB91_6:
	s_or_b64 exec, exec, s[8:9]
	s_cmp_lt_i32 s5, 1
	s_cbranch_scc1 .LBB91_21
; %bb.7:
	s_load_dwordx2 s[2:3], s[0:1], 0x20
	s_load_dwordx2 s[8:9], s[0:1], 0x50
	;; [unrolled: 1-line block ×4, first 2 shown]
	v_and_b32_e32 v4, 7, v0
	v_lshlrev_b32_e32 v10, 3, v6
	s_movk_i32 s0, 0xc0
	v_and_or_b32 v14, v0, s0, v10
	v_cmp_gt_u32_e64 s[0:1], s7, v4
	s_and_b64 s[12:13], vcc, s[0:1]
	s_cmp_eq_u32 s14, 0
	s_cselect_b64 vcc, -1, 0
	s_abs_i32 s4, s7
	v_cvt_f32_u32_e32 v9, s4
	v_mbcnt_lo_u32_b32 v0, -1, 0
	v_mbcnt_hi_u32_b32 v0, -1, v0
	v_lshlrev_b32_e32 v3, 2, v0
	v_rcp_iflag_f32_e32 v9, v9
	v_mov_b32_e32 v5, 0
	v_or_b32_e32 v15, 28, v3
	v_or_b32_e32 v0, v14, v4
	;; [unrolled: 1-line block ×3, first 2 shown]
	v_mul_f32_e32 v3, 0x4f7ffffe, v9
	v_lshlrev_b32_e32 v16, 3, v0
	v_mul_lo_u32 v0, v4, s6
	v_mov_b32_e32 v1, v5
	v_mul_lo_u32 v6, v6, s7
	v_cvt_u32_f32_e32 v3, v3
	s_waitcnt lgkmcnt(0)
	v_lshl_add_u64 v[0:1], v[0:1], 3, s[16:17]
	v_mov_b32_e32 v11, v5
	v_ashrrev_i32_e32 v7, 31, v6
	s_ashr_i32 s22, s7, 31
	v_lshl_add_u64 v[0:1], v[0:1], 0, v[10:11]
	v_lshl_add_u64 v[6:7], v[6:7], 3, s[16:17]
	v_lshlrev_b32_e32 v10, 3, v4
	s_mul_hi_u32 s0, s7, s6
	s_mul_i32 s1, s22, s6
	v_lshl_add_u64 v[6:7], v[6:7], 0, v[10:11]
	s_add_i32 s23, s0, s1
	s_sub_i32 s0, 0, s4
	v_cndmask_b32_e32 v0, v0, v6, vcc
	v_mul_lo_u32 v6, s0, v3
	v_mul_hi_u32 v6, v3, v6
	s_mul_i32 s6, s7, s6
	v_cndmask_b32_e32 v1, v1, v7, vcc
	v_add_u32_e32 v18, v3, v6
	s_mov_b64 s[14:15], 0
	v_mov_b32_e32 v6, v5
	v_mov_b32_e32 v7, v5
	;; [unrolled: 1-line block ×4, first 2 shown]
	s_branch .LBB91_10
.LBB91_8:                               ;   in Loop: Header=BB91_10 Depth=1
	s_or_b64 exec, exec, s[16:17]
	v_mov_b32_e32 v9, 1
.LBB91_9:                               ;   in Loop: Header=BB91_10 Depth=1
	s_or_b64 exec, exec, s[0:1]
	v_mov_b32_dpp v3, v20 row_shr:1 row_mask:0xf bank_mask:0xf
	v_min_i32_e32 v3, v3, v20
	v_add_u32_e32 v2, v9, v2
	s_waitcnt lgkmcnt(0)
	v_mov_b32_dpp v10, v3 row_shr:2 row_mask:0xf bank_mask:0xf
	v_min_i32_e32 v3, v10, v3
	s_nop 1
	v_mov_b32_dpp v10, v3 row_shr:4 row_mask:0xf bank_mask:0xe
	v_min_i32_e32 v3, v10, v3
	s_nop 1
	;; [unrolled: 3-line block ×3, first 2 shown]
	v_mov_b32_dpp v10, v3 row_bcast:15 row_mask:0xa bank_mask:0xf
	v_min_i32_e32 v3, v10, v3
	s_nop 1
	v_mov_b32_dpp v10, v3 row_bcast:31 row_mask:0xc bank_mask:0xf
	v_min_i32_e32 v3, v10, v3
	ds_bpermute_b32 v3, v17, v3
	s_waitcnt lgkmcnt(0)
	v_cmp_le_i32_e32 vcc, s5, v3
	s_or_b64 s[14:15], vcc, s[14:15]
	s_andn2_b64 exec, exec, s[14:15]
	s_cbranch_execz .LBB91_21
.LBB91_10:                              ; =>This Loop Header: Depth=1
                                        ;     Child Loop BB91_13 Depth 2
	v_add_u32_e32 v21, v8, v4
	v_cmp_lt_i32_e32 vcc, v21, v13
	v_mov_b32_e32 v20, s5
	v_mov_b32_e32 v23, v13
	ds_write_b8 v12, v5 offset:2048
	ds_write_b64 v16, v[6:7]
	s_waitcnt lgkmcnt(0)
	s_and_saveexec_b64 s[16:17], vcc
	s_cbranch_execz .LBB91_18
; %bb.11:                               ;   in Loop: Header=BB91_10 Depth=1
	v_ashrrev_i32_e32 v9, 31, v8
	v_lshl_add_u64 v[10:11], v[4:5], 0, v[8:9]
	v_mul_lo_u32 v22, v3, s7
	v_lshl_add_u64 v[8:9], v[10:11], 2, s[10:11]
	v_lshl_add_u64 v[10:11], v[10:11], 3, s[2:3]
	s_mov_b64 s[18:19], 0
	v_mov_b32_e32 v20, s5
	v_mov_b32_e32 v23, v13
	s_branch .LBB91_13
.LBB91_12:                              ;   in Loop: Header=BB91_13 Depth=2
	s_or_b64 exec, exec, s[0:1]
	v_add_u32_e32 v21, 8, v21
	v_cmp_ge_i32_e64 s[0:1], v21, v13
	s_xor_b64 s[24:25], vcc, -1
	s_or_b64 s[0:1], s[24:25], s[0:1]
	s_and_b64 s[0:1], exec, s[0:1]
	v_lshl_add_u64 v[8:9], v[8:9], 0, 32
	s_or_b64 s[18:19], s[0:1], s[18:19]
	v_lshl_add_u64 v[10:11], v[10:11], 0, 64
	s_andn2_b64 exec, exec, s[18:19]
	s_cbranch_execz .LBB91_17
.LBB91_13:                              ;   Parent Loop BB91_10 Depth=1
                                        ; =>  This Inner Loop Header: Depth=2
	global_load_dword v24, v[8:9], off
	s_waitcnt vmcnt(0)
	v_subrev_u32_e32 v24, s20, v24
	v_sub_u32_e32 v26, 0, v24
	v_max_i32_e32 v26, v24, v26
	v_mul_hi_u32 v27, v26, v18
	v_mul_lo_u32 v28, v27, s4
	v_sub_u32_e32 v26, v26, v28
	v_add_u32_e32 v29, 1, v27
	v_cmp_le_u32_e32 vcc, s4, v26
	v_subrev_u32_e32 v28, s4, v26
	v_ashrrev_i32_e32 v25, 31, v24
	v_cndmask_b32_e32 v27, v27, v29, vcc
	v_cndmask_b32_e32 v26, v26, v28, vcc
	v_add_u32_e32 v28, 1, v27
	v_cmp_le_u32_e32 vcc, s4, v26
	v_xor_b32_e32 v25, s22, v25
	s_nop 0
	v_cndmask_b32_e32 v26, v27, v28, vcc
	v_xor_b32_e32 v26, v26, v25
	v_sub_u32_e32 v26, v26, v25
	v_cmp_eq_u32_e32 vcc, v26, v3
	v_cmp_ne_u32_e64 s[0:1], v26, v3
	v_mov_b32_e32 v25, v23
	s_and_saveexec_b64 s[24:25], s[0:1]
	s_xor_b64 s[0:1], exec, s[24:25]
; %bb.14:                               ;   in Loop: Header=BB91_13 Depth=2
	v_min_i32_e32 v20, v26, v20
                                        ; implicit-def: $vgpr24
                                        ; implicit-def: $vgpr25
; %bb.15:                               ;   in Loop: Header=BB91_13 Depth=2
	s_or_saveexec_b64 s[0:1], s[0:1]
	v_mov_b32_e32 v23, v21
	s_xor_b64 exec, exec, s[0:1]
	s_cbranch_execz .LBB91_12
; %bb.16:                               ;   in Loop: Header=BB91_13 Depth=2
	global_load_dwordx2 v[26:27], v[10:11], off
	v_sub_u32_e32 v23, v24, v22
	v_add_lshl_u32 v23, v14, v23, 3
	ds_write_b8 v12, v19 offset:2048
	s_waitcnt vmcnt(0)
	ds_write_b64 v23, v[26:27]
	v_mov_b32_e32 v23, v25
	s_branch .LBB91_12
.LBB91_17:                              ;   in Loop: Header=BB91_10 Depth=1
	s_or_b64 exec, exec, s[18:19]
.LBB91_18:                              ;   in Loop: Header=BB91_10 Depth=1
	s_or_b64 exec, exec, s[16:17]
	v_mov_b32_dpp v8, v23 row_shr:1 row_mask:0xf bank_mask:0xf
	v_min_i32_e32 v8, v8, v23
	s_waitcnt lgkmcnt(0)
	s_nop 0
	v_mov_b32_dpp v9, v8 row_shr:2 row_mask:0xf bank_mask:0xf
	v_min_i32_e32 v8, v9, v8
	ds_read_u8 v9, v12 offset:2048
	s_waitcnt lgkmcnt(0)
	v_and_b32_e32 v9, 1, v9
	v_mov_b32_dpp v10, v8 row_shr:4 row_mask:0xf bank_mask:0xe
	v_min_i32_e32 v8, v10, v8
	ds_bpermute_b32 v8, v15, v8
	v_cmp_eq_u32_e32 vcc, 1, v9
	v_mov_b32_e32 v9, 0
	s_and_saveexec_b64 s[0:1], vcc
	s_cbranch_execz .LBB91_9
; %bb.19:                               ;   in Loop: Header=BB91_10 Depth=1
	v_add_u32_e32 v9, s21, v3
	v_ashrrev_i32_e32 v3, 31, v2
	v_lshl_add_u64 v[10:11], v[2:3], 2, s[8:9]
	global_store_dword v[10:11], v9, off
	s_and_saveexec_b64 s[16:17], s[12:13]
	s_cbranch_execz .LBB91_8
; %bb.20:                               ;   in Loop: Header=BB91_10 Depth=1
	ds_read_b64 v[10:11], v16
	v_mul_lo_u32 v9, s23, v2
	v_mul_lo_u32 v3, s6, v3
	v_mad_u64_u32 v[22:23], s[18:19], s6, v2, 0
	v_add3_u32 v23, v23, v3, v9
	v_lshl_add_u64 v[22:23], v[22:23], 3, v[0:1]
	s_waitcnt lgkmcnt(0)
	global_store_dwordx2 v[22:23], v[10:11], off
	s_branch .LBB91_8
.LBB91_21:
	s_endpgm
	.section	.rodata,"a",@progbits
	.p2align	6, 0x0
	.amdhsa_kernel _ZN9rocsparseL44csr2gebsr_wavefront_per_row_multipass_kernelILi256ELi8ELi8ELi64EdEEv20rocsparse_direction_iiiiii21rocsparse_index_base_PKT3_PKiS7_S2_PS3_PiS9_
		.amdhsa_group_segment_fixed_size 2056
		.amdhsa_private_segment_fixed_size 0
		.amdhsa_kernarg_size 88
		.amdhsa_user_sgpr_count 2
		.amdhsa_user_sgpr_dispatch_ptr 0
		.amdhsa_user_sgpr_queue_ptr 0
		.amdhsa_user_sgpr_kernarg_segment_ptr 1
		.amdhsa_user_sgpr_dispatch_id 0
		.amdhsa_user_sgpr_kernarg_preload_length 0
		.amdhsa_user_sgpr_kernarg_preload_offset 0
		.amdhsa_user_sgpr_private_segment_size 0
		.amdhsa_uses_dynamic_stack 0
		.amdhsa_enable_private_segment 0
		.amdhsa_system_sgpr_workgroup_id_x 1
		.amdhsa_system_sgpr_workgroup_id_y 0
		.amdhsa_system_sgpr_workgroup_id_z 0
		.amdhsa_system_sgpr_workgroup_info 0
		.amdhsa_system_vgpr_workitem_id 0
		.amdhsa_next_free_vgpr 30
		.amdhsa_next_free_sgpr 26
		.amdhsa_accum_offset 32
		.amdhsa_reserve_vcc 1
		.amdhsa_float_round_mode_32 0
		.amdhsa_float_round_mode_16_64 0
		.amdhsa_float_denorm_mode_32 3
		.amdhsa_float_denorm_mode_16_64 3
		.amdhsa_dx10_clamp 1
		.amdhsa_ieee_mode 1
		.amdhsa_fp16_overflow 0
		.amdhsa_tg_split 0
		.amdhsa_exception_fp_ieee_invalid_op 0
		.amdhsa_exception_fp_denorm_src 0
		.amdhsa_exception_fp_ieee_div_zero 0
		.amdhsa_exception_fp_ieee_overflow 0
		.amdhsa_exception_fp_ieee_underflow 0
		.amdhsa_exception_fp_ieee_inexact 0
		.amdhsa_exception_int_div_zero 0
	.end_amdhsa_kernel
	.section	.text._ZN9rocsparseL44csr2gebsr_wavefront_per_row_multipass_kernelILi256ELi8ELi8ELi64EdEEv20rocsparse_direction_iiiiii21rocsparse_index_base_PKT3_PKiS7_S2_PS3_PiS9_,"axG",@progbits,_ZN9rocsparseL44csr2gebsr_wavefront_per_row_multipass_kernelILi256ELi8ELi8ELi64EdEEv20rocsparse_direction_iiiiii21rocsparse_index_base_PKT3_PKiS7_S2_PS3_PiS9_,comdat
.Lfunc_end91:
	.size	_ZN9rocsparseL44csr2gebsr_wavefront_per_row_multipass_kernelILi256ELi8ELi8ELi64EdEEv20rocsparse_direction_iiiiii21rocsparse_index_base_PKT3_PKiS7_S2_PS3_PiS9_, .Lfunc_end91-_ZN9rocsparseL44csr2gebsr_wavefront_per_row_multipass_kernelILi256ELi8ELi8ELi64EdEEv20rocsparse_direction_iiiiii21rocsparse_index_base_PKT3_PKiS7_S2_PS3_PiS9_
                                        ; -- End function
	.section	.AMDGPU.csdata,"",@progbits
; Kernel info:
; codeLenInByte = 1200
; NumSgprs: 32
; NumVgprs: 30
; NumAgprs: 0
; TotalNumVgprs: 30
; ScratchSize: 0
; MemoryBound: 0
; FloatMode: 240
; IeeeMode: 1
; LDSByteSize: 2056 bytes/workgroup (compile time only)
; SGPRBlocks: 3
; VGPRBlocks: 3
; NumSGPRsForWavesPerEU: 32
; NumVGPRsForWavesPerEU: 30
; AccumOffset: 32
; Occupancy: 8
; WaveLimiterHint : 0
; COMPUTE_PGM_RSRC2:SCRATCH_EN: 0
; COMPUTE_PGM_RSRC2:USER_SGPR: 2
; COMPUTE_PGM_RSRC2:TRAP_HANDLER: 0
; COMPUTE_PGM_RSRC2:TGID_X_EN: 1
; COMPUTE_PGM_RSRC2:TGID_Y_EN: 0
; COMPUTE_PGM_RSRC2:TGID_Z_EN: 0
; COMPUTE_PGM_RSRC2:TIDIG_COMP_CNT: 0
; COMPUTE_PGM_RSRC3_GFX90A:ACCUM_OFFSET: 7
; COMPUTE_PGM_RSRC3_GFX90A:TG_SPLIT: 0
	.section	.text._ZN9rocsparseL44csr2gebsr_wavefront_per_row_multipass_kernelILi256ELi8ELi8ELi32EdEEv20rocsparse_direction_iiiiii21rocsparse_index_base_PKT3_PKiS7_S2_PS3_PiS9_,"axG",@progbits,_ZN9rocsparseL44csr2gebsr_wavefront_per_row_multipass_kernelILi256ELi8ELi8ELi32EdEEv20rocsparse_direction_iiiiii21rocsparse_index_base_PKT3_PKiS7_S2_PS3_PiS9_,comdat
	.globl	_ZN9rocsparseL44csr2gebsr_wavefront_per_row_multipass_kernelILi256ELi8ELi8ELi32EdEEv20rocsparse_direction_iiiiii21rocsparse_index_base_PKT3_PKiS7_S2_PS3_PiS9_ ; -- Begin function _ZN9rocsparseL44csr2gebsr_wavefront_per_row_multipass_kernelILi256ELi8ELi8ELi32EdEEv20rocsparse_direction_iiiiii21rocsparse_index_base_PKT3_PKiS7_S2_PS3_PiS9_
	.p2align	8
	.type	_ZN9rocsparseL44csr2gebsr_wavefront_per_row_multipass_kernelILi256ELi8ELi8ELi32EdEEv20rocsparse_direction_iiiiii21rocsparse_index_base_PKT3_PKiS7_S2_PS3_PiS9_,@function
_ZN9rocsparseL44csr2gebsr_wavefront_per_row_multipass_kernelILi256ELi8ELi8ELi32EdEEv20rocsparse_direction_iiiiii21rocsparse_index_base_PKT3_PKiS7_S2_PS3_PiS9_: ; @_ZN9rocsparseL44csr2gebsr_wavefront_per_row_multipass_kernelILi256ELi8ELi8ELi32EdEEv20rocsparse_direction_iiiiii21rocsparse_index_base_PKT3_PKiS7_S2_PS3_PiS9_
; %bb.0:
	s_load_dwordx2 s[14:15], s[0:1], 0x0
	s_load_dwordx4 s[4:7], s[0:1], 0xc
	s_load_dword s24, s[0:1], 0x1c
	s_load_dwordx2 s[8:9], s[0:1], 0x28
	v_lshrrev_b32_e32 v18, 5, v0
	v_bfe_u32 v6, v0, 2, 3
	v_lshl_or_b32 v4, s2, 3, v18
	s_waitcnt lgkmcnt(0)
	v_mad_u64_u32 v[2:3], s[2:3], v4, s6, v[6:7]
	v_cmp_gt_i32_e64 s[2:3], s15, v2
	v_cmp_gt_i32_e32 vcc, s6, v6
	s_and_b64 s[2:3], vcc, s[2:3]
	v_mov_b32_e32 v19, 0
	v_mov_b32_e32 v16, 0
	s_and_saveexec_b64 s[10:11], s[2:3]
	s_cbranch_execz .LBB92_2
; %bb.1:
	v_ashrrev_i32_e32 v3, 31, v2
	v_lshl_add_u64 v[8:9], v[2:3], 2, s[8:9]
	global_load_dword v1, v[8:9], off
	s_waitcnt vmcnt(0)
	v_subrev_u32_e32 v16, s24, v1
.LBB92_2:
	s_or_b64 exec, exec, s[10:11]
	s_and_saveexec_b64 s[10:11], s[2:3]
	s_cbranch_execz .LBB92_4
; %bb.3:
	v_ashrrev_i32_e32 v3, 31, v2
	v_lshl_add_u64 v[2:3], v[2:3], 2, s[8:9]
	global_load_dword v1, v[2:3], off offset:4
	s_waitcnt vmcnt(0)
	v_subrev_u32_e32 v19, s24, v1
.LBB92_4:
	s_or_b64 exec, exec, s[10:11]
	s_load_dword s25, s[0:1], 0x38
	v_cmp_gt_i32_e64 s[2:3], s4, v4
	v_mov_b32_e32 v2, 0
	s_and_saveexec_b64 s[8:9], s[2:3]
	s_cbranch_execz .LBB92_6
; %bb.5:
	s_load_dwordx2 s[2:3], s[0:1], 0x48
	v_ashrrev_i32_e32 v5, 31, v4
	s_waitcnt lgkmcnt(0)
	v_lshl_add_u64 v[2:3], v[4:5], 2, s[2:3]
	global_load_dword v1, v[2:3], off
	s_waitcnt vmcnt(0)
	v_subrev_u32_e32 v2, s25, v1
.LBB92_6:
	s_or_b64 exec, exec, s[8:9]
	s_cmp_lt_i32 s5, 1
	s_cbranch_scc1 .LBB92_32
; %bb.7:
	v_mbcnt_lo_u32_b32 v3, -1, 0
	v_mbcnt_hi_u32_b32 v3, -1, v3
	s_cmp_lg_u32 s14, 0
	v_lshlrev_b32_e32 v3, 2, v3
	s_cselect_b64 s[14:15], -1, 0
	s_abs_i32 s28, s7
	v_or_b32_e32 v22, 12, v3
	v_or_b32_e32 v23, 0x7c, v3
	v_cvt_f32_u32_e32 v3, s28
	s_load_dwordx2 s[8:9], s[0:1], 0x20
	s_load_dwordx2 s[10:11], s[0:1], 0x50
	;; [unrolled: 1-line block ×4, first 2 shown]
	s_ashr_i32 s4, s7, 31
	v_and_b32_e32 v20, 3, v0
	v_rcp_iflag_f32_e32 v3, v3
	v_lshlrev_b32_e32 v0, 3, v6
	s_mul_hi_u32 s0, s7, s6
	s_mul_i32 s1, s4, s6
	v_mul_f32_e32 v3, 0x4f7ffffe, v3
	v_cvt_u32_f32_e32 v3, v3
	v_lshl_or_b32 v21, v18, 6, v0
	s_add_i32 s26, s0, s1
	v_mul_lo_u32 v6, v6, s7
	v_cmp_gt_u32_e64 s[0:1], s7, v20
	v_mov_b32_e32 v1, 0
	v_or_b32_e32 v8, v21, v20
	v_ashrrev_i32_e32 v7, 31, v6
	s_and_b64 s[16:17], s[0:1], vcc
	s_sub_i32 s0, 0, s28
	s_waitcnt lgkmcnt(0)
	v_lshl_add_u64 v[4:5], s[2:3], 0, v[0:1]
	v_lshl_add_u64 v[6:7], v[6:7], 3, s[2:3]
	v_lshlrev_b32_e32 v0, 3, v20
	v_lshlrev_b32_e32 v24, 3, v8
	v_or_b32_e32 v8, 4, v20
	v_mul_lo_u32 v10, s0, v3
	v_lshl_add_u64 v[6:7], v[6:7], 0, v[0:1]
	v_mul_lo_u32 v0, v20, s6
	v_cmp_gt_u32_e64 s[2:3], s7, v8
	v_mul_hi_u32 v10, v3, v10
	s_mul_i32 s27, s7, s6
	v_lshl_add_u32 v8, s6, 2, v0
	v_mov_b32_e32 v9, v1
	s_and_b64 s[2:3], vcc, s[2:3]
	v_add_u32_e32 v25, v3, v10
	v_or_b32_e32 v26, -4, v20
	s_mov_b64 s[18:19], 0
	v_mov_b32_e32 v10, v1
	v_mov_b32_e32 v11, v1
	;; [unrolled: 1-line block ×4, first 2 shown]
	s_branch .LBB92_11
.LBB92_8:                               ;   in Loop: Header=BB92_11 Depth=1
	v_mov_b32_e32 v17, s6
.LBB92_9:                               ;   in Loop: Header=BB92_11 Depth=1
	s_or_b64 exec, exec, s[20:21]
.LBB92_10:                              ;   in Loop: Header=BB92_11 Depth=1
	s_or_b64 exec, exec, s[0:1]
	v_mov_b32_dpp v3, v28 row_shr:1 row_mask:0xf bank_mask:0xf
	v_min_i32_e32 v3, v3, v28
	v_add_u32_e32 v2, v17, v2
	s_waitcnt lgkmcnt(0)
	v_mov_b32_dpp v12, v3 row_shr:2 row_mask:0xf bank_mask:0xf
	v_min_i32_e32 v3, v12, v3
	s_nop 1
	v_mov_b32_dpp v12, v3 row_shr:4 row_mask:0xf bank_mask:0xe
	v_min_i32_e32 v3, v12, v3
	s_nop 1
	v_mov_b32_dpp v12, v3 row_shr:8 row_mask:0xf bank_mask:0xc
	v_min_i32_e32 v3, v12, v3
	s_nop 1
	v_mov_b32_dpp v12, v3 row_bcast:15 row_mask:0xa bank_mask:0xf
	v_min_i32_e32 v3, v12, v3
	ds_bpermute_b32 v3, v23, v3
	s_waitcnt lgkmcnt(0)
	v_cmp_le_i32_e32 vcc, s5, v3
	s_or_b64 s[18:19], vcc, s[18:19]
	s_andn2_b64 exec, exec, s[18:19]
	s_cbranch_execz .LBB92_32
.LBB92_11:                              ; =>This Loop Header: Depth=1
                                        ;     Child Loop BB92_12 Depth 2
                                        ;     Child Loop BB92_16 Depth 2
	s_mov_b64 s[0:1], 0
	v_mov_b32_e32 v12, v24
	v_mov_b32_e32 v13, v26
	ds_write_b8 v18, v1 offset:4096
.LBB92_12:                              ;   Parent Loop BB92_11 Depth=1
                                        ; =>  This Inner Loop Header: Depth=2
	v_add_co_u32_e32 v13, vcc, 4, v13
	s_xor_b64 s[20:21], vcc, -1
	s_and_b64 s[20:21], exec, s[20:21]
	ds_write_b64 v12, v[10:11]
	s_or_b64 s[0:1], s[20:21], s[0:1]
	v_add_u32_e32 v12, 32, v12
	s_andn2_b64 exec, exec, s[0:1]
	s_cbranch_execnz .LBB92_12
; %bb.13:                               ;   in Loop: Header=BB92_11 Depth=1
	s_or_b64 exec, exec, s[0:1]
	v_add_u32_e32 v12, v16, v20
	v_cmp_lt_i32_e32 vcc, v12, v19
	v_mov_b32_e32 v28, s5
	v_mov_b32_e32 v13, v19
	s_waitcnt lgkmcnt(0)
	s_and_saveexec_b64 s[20:21], vcc
	s_cbranch_execz .LBB92_21
; %bb.14:                               ;   in Loop: Header=BB92_11 Depth=1
	v_ashrrev_i32_e32 v13, 31, v12
	v_mul_lo_u32 v29, v3, s7
	v_lshl_add_u64 v[14:15], v[12:13], 2, s[12:13]
	v_lshl_add_u64 v[16:17], v[12:13], 3, s[8:9]
	s_mov_b64 s[22:23], 0
	v_mov_b32_e32 v28, s5
	v_mov_b32_e32 v13, v19
	s_branch .LBB92_16
.LBB92_15:                              ;   in Loop: Header=BB92_16 Depth=2
	s_or_b64 exec, exec, s[0:1]
	v_add_u32_e32 v12, 4, v12
	v_cmp_ge_i32_e64 s[0:1], v12, v19
	s_xor_b64 s[30:31], vcc, -1
	s_or_b64 s[0:1], s[30:31], s[0:1]
	s_and_b64 s[0:1], exec, s[0:1]
	v_lshl_add_u64 v[14:15], v[14:15], 0, 16
	s_or_b64 s[22:23], s[0:1], s[22:23]
	v_lshl_add_u64 v[16:17], v[16:17], 0, 32
	s_andn2_b64 exec, exec, s[22:23]
	s_cbranch_execz .LBB92_20
.LBB92_16:                              ;   Parent Loop BB92_11 Depth=1
                                        ; =>  This Inner Loop Header: Depth=2
	global_load_dword v30, v[14:15], off
	s_waitcnt vmcnt(0)
	v_subrev_u32_e32 v30, s24, v30
	v_sub_u32_e32 v32, 0, v30
	v_max_i32_e32 v32, v30, v32
	v_mul_hi_u32 v33, v32, v25
	v_mul_lo_u32 v34, v33, s28
	v_sub_u32_e32 v32, v32, v34
	v_add_u32_e32 v35, 1, v33
	v_cmp_le_u32_e32 vcc, s28, v32
	v_subrev_u32_e32 v34, s28, v32
	v_ashrrev_i32_e32 v31, 31, v30
	v_cndmask_b32_e32 v33, v33, v35, vcc
	v_cndmask_b32_e32 v32, v32, v34, vcc
	v_add_u32_e32 v34, 1, v33
	v_cmp_le_u32_e32 vcc, s28, v32
	v_xor_b32_e32 v31, s4, v31
	s_nop 0
	v_cndmask_b32_e32 v32, v33, v34, vcc
	v_xor_b32_e32 v32, v32, v31
	v_sub_u32_e32 v32, v32, v31
	v_cmp_eq_u32_e32 vcc, v32, v3
	v_cmp_ne_u32_e64 s[0:1], v32, v3
	v_mov_b32_e32 v31, v13
	s_and_saveexec_b64 s[30:31], s[0:1]
	s_xor_b64 s[0:1], exec, s[30:31]
; %bb.17:                               ;   in Loop: Header=BB92_16 Depth=2
	v_min_i32_e32 v28, v32, v28
                                        ; implicit-def: $vgpr30
                                        ; implicit-def: $vgpr31
; %bb.18:                               ;   in Loop: Header=BB92_16 Depth=2
	s_or_saveexec_b64 s[0:1], s[0:1]
	v_mov_b32_e32 v13, v12
	s_xor_b64 exec, exec, s[0:1]
	s_cbranch_execz .LBB92_15
; %bb.19:                               ;   in Loop: Header=BB92_16 Depth=2
	global_load_dwordx2 v[32:33], v[16:17], off
	v_sub_u32_e32 v13, v30, v29
	v_add_lshl_u32 v13, v21, v13, 3
	ds_write_b8 v18, v27 offset:4096
	s_waitcnt vmcnt(0)
	ds_write_b64 v13, v[32:33]
	v_mov_b32_e32 v13, v31
	s_branch .LBB92_15
.LBB92_20:                              ;   in Loop: Header=BB92_11 Depth=1
	s_or_b64 exec, exec, s[22:23]
.LBB92_21:                              ;   in Loop: Header=BB92_11 Depth=1
	s_or_b64 exec, exec, s[20:21]
	v_mov_b32_dpp v12, v13 row_shr:1 row_mask:0xf bank_mask:0xf
	v_min_i32_e32 v12, v12, v13
	s_waitcnt lgkmcnt(0)
	ds_read_u8 v13, v18 offset:4096
	v_mov_b32_dpp v14, v12 row_shr:2 row_mask:0xf bank_mask:0xf
	v_min_i32_e32 v12, v14, v12
	ds_bpermute_b32 v16, v22, v12
	v_mov_b32_e32 v17, 0
	s_waitcnt lgkmcnt(1)
	v_and_b32_e32 v12, 1, v13
	v_cmp_eq_u32_e32 vcc, 1, v12
	s_and_saveexec_b64 s[0:1], vcc
	s_cbranch_execz .LBB92_10
; %bb.22:                               ;   in Loop: Header=BB92_11 Depth=1
	v_add_u32_e32 v14, s25, v3
	v_ashrrev_i32_e32 v3, 31, v2
	v_lshl_add_u64 v[12:13], v[2:3], 2, s[10:11]
	global_store_dword v[12:13], v14, off
	v_mul_lo_u32 v14, s26, v2
	v_mul_lo_u32 v3, s27, v3
	v_mad_u64_u32 v[12:13], s[20:21], s27, v2, 0
	v_add3_u32 v13, v13, v3, v14
	v_lshlrev_b64 v[12:13], 3, v[12:13]
	v_lshl_add_u64 v[14:15], v[4:5], 0, v[12:13]
	v_lshl_add_u64 v[12:13], v[6:7], 0, v[12:13]
	s_and_saveexec_b64 s[20:21], s[16:17]
	s_cbranch_execz .LBB92_26
; %bb.23:                               ;   in Loop: Header=BB92_11 Depth=1
	s_and_b64 vcc, exec, s[14:15]
	s_cbranch_vccz .LBB92_29
; %bb.24:                               ;   in Loop: Header=BB92_11 Depth=1
	ds_read_b64 v[30:31], v24
	v_lshl_add_u64 v[32:33], v[0:1], 3, v[14:15]
	s_waitcnt lgkmcnt(0)
	global_store_dwordx2 v[32:33], v[30:31], off
	s_cbranch_execnz .LBB92_26
.LBB92_25:                              ;   in Loop: Header=BB92_11 Depth=1
	ds_read_b64 v[30:31], v24
	s_waitcnt lgkmcnt(0)
	global_store_dwordx2 v[12:13], v[30:31], off
.LBB92_26:                              ;   in Loop: Header=BB92_11 Depth=1
	s_or_b64 exec, exec, s[20:21]
	v_mov_b32_e32 v17, 1
	s_and_saveexec_b64 s[20:21], s[2:3]
	s_cbranch_execz .LBB92_9
; %bb.27:                               ;   in Loop: Header=BB92_11 Depth=1
	s_andn2_b64 vcc, exec, s[14:15]
	s_cbranch_vccnz .LBB92_30
; %bb.28:                               ;   in Loop: Header=BB92_11 Depth=1
	ds_read_b64 v[30:31], v24 offset:32
	v_lshl_add_u64 v[14:15], v[8:9], 3, v[14:15]
	s_mov_b32 s6, 1
	s_waitcnt lgkmcnt(0)
	global_store_dwordx2 v[14:15], v[30:31], off
	s_cbranch_execnz .LBB92_8
	s_branch .LBB92_31
.LBB92_29:                              ;   in Loop: Header=BB92_11 Depth=1
	s_branch .LBB92_25
.LBB92_30:                              ;   in Loop: Header=BB92_11 Depth=1
                                        ; implicit-def: $sgpr6
.LBB92_31:                              ;   in Loop: Header=BB92_11 Depth=1
	ds_read_b64 v[14:15], v24 offset:32
	s_mov_b32 s6, 1
	s_waitcnt lgkmcnt(0)
	global_store_dwordx2 v[12:13], v[14:15], off offset:32
	s_branch .LBB92_8
.LBB92_32:
	s_endpgm
	.section	.rodata,"a",@progbits
	.p2align	6, 0x0
	.amdhsa_kernel _ZN9rocsparseL44csr2gebsr_wavefront_per_row_multipass_kernelILi256ELi8ELi8ELi32EdEEv20rocsparse_direction_iiiiii21rocsparse_index_base_PKT3_PKiS7_S2_PS3_PiS9_
		.amdhsa_group_segment_fixed_size 4104
		.amdhsa_private_segment_fixed_size 0
		.amdhsa_kernarg_size 88
		.amdhsa_user_sgpr_count 2
		.amdhsa_user_sgpr_dispatch_ptr 0
		.amdhsa_user_sgpr_queue_ptr 0
		.amdhsa_user_sgpr_kernarg_segment_ptr 1
		.amdhsa_user_sgpr_dispatch_id 0
		.amdhsa_user_sgpr_kernarg_preload_length 0
		.amdhsa_user_sgpr_kernarg_preload_offset 0
		.amdhsa_user_sgpr_private_segment_size 0
		.amdhsa_uses_dynamic_stack 0
		.amdhsa_enable_private_segment 0
		.amdhsa_system_sgpr_workgroup_id_x 1
		.amdhsa_system_sgpr_workgroup_id_y 0
		.amdhsa_system_sgpr_workgroup_id_z 0
		.amdhsa_system_sgpr_workgroup_info 0
		.amdhsa_system_vgpr_workitem_id 0
		.amdhsa_next_free_vgpr 36
		.amdhsa_next_free_sgpr 32
		.amdhsa_accum_offset 36
		.amdhsa_reserve_vcc 1
		.amdhsa_float_round_mode_32 0
		.amdhsa_float_round_mode_16_64 0
		.amdhsa_float_denorm_mode_32 3
		.amdhsa_float_denorm_mode_16_64 3
		.amdhsa_dx10_clamp 1
		.amdhsa_ieee_mode 1
		.amdhsa_fp16_overflow 0
		.amdhsa_tg_split 0
		.amdhsa_exception_fp_ieee_invalid_op 0
		.amdhsa_exception_fp_denorm_src 0
		.amdhsa_exception_fp_ieee_div_zero 0
		.amdhsa_exception_fp_ieee_overflow 0
		.amdhsa_exception_fp_ieee_underflow 0
		.amdhsa_exception_fp_ieee_inexact 0
		.amdhsa_exception_int_div_zero 0
	.end_amdhsa_kernel
	.section	.text._ZN9rocsparseL44csr2gebsr_wavefront_per_row_multipass_kernelILi256ELi8ELi8ELi32EdEEv20rocsparse_direction_iiiiii21rocsparse_index_base_PKT3_PKiS7_S2_PS3_PiS9_,"axG",@progbits,_ZN9rocsparseL44csr2gebsr_wavefront_per_row_multipass_kernelILi256ELi8ELi8ELi32EdEEv20rocsparse_direction_iiiiii21rocsparse_index_base_PKT3_PKiS7_S2_PS3_PiS9_,comdat
.Lfunc_end92:
	.size	_ZN9rocsparseL44csr2gebsr_wavefront_per_row_multipass_kernelILi256ELi8ELi8ELi32EdEEv20rocsparse_direction_iiiiii21rocsparse_index_base_PKT3_PKiS7_S2_PS3_PiS9_, .Lfunc_end92-_ZN9rocsparseL44csr2gebsr_wavefront_per_row_multipass_kernelILi256ELi8ELi8ELi32EdEEv20rocsparse_direction_iiiiii21rocsparse_index_base_PKT3_PKiS7_S2_PS3_PiS9_
                                        ; -- End function
	.section	.AMDGPU.csdata,"",@progbits
; Kernel info:
; codeLenInByte = 1356
; NumSgprs: 38
; NumVgprs: 36
; NumAgprs: 0
; TotalNumVgprs: 36
; ScratchSize: 0
; MemoryBound: 0
; FloatMode: 240
; IeeeMode: 1
; LDSByteSize: 4104 bytes/workgroup (compile time only)
; SGPRBlocks: 4
; VGPRBlocks: 4
; NumSGPRsForWavesPerEU: 38
; NumVGPRsForWavesPerEU: 36
; AccumOffset: 36
; Occupancy: 8
; WaveLimiterHint : 0
; COMPUTE_PGM_RSRC2:SCRATCH_EN: 0
; COMPUTE_PGM_RSRC2:USER_SGPR: 2
; COMPUTE_PGM_RSRC2:TRAP_HANDLER: 0
; COMPUTE_PGM_RSRC2:TGID_X_EN: 1
; COMPUTE_PGM_RSRC2:TGID_Y_EN: 0
; COMPUTE_PGM_RSRC2:TGID_Z_EN: 0
; COMPUTE_PGM_RSRC2:TIDIG_COMP_CNT: 0
; COMPUTE_PGM_RSRC3_GFX90A:ACCUM_OFFSET: 8
; COMPUTE_PGM_RSRC3_GFX90A:TG_SPLIT: 0
	.section	.text._ZN9rocsparseL44csr2gebsr_wavefront_per_row_multipass_kernelILi256ELi8ELi16ELi64EdEEv20rocsparse_direction_iiiiii21rocsparse_index_base_PKT3_PKiS7_S2_PS3_PiS9_,"axG",@progbits,_ZN9rocsparseL44csr2gebsr_wavefront_per_row_multipass_kernelILi256ELi8ELi16ELi64EdEEv20rocsparse_direction_iiiiii21rocsparse_index_base_PKT3_PKiS7_S2_PS3_PiS9_,comdat
	.globl	_ZN9rocsparseL44csr2gebsr_wavefront_per_row_multipass_kernelILi256ELi8ELi16ELi64EdEEv20rocsparse_direction_iiiiii21rocsparse_index_base_PKT3_PKiS7_S2_PS3_PiS9_ ; -- Begin function _ZN9rocsparseL44csr2gebsr_wavefront_per_row_multipass_kernelILi256ELi8ELi16ELi64EdEEv20rocsparse_direction_iiiiii21rocsparse_index_base_PKT3_PKiS7_S2_PS3_PiS9_
	.p2align	8
	.type	_ZN9rocsparseL44csr2gebsr_wavefront_per_row_multipass_kernelILi256ELi8ELi16ELi64EdEEv20rocsparse_direction_iiiiii21rocsparse_index_base_PKT3_PKiS7_S2_PS3_PiS9_,@function
_ZN9rocsparseL44csr2gebsr_wavefront_per_row_multipass_kernelILi256ELi8ELi16ELi64EdEEv20rocsparse_direction_iiiiii21rocsparse_index_base_PKT3_PKiS7_S2_PS3_PiS9_: ; @_ZN9rocsparseL44csr2gebsr_wavefront_per_row_multipass_kernelILi256ELi8ELi16ELi64EdEEv20rocsparse_direction_iiiiii21rocsparse_index_base_PKT3_PKiS7_S2_PS3_PiS9_
; %bb.0:
	s_load_dwordx2 s[14:15], s[0:1], 0x0
	s_load_dwordx4 s[4:7], s[0:1], 0xc
	s_load_dword s24, s[0:1], 0x1c
	s_load_dwordx2 s[8:9], s[0:1], 0x28
	v_lshrrev_b32_e32 v18, 6, v0
	v_bfe_u32 v6, v0, 3, 3
	v_lshl_or_b32 v4, s2, 2, v18
	s_waitcnt lgkmcnt(0)
	v_mad_u64_u32 v[2:3], s[2:3], v4, s6, v[6:7]
	v_cmp_gt_i32_e64 s[2:3], s15, v2
	v_cmp_gt_i32_e32 vcc, s6, v6
	s_and_b64 s[2:3], vcc, s[2:3]
	v_mov_b32_e32 v19, 0
	v_mov_b32_e32 v16, 0
	s_and_saveexec_b64 s[10:11], s[2:3]
	s_cbranch_execz .LBB93_2
; %bb.1:
	v_ashrrev_i32_e32 v3, 31, v2
	v_lshl_add_u64 v[8:9], v[2:3], 2, s[8:9]
	global_load_dword v1, v[8:9], off
	s_waitcnt vmcnt(0)
	v_subrev_u32_e32 v16, s24, v1
.LBB93_2:
	s_or_b64 exec, exec, s[10:11]
	s_and_saveexec_b64 s[10:11], s[2:3]
	s_cbranch_execz .LBB93_4
; %bb.3:
	v_ashrrev_i32_e32 v3, 31, v2
	v_lshl_add_u64 v[2:3], v[2:3], 2, s[8:9]
	global_load_dword v1, v[2:3], off offset:4
	s_waitcnt vmcnt(0)
	v_subrev_u32_e32 v19, s24, v1
.LBB93_4:
	s_or_b64 exec, exec, s[10:11]
	s_load_dword s25, s[0:1], 0x38
	v_cmp_gt_i32_e64 s[2:3], s4, v4
	v_mov_b32_e32 v2, 0
	s_and_saveexec_b64 s[8:9], s[2:3]
	s_cbranch_execz .LBB93_6
; %bb.5:
	s_load_dwordx2 s[2:3], s[0:1], 0x48
	v_ashrrev_i32_e32 v5, 31, v4
	s_waitcnt lgkmcnt(0)
	v_lshl_add_u64 v[2:3], v[4:5], 2, s[2:3]
	global_load_dword v1, v[2:3], off
	s_waitcnt vmcnt(0)
	v_subrev_u32_e32 v2, s25, v1
.LBB93_6:
	s_or_b64 exec, exec, s[8:9]
	s_cmp_lt_i32 s5, 1
	s_cbranch_scc1 .LBB93_32
; %bb.7:
	v_and_b32_e32 v20, 7, v0
	v_lshlrev_b32_e32 v0, 7, v18
	v_lshl_or_b32 v21, v6, 4, v0
	v_mbcnt_lo_u32_b32 v0, -1, 0
	v_mbcnt_hi_u32_b32 v0, -1, v0
	s_cmp_lg_u32 s14, 0
	v_lshlrev_b32_e32 v3, 2, v0
	s_cselect_b64 s[14:15], -1, 0
	s_abs_i32 s28, s7
	v_or_b32_e32 v22, 28, v3
	v_or_b32_e32 v23, 0xfc, v3
	v_cvt_f32_u32_e32 v3, s28
	s_load_dwordx2 s[8:9], s[0:1], 0x20
	s_load_dwordx2 s[10:11], s[0:1], 0x50
	;; [unrolled: 1-line block ×4, first 2 shown]
	s_ashr_i32 s4, s7, 31
	s_mul_hi_u32 s0, s7, s6
	v_rcp_iflag_f32_e32 v3, v3
	s_mul_i32 s1, s4, s6
	s_add_i32 s26, s0, s1
	v_lshlrev_b32_e32 v0, 3, v6
	v_mul_f32_e32 v3, 0x4f7ffffe, v3
	v_cvt_u32_f32_e32 v3, v3
	v_mul_lo_u32 v6, v6, s7
	v_cmp_gt_u32_e64 s[0:1], s7, v20
	v_mov_b32_e32 v1, 0
	v_or_b32_e32 v8, v21, v20
	v_ashrrev_i32_e32 v7, 31, v6
	s_and_b64 s[16:17], s[0:1], vcc
	s_sub_i32 s0, 0, s28
	s_waitcnt lgkmcnt(0)
	v_lshl_add_u64 v[4:5], s[2:3], 0, v[0:1]
	v_lshl_add_u64 v[6:7], v[6:7], 3, s[2:3]
	v_lshlrev_b32_e32 v0, 3, v20
	v_lshlrev_b32_e32 v24, 3, v8
	v_or_b32_e32 v8, 8, v20
	v_mul_lo_u32 v10, s0, v3
	v_lshl_add_u64 v[6:7], v[6:7], 0, v[0:1]
	v_mul_lo_u32 v0, v20, s6
	v_cmp_gt_u32_e64 s[2:3], s7, v8
	v_mul_hi_u32 v10, v3, v10
	s_mul_i32 s27, s7, s6
	v_lshl_add_u32 v8, s6, 3, v0
	v_mov_b32_e32 v9, v1
	s_and_b64 s[2:3], vcc, s[2:3]
	v_add_u32_e32 v25, v3, v10
	v_or_b32_e32 v26, -8, v20
	s_mov_b64 s[18:19], 0
	v_mov_b32_e32 v10, v1
	v_mov_b32_e32 v11, v1
	;; [unrolled: 1-line block ×4, first 2 shown]
	s_branch .LBB93_11
.LBB93_8:                               ;   in Loop: Header=BB93_11 Depth=1
	v_mov_b32_e32 v17, s6
.LBB93_9:                               ;   in Loop: Header=BB93_11 Depth=1
	s_or_b64 exec, exec, s[20:21]
.LBB93_10:                              ;   in Loop: Header=BB93_11 Depth=1
	s_or_b64 exec, exec, s[0:1]
	v_mov_b32_dpp v3, v28 row_shr:1 row_mask:0xf bank_mask:0xf
	v_min_i32_e32 v3, v3, v28
	v_add_u32_e32 v2, v17, v2
	s_waitcnt lgkmcnt(0)
	v_mov_b32_dpp v12, v3 row_shr:2 row_mask:0xf bank_mask:0xf
	v_min_i32_e32 v3, v12, v3
	s_nop 1
	v_mov_b32_dpp v12, v3 row_shr:4 row_mask:0xf bank_mask:0xe
	v_min_i32_e32 v3, v12, v3
	s_nop 1
	;; [unrolled: 3-line block ×3, first 2 shown]
	v_mov_b32_dpp v12, v3 row_bcast:15 row_mask:0xa bank_mask:0xf
	v_min_i32_e32 v3, v12, v3
	s_nop 1
	v_mov_b32_dpp v12, v3 row_bcast:31 row_mask:0xc bank_mask:0xf
	v_min_i32_e32 v3, v12, v3
	ds_bpermute_b32 v3, v23, v3
	s_waitcnt lgkmcnt(0)
	v_cmp_le_i32_e32 vcc, s5, v3
	s_or_b64 s[18:19], vcc, s[18:19]
	s_andn2_b64 exec, exec, s[18:19]
	s_cbranch_execz .LBB93_32
.LBB93_11:                              ; =>This Loop Header: Depth=1
                                        ;     Child Loop BB93_12 Depth 2
                                        ;     Child Loop BB93_16 Depth 2
	s_mov_b64 s[0:1], 0
	v_mov_b32_e32 v12, v24
	v_mov_b32_e32 v13, v26
	ds_write_b8 v18, v1 offset:4096
.LBB93_12:                              ;   Parent Loop BB93_11 Depth=1
                                        ; =>  This Inner Loop Header: Depth=2
	v_add_co_u32_e32 v13, vcc, 8, v13
	s_xor_b64 s[20:21], vcc, -1
	s_and_b64 s[20:21], exec, s[20:21]
	ds_write_b64 v12, v[10:11]
	s_or_b64 s[0:1], s[20:21], s[0:1]
	v_add_u32_e32 v12, 64, v12
	s_andn2_b64 exec, exec, s[0:1]
	s_cbranch_execnz .LBB93_12
; %bb.13:                               ;   in Loop: Header=BB93_11 Depth=1
	s_or_b64 exec, exec, s[0:1]
	v_add_u32_e32 v12, v16, v20
	v_cmp_lt_i32_e32 vcc, v12, v19
	v_mov_b32_e32 v28, s5
	v_mov_b32_e32 v13, v19
	s_waitcnt lgkmcnt(0)
	s_and_saveexec_b64 s[20:21], vcc
	s_cbranch_execz .LBB93_21
; %bb.14:                               ;   in Loop: Header=BB93_11 Depth=1
	v_ashrrev_i32_e32 v13, 31, v12
	v_mul_lo_u32 v29, v3, s7
	v_lshl_add_u64 v[14:15], v[12:13], 2, s[12:13]
	v_lshl_add_u64 v[16:17], v[12:13], 3, s[8:9]
	s_mov_b64 s[22:23], 0
	v_mov_b32_e32 v28, s5
	v_mov_b32_e32 v13, v19
	s_branch .LBB93_16
.LBB93_15:                              ;   in Loop: Header=BB93_16 Depth=2
	s_or_b64 exec, exec, s[0:1]
	v_add_u32_e32 v12, 8, v12
	v_cmp_ge_i32_e64 s[0:1], v12, v19
	s_xor_b64 s[30:31], vcc, -1
	s_or_b64 s[0:1], s[30:31], s[0:1]
	s_and_b64 s[0:1], exec, s[0:1]
	v_lshl_add_u64 v[14:15], v[14:15], 0, 32
	s_or_b64 s[22:23], s[0:1], s[22:23]
	v_lshl_add_u64 v[16:17], v[16:17], 0, 64
	s_andn2_b64 exec, exec, s[22:23]
	s_cbranch_execz .LBB93_20
.LBB93_16:                              ;   Parent Loop BB93_11 Depth=1
                                        ; =>  This Inner Loop Header: Depth=2
	global_load_dword v30, v[14:15], off
	s_waitcnt vmcnt(0)
	v_subrev_u32_e32 v30, s24, v30
	v_sub_u32_e32 v32, 0, v30
	v_max_i32_e32 v32, v30, v32
	v_mul_hi_u32 v33, v32, v25
	v_mul_lo_u32 v34, v33, s28
	v_sub_u32_e32 v32, v32, v34
	v_add_u32_e32 v35, 1, v33
	v_cmp_le_u32_e32 vcc, s28, v32
	v_subrev_u32_e32 v34, s28, v32
	v_ashrrev_i32_e32 v31, 31, v30
	v_cndmask_b32_e32 v33, v33, v35, vcc
	v_cndmask_b32_e32 v32, v32, v34, vcc
	v_add_u32_e32 v34, 1, v33
	v_cmp_le_u32_e32 vcc, s28, v32
	v_xor_b32_e32 v31, s4, v31
	s_nop 0
	v_cndmask_b32_e32 v32, v33, v34, vcc
	v_xor_b32_e32 v32, v32, v31
	v_sub_u32_e32 v32, v32, v31
	v_cmp_eq_u32_e32 vcc, v32, v3
	v_cmp_ne_u32_e64 s[0:1], v32, v3
	v_mov_b32_e32 v31, v13
	s_and_saveexec_b64 s[30:31], s[0:1]
	s_xor_b64 s[0:1], exec, s[30:31]
; %bb.17:                               ;   in Loop: Header=BB93_16 Depth=2
	v_min_i32_e32 v28, v32, v28
                                        ; implicit-def: $vgpr30
                                        ; implicit-def: $vgpr31
; %bb.18:                               ;   in Loop: Header=BB93_16 Depth=2
	s_or_saveexec_b64 s[0:1], s[0:1]
	v_mov_b32_e32 v13, v12
	s_xor_b64 exec, exec, s[0:1]
	s_cbranch_execz .LBB93_15
; %bb.19:                               ;   in Loop: Header=BB93_16 Depth=2
	global_load_dwordx2 v[32:33], v[16:17], off
	v_sub_u32_e32 v13, v30, v29
	v_add_lshl_u32 v13, v21, v13, 3
	ds_write_b8 v18, v27 offset:4096
	s_waitcnt vmcnt(0)
	ds_write_b64 v13, v[32:33]
	v_mov_b32_e32 v13, v31
	s_branch .LBB93_15
.LBB93_20:                              ;   in Loop: Header=BB93_11 Depth=1
	s_or_b64 exec, exec, s[22:23]
.LBB93_21:                              ;   in Loop: Header=BB93_11 Depth=1
	s_or_b64 exec, exec, s[20:21]
	v_mov_b32_dpp v12, v13 row_shr:1 row_mask:0xf bank_mask:0xf
	v_min_i32_e32 v12, v12, v13
	s_waitcnt lgkmcnt(0)
	v_mov_b32_e32 v17, 0
	v_mov_b32_dpp v13, v12 row_shr:2 row_mask:0xf bank_mask:0xf
	v_min_i32_e32 v12, v13, v12
	ds_read_u8 v13, v18 offset:4096
	s_nop 0
	v_mov_b32_dpp v14, v12 row_shr:4 row_mask:0xf bank_mask:0xe
	v_min_i32_e32 v12, v14, v12
	ds_bpermute_b32 v16, v22, v12
	s_waitcnt lgkmcnt(1)
	v_and_b32_e32 v12, 1, v13
	v_cmp_eq_u32_e32 vcc, 1, v12
	s_and_saveexec_b64 s[0:1], vcc
	s_cbranch_execz .LBB93_10
; %bb.22:                               ;   in Loop: Header=BB93_11 Depth=1
	v_add_u32_e32 v14, s25, v3
	v_ashrrev_i32_e32 v3, 31, v2
	v_lshl_add_u64 v[12:13], v[2:3], 2, s[10:11]
	global_store_dword v[12:13], v14, off
	v_mul_lo_u32 v14, s26, v2
	v_mul_lo_u32 v3, s27, v3
	v_mad_u64_u32 v[12:13], s[20:21], s27, v2, 0
	v_add3_u32 v13, v13, v3, v14
	v_lshlrev_b64 v[12:13], 3, v[12:13]
	v_lshl_add_u64 v[14:15], v[4:5], 0, v[12:13]
	v_lshl_add_u64 v[12:13], v[6:7], 0, v[12:13]
	s_and_saveexec_b64 s[20:21], s[16:17]
	s_cbranch_execz .LBB93_26
; %bb.23:                               ;   in Loop: Header=BB93_11 Depth=1
	s_and_b64 vcc, exec, s[14:15]
	s_cbranch_vccz .LBB93_29
; %bb.24:                               ;   in Loop: Header=BB93_11 Depth=1
	ds_read_b64 v[30:31], v24
	v_lshl_add_u64 v[32:33], v[0:1], 3, v[14:15]
	s_waitcnt lgkmcnt(0)
	global_store_dwordx2 v[32:33], v[30:31], off
	s_cbranch_execnz .LBB93_26
.LBB93_25:                              ;   in Loop: Header=BB93_11 Depth=1
	ds_read_b64 v[30:31], v24
	s_waitcnt lgkmcnt(0)
	global_store_dwordx2 v[12:13], v[30:31], off
.LBB93_26:                              ;   in Loop: Header=BB93_11 Depth=1
	s_or_b64 exec, exec, s[20:21]
	v_mov_b32_e32 v17, 1
	s_and_saveexec_b64 s[20:21], s[2:3]
	s_cbranch_execz .LBB93_9
; %bb.27:                               ;   in Loop: Header=BB93_11 Depth=1
	s_andn2_b64 vcc, exec, s[14:15]
	s_cbranch_vccnz .LBB93_30
; %bb.28:                               ;   in Loop: Header=BB93_11 Depth=1
	ds_read_b64 v[30:31], v24 offset:64
	v_lshl_add_u64 v[14:15], v[8:9], 3, v[14:15]
	s_mov_b32 s6, 1
	s_waitcnt lgkmcnt(0)
	global_store_dwordx2 v[14:15], v[30:31], off
	s_cbranch_execnz .LBB93_8
	s_branch .LBB93_31
.LBB93_29:                              ;   in Loop: Header=BB93_11 Depth=1
	s_branch .LBB93_25
.LBB93_30:                              ;   in Loop: Header=BB93_11 Depth=1
                                        ; implicit-def: $sgpr6
.LBB93_31:                              ;   in Loop: Header=BB93_11 Depth=1
	ds_read_b64 v[14:15], v24 offset:64
	s_mov_b32 s6, 1
	s_waitcnt lgkmcnt(0)
	global_store_dwordx2 v[12:13], v[14:15], off offset:64
	s_branch .LBB93_8
.LBB93_32:
	s_endpgm
	.section	.rodata,"a",@progbits
	.p2align	6, 0x0
	.amdhsa_kernel _ZN9rocsparseL44csr2gebsr_wavefront_per_row_multipass_kernelILi256ELi8ELi16ELi64EdEEv20rocsparse_direction_iiiiii21rocsparse_index_base_PKT3_PKiS7_S2_PS3_PiS9_
		.amdhsa_group_segment_fixed_size 4104
		.amdhsa_private_segment_fixed_size 0
		.amdhsa_kernarg_size 88
		.amdhsa_user_sgpr_count 2
		.amdhsa_user_sgpr_dispatch_ptr 0
		.amdhsa_user_sgpr_queue_ptr 0
		.amdhsa_user_sgpr_kernarg_segment_ptr 1
		.amdhsa_user_sgpr_dispatch_id 0
		.amdhsa_user_sgpr_kernarg_preload_length 0
		.amdhsa_user_sgpr_kernarg_preload_offset 0
		.amdhsa_user_sgpr_private_segment_size 0
		.amdhsa_uses_dynamic_stack 0
		.amdhsa_enable_private_segment 0
		.amdhsa_system_sgpr_workgroup_id_x 1
		.amdhsa_system_sgpr_workgroup_id_y 0
		.amdhsa_system_sgpr_workgroup_id_z 0
		.amdhsa_system_sgpr_workgroup_info 0
		.amdhsa_system_vgpr_workitem_id 0
		.amdhsa_next_free_vgpr 36
		.amdhsa_next_free_sgpr 32
		.amdhsa_accum_offset 36
		.amdhsa_reserve_vcc 1
		.amdhsa_float_round_mode_32 0
		.amdhsa_float_round_mode_16_64 0
		.amdhsa_float_denorm_mode_32 3
		.amdhsa_float_denorm_mode_16_64 3
		.amdhsa_dx10_clamp 1
		.amdhsa_ieee_mode 1
		.amdhsa_fp16_overflow 0
		.amdhsa_tg_split 0
		.amdhsa_exception_fp_ieee_invalid_op 0
		.amdhsa_exception_fp_denorm_src 0
		.amdhsa_exception_fp_ieee_div_zero 0
		.amdhsa_exception_fp_ieee_overflow 0
		.amdhsa_exception_fp_ieee_underflow 0
		.amdhsa_exception_fp_ieee_inexact 0
		.amdhsa_exception_int_div_zero 0
	.end_amdhsa_kernel
	.section	.text._ZN9rocsparseL44csr2gebsr_wavefront_per_row_multipass_kernelILi256ELi8ELi16ELi64EdEEv20rocsparse_direction_iiiiii21rocsparse_index_base_PKT3_PKiS7_S2_PS3_PiS9_,"axG",@progbits,_ZN9rocsparseL44csr2gebsr_wavefront_per_row_multipass_kernelILi256ELi8ELi16ELi64EdEEv20rocsparse_direction_iiiiii21rocsparse_index_base_PKT3_PKiS7_S2_PS3_PiS9_,comdat
.Lfunc_end93:
	.size	_ZN9rocsparseL44csr2gebsr_wavefront_per_row_multipass_kernelILi256ELi8ELi16ELi64EdEEv20rocsparse_direction_iiiiii21rocsparse_index_base_PKT3_PKiS7_S2_PS3_PiS9_, .Lfunc_end93-_ZN9rocsparseL44csr2gebsr_wavefront_per_row_multipass_kernelILi256ELi8ELi16ELi64EdEEv20rocsparse_direction_iiiiii21rocsparse_index_base_PKT3_PKiS7_S2_PS3_PiS9_
                                        ; -- End function
	.section	.AMDGPU.csdata,"",@progbits
; Kernel info:
; codeLenInByte = 1392
; NumSgprs: 38
; NumVgprs: 36
; NumAgprs: 0
; TotalNumVgprs: 36
; ScratchSize: 0
; MemoryBound: 0
; FloatMode: 240
; IeeeMode: 1
; LDSByteSize: 4104 bytes/workgroup (compile time only)
; SGPRBlocks: 4
; VGPRBlocks: 4
; NumSGPRsForWavesPerEU: 38
; NumVGPRsForWavesPerEU: 36
; AccumOffset: 36
; Occupancy: 8
; WaveLimiterHint : 0
; COMPUTE_PGM_RSRC2:SCRATCH_EN: 0
; COMPUTE_PGM_RSRC2:USER_SGPR: 2
; COMPUTE_PGM_RSRC2:TRAP_HANDLER: 0
; COMPUTE_PGM_RSRC2:TGID_X_EN: 1
; COMPUTE_PGM_RSRC2:TGID_Y_EN: 0
; COMPUTE_PGM_RSRC2:TGID_Z_EN: 0
; COMPUTE_PGM_RSRC2:TIDIG_COMP_CNT: 0
; COMPUTE_PGM_RSRC3_GFX90A:ACCUM_OFFSET: 8
; COMPUTE_PGM_RSRC3_GFX90A:TG_SPLIT: 0
	.section	.text._ZN9rocsparseL44csr2gebsr_wavefront_per_row_multipass_kernelILi256ELi8ELi16ELi32EdEEv20rocsparse_direction_iiiiii21rocsparse_index_base_PKT3_PKiS7_S2_PS3_PiS9_,"axG",@progbits,_ZN9rocsparseL44csr2gebsr_wavefront_per_row_multipass_kernelILi256ELi8ELi16ELi32EdEEv20rocsparse_direction_iiiiii21rocsparse_index_base_PKT3_PKiS7_S2_PS3_PiS9_,comdat
	.globl	_ZN9rocsparseL44csr2gebsr_wavefront_per_row_multipass_kernelILi256ELi8ELi16ELi32EdEEv20rocsparse_direction_iiiiii21rocsparse_index_base_PKT3_PKiS7_S2_PS3_PiS9_ ; -- Begin function _ZN9rocsparseL44csr2gebsr_wavefront_per_row_multipass_kernelILi256ELi8ELi16ELi32EdEEv20rocsparse_direction_iiiiii21rocsparse_index_base_PKT3_PKiS7_S2_PS3_PiS9_
	.p2align	8
	.type	_ZN9rocsparseL44csr2gebsr_wavefront_per_row_multipass_kernelILi256ELi8ELi16ELi32EdEEv20rocsparse_direction_iiiiii21rocsparse_index_base_PKT3_PKiS7_S2_PS3_PiS9_,@function
_ZN9rocsparseL44csr2gebsr_wavefront_per_row_multipass_kernelILi256ELi8ELi16ELi32EdEEv20rocsparse_direction_iiiiii21rocsparse_index_base_PKT3_PKiS7_S2_PS3_PiS9_: ; @_ZN9rocsparseL44csr2gebsr_wavefront_per_row_multipass_kernelILi256ELi8ELi16ELi32EdEEv20rocsparse_direction_iiiiii21rocsparse_index_base_PKT3_PKiS7_S2_PS3_PiS9_
; %bb.0:
	s_load_dwordx2 s[4:5], s[0:1], 0x0
	s_load_dwordx4 s[8:11], s[0:1], 0xc
	s_load_dword s30, s[0:1], 0x1c
	s_load_dwordx2 s[6:7], s[0:1], 0x28
	v_lshrrev_b32_e32 v22, 5, v0
	v_bfe_u32 v6, v0, 2, 3
	v_lshl_or_b32 v4, s2, 3, v22
	s_waitcnt lgkmcnt(0)
	v_mad_u64_u32 v[2:3], s[2:3], v4, s10, v[6:7]
	v_cmp_gt_i32_e64 s[2:3], s5, v2
	v_cmp_gt_i32_e32 vcc, s10, v6
	s_and_b64 s[2:3], vcc, s[2:3]
	v_mov_b32_e32 v23, 0
	v_mov_b32_e32 v20, 0
	s_and_saveexec_b64 s[12:13], s[2:3]
	s_cbranch_execz .LBB94_2
; %bb.1:
	v_ashrrev_i32_e32 v3, 31, v2
	v_lshl_add_u64 v[8:9], v[2:3], 2, s[6:7]
	global_load_dword v1, v[8:9], off
	s_waitcnt vmcnt(0)
	v_subrev_u32_e32 v20, s30, v1
.LBB94_2:
	s_or_b64 exec, exec, s[12:13]
	s_and_saveexec_b64 s[12:13], s[2:3]
	s_cbranch_execz .LBB94_4
; %bb.3:
	v_ashrrev_i32_e32 v3, 31, v2
	v_lshl_add_u64 v[2:3], v[2:3], 2, s[6:7]
	global_load_dword v1, v[2:3], off offset:4
	s_waitcnt vmcnt(0)
	v_subrev_u32_e32 v23, s30, v1
.LBB94_4:
	s_or_b64 exec, exec, s[12:13]
	s_load_dword s31, s[0:1], 0x38
	v_cmp_gt_i32_e64 s[2:3], s8, v4
	v_mov_b32_e32 v2, 0
	s_and_saveexec_b64 s[6:7], s[2:3]
	s_cbranch_execz .LBB94_6
; %bb.5:
	s_load_dwordx2 s[2:3], s[0:1], 0x48
	v_ashrrev_i32_e32 v5, 31, v4
	s_waitcnt lgkmcnt(0)
	v_lshl_add_u64 v[2:3], v[4:5], 2, s[2:3]
	global_load_dword v1, v[2:3], off
	s_waitcnt vmcnt(0)
	v_subrev_u32_e32 v2, s31, v1
.LBB94_6:
	s_or_b64 exec, exec, s[6:7]
	s_cmp_lt_i32 s9, 1
	s_cbranch_scc1 .LBB94_42
; %bb.7:
	v_and_b32_e32 v24, 3, v0
	v_lshlrev_b32_e32 v0, 7, v22
	s_load_dwordx2 s[12:13], s[0:1], 0x20
	s_load_dwordx2 s[14:15], s[0:1], 0x50
	s_load_dwordx2 s[2:3], s[0:1], 0x40
	s_load_dwordx2 s[16:17], s[0:1], 0x30
	v_lshl_or_b32 v25, v6, 4, v0
	v_mbcnt_lo_u32_b32 v0, -1, 0
	v_mbcnt_hi_u32_b32 v0, -1, v0
	v_lshlrev_b32_e32 v3, 2, v0
	v_lshlrev_b32_e32 v0, 3, v6
	v_mul_lo_u32 v6, v6, s11
	v_mov_b32_e32 v1, 0
	s_cmp_lg_u32 s4, 0
	v_ashrrev_i32_e32 v7, 31, v6
	v_or_b32_e32 v26, 12, v3
	s_cselect_b64 s[18:19], -1, 0
	s_ashr_i32 s8, s11, 31
	s_waitcnt lgkmcnt(0)
	v_lshl_add_u64 v[4:5], s[2:3], 0, v[0:1]
	v_lshl_add_u64 v[6:7], v[6:7], 3, s[2:3]
	v_lshlrev_b32_e32 v0, 3, v24
	v_or_b32_e32 v27, 0x7c, v3
	v_or_b32_e32 v3, 4, v24
	s_mul_hi_u32 s0, s11, s10
	s_mul_i32 s1, s8, s10
	s_mul_i32 s34, s11, s10
	v_lshl_add_u64 v[6:7], v[6:7], 0, v[0:1]
	v_mul_lo_u32 v0, v24, s10
	v_cmp_gt_u32_e64 s[2:3], s11, v3
	s_lshl_b32 s20, s10, 2
	v_or_b32_e32 v3, 8, v24
	s_abs_i32 s10, s11
	v_cmp_gt_u32_e64 s[4:5], s11, v3
	v_cvt_f32_u32_e32 v3, s10
	v_or_b32_e32 v8, v25, v24
	v_lshlrev_b32_e32 v28, 3, v8
	v_add_u32_e32 v8, s20, v0
	v_rcp_iflag_f32_e32 v3, v3
	s_add_i32 s33, s0, s1
	v_cmp_gt_u32_e64 s[0:1], s11, v24
	v_add_u32_e32 v10, s20, v8
	v_mul_f32_e32 v3, 0x4f7ffffe, v3
	v_cvt_u32_f32_e32 v3, v3
	v_or_b32_e32 v12, 12, v24
	v_cmp_gt_u32_e64 s[6:7], s11, v12
	v_add_u32_e32 v12, s20, v10
	s_and_b64 s[20:21], s[0:1], vcc
	s_sub_i32 s0, 0, s10
	v_mul_lo_u32 v14, s0, v3
	v_mul_hi_u32 v14, v3, v14
	v_mov_b32_e32 v9, v1
	v_mov_b32_e32 v11, v1
	;; [unrolled: 1-line block ×3, first 2 shown]
	s_and_b64 s[2:3], vcc, s[2:3]
	s_and_b64 s[4:5], vcc, s[4:5]
	s_and_b64 s[6:7], vcc, s[6:7]
	v_add_u32_e32 v29, v3, v14
	v_or_b32_e32 v30, -4, v24
	s_mov_b64 s[22:23], 0
	v_mov_b32_e32 v14, v1
	v_mov_b32_e32 v15, v1
	;; [unrolled: 1-line block ×4, first 2 shown]
	s_branch .LBB94_11
.LBB94_8:                               ;   in Loop: Header=BB94_11 Depth=1
	v_mov_b32_e32 v21, s28
.LBB94_9:                               ;   in Loop: Header=BB94_11 Depth=1
	s_or_b64 exec, exec, s[26:27]
.LBB94_10:                              ;   in Loop: Header=BB94_11 Depth=1
	s_or_b64 exec, exec, s[24:25]
	v_mov_b32_dpp v3, v32 row_shr:1 row_mask:0xf bank_mask:0xf
	v_min_i32_e32 v3, v3, v32
	v_add_u32_e32 v2, v21, v2
	s_waitcnt lgkmcnt(0)
	v_mov_b32_dpp v16, v3 row_shr:2 row_mask:0xf bank_mask:0xf
	v_min_i32_e32 v3, v16, v3
	s_nop 1
	v_mov_b32_dpp v16, v3 row_shr:4 row_mask:0xf bank_mask:0xe
	v_min_i32_e32 v3, v16, v3
	s_nop 1
	;; [unrolled: 3-line block ×3, first 2 shown]
	v_mov_b32_dpp v16, v3 row_bcast:15 row_mask:0xa bank_mask:0xf
	v_min_i32_e32 v3, v16, v3
	ds_bpermute_b32 v3, v27, v3
	s_waitcnt lgkmcnt(0)
	v_cmp_le_i32_e32 vcc, s9, v3
	s_or_b64 s[22:23], vcc, s[22:23]
	s_andn2_b64 exec, exec, s[22:23]
	s_cbranch_execz .LBB94_42
.LBB94_11:                              ; =>This Loop Header: Depth=1
                                        ;     Child Loop BB94_12 Depth 2
                                        ;     Child Loop BB94_16 Depth 2
	s_mov_b64 s[0:1], 0
	v_mov_b32_e32 v16, v28
	v_mov_b32_e32 v17, v30
	ds_write_b8 v22, v1 offset:8192
.LBB94_12:                              ;   Parent Loop BB94_11 Depth=1
                                        ; =>  This Inner Loop Header: Depth=2
	v_add_u32_e32 v17, 4, v17
	v_cmp_lt_u32_e32 vcc, 11, v17
	ds_write_b64 v16, v[14:15]
	s_or_b64 s[0:1], vcc, s[0:1]
	v_add_u32_e32 v16, 32, v16
	s_andn2_b64 exec, exec, s[0:1]
	s_cbranch_execnz .LBB94_12
; %bb.13:                               ;   in Loop: Header=BB94_11 Depth=1
	s_or_b64 exec, exec, s[0:1]
	v_add_u32_e32 v16, v20, v24
	v_cmp_lt_i32_e32 vcc, v16, v23
	v_mov_b32_e32 v32, s9
	v_mov_b32_e32 v17, v23
	s_waitcnt lgkmcnt(0)
	s_and_saveexec_b64 s[24:25], vcc
	s_cbranch_execz .LBB94_21
; %bb.14:                               ;   in Loop: Header=BB94_11 Depth=1
	v_ashrrev_i32_e32 v17, 31, v16
	v_mul_lo_u32 v33, v3, s11
	v_lshl_add_u64 v[18:19], v[16:17], 2, s[16:17]
	v_lshl_add_u64 v[20:21], v[16:17], 3, s[12:13]
	s_mov_b64 s[26:27], 0
	v_mov_b32_e32 v32, s9
	v_mov_b32_e32 v17, v23
	s_branch .LBB94_16
.LBB94_15:                              ;   in Loop: Header=BB94_16 Depth=2
	s_or_b64 exec, exec, s[0:1]
	v_add_u32_e32 v16, 4, v16
	v_cmp_ge_i32_e64 s[0:1], v16, v23
	s_xor_b64 s[28:29], vcc, -1
	s_or_b64 s[0:1], s[28:29], s[0:1]
	s_and_b64 s[0:1], exec, s[0:1]
	v_lshl_add_u64 v[18:19], v[18:19], 0, 16
	s_or_b64 s[26:27], s[0:1], s[26:27]
	v_lshl_add_u64 v[20:21], v[20:21], 0, 32
	s_andn2_b64 exec, exec, s[26:27]
	s_cbranch_execz .LBB94_20
.LBB94_16:                              ;   Parent Loop BB94_11 Depth=1
                                        ; =>  This Inner Loop Header: Depth=2
	global_load_dword v34, v[18:19], off
	s_waitcnt vmcnt(0)
	v_subrev_u32_e32 v34, s30, v34
	v_sub_u32_e32 v36, 0, v34
	v_max_i32_e32 v36, v34, v36
	v_mul_hi_u32 v37, v36, v29
	v_mul_lo_u32 v38, v37, s10
	v_sub_u32_e32 v36, v36, v38
	v_add_u32_e32 v39, 1, v37
	v_cmp_le_u32_e32 vcc, s10, v36
	v_subrev_u32_e32 v38, s10, v36
	v_ashrrev_i32_e32 v35, 31, v34
	v_cndmask_b32_e32 v37, v37, v39, vcc
	v_cndmask_b32_e32 v36, v36, v38, vcc
	v_add_u32_e32 v38, 1, v37
	v_cmp_le_u32_e32 vcc, s10, v36
	v_xor_b32_e32 v35, s8, v35
	s_nop 0
	v_cndmask_b32_e32 v36, v37, v38, vcc
	v_xor_b32_e32 v36, v36, v35
	v_sub_u32_e32 v36, v36, v35
	v_cmp_eq_u32_e32 vcc, v36, v3
	v_cmp_ne_u32_e64 s[0:1], v36, v3
	v_mov_b32_e32 v35, v17
	s_and_saveexec_b64 s[28:29], s[0:1]
	s_xor_b64 s[0:1], exec, s[28:29]
; %bb.17:                               ;   in Loop: Header=BB94_16 Depth=2
	v_min_i32_e32 v32, v36, v32
                                        ; implicit-def: $vgpr34
                                        ; implicit-def: $vgpr35
; %bb.18:                               ;   in Loop: Header=BB94_16 Depth=2
	s_or_saveexec_b64 s[0:1], s[0:1]
	v_mov_b32_e32 v17, v16
	s_xor_b64 exec, exec, s[0:1]
	s_cbranch_execz .LBB94_15
; %bb.19:                               ;   in Loop: Header=BB94_16 Depth=2
	global_load_dwordx2 v[36:37], v[20:21], off
	v_sub_u32_e32 v17, v34, v33
	v_add_lshl_u32 v17, v25, v17, 3
	ds_write_b8 v22, v31 offset:8192
	s_waitcnt vmcnt(0)
	ds_write_b64 v17, v[36:37]
	v_mov_b32_e32 v17, v35
	s_branch .LBB94_15
.LBB94_20:                              ;   in Loop: Header=BB94_11 Depth=1
	s_or_b64 exec, exec, s[26:27]
.LBB94_21:                              ;   in Loop: Header=BB94_11 Depth=1
	s_or_b64 exec, exec, s[24:25]
	v_mov_b32_dpp v16, v17 row_shr:1 row_mask:0xf bank_mask:0xf
	v_min_i32_e32 v16, v16, v17
	s_waitcnt lgkmcnt(0)
	ds_read_u8 v17, v22 offset:8192
	v_mov_b32_dpp v18, v16 row_shr:2 row_mask:0xf bank_mask:0xf
	v_min_i32_e32 v16, v18, v16
	ds_bpermute_b32 v20, v26, v16
	v_mov_b32_e32 v21, 0
	s_waitcnt lgkmcnt(1)
	v_and_b32_e32 v16, 1, v17
	v_cmp_eq_u32_e32 vcc, 1, v16
	s_and_saveexec_b64 s[24:25], vcc
	s_cbranch_execz .LBB94_10
; %bb.22:                               ;   in Loop: Header=BB94_11 Depth=1
	v_add_u32_e32 v18, s31, v3
	v_ashrrev_i32_e32 v3, 31, v2
	v_lshl_add_u64 v[16:17], v[2:3], 2, s[14:15]
	global_store_dword v[16:17], v18, off
	v_mul_lo_u32 v18, s33, v2
	v_mul_lo_u32 v3, s34, v3
	v_mad_u64_u32 v[16:17], s[0:1], s34, v2, 0
	v_add3_u32 v17, v17, v3, v18
	v_lshlrev_b64 v[16:17], 3, v[16:17]
	v_lshl_add_u64 v[18:19], v[4:5], 0, v[16:17]
	v_lshl_add_u64 v[16:17], v[6:7], 0, v[16:17]
	s_and_saveexec_b64 s[0:1], s[20:21]
	s_cbranch_execz .LBB94_26
; %bb.23:                               ;   in Loop: Header=BB94_11 Depth=1
	s_and_b64 vcc, exec, s[18:19]
	s_cbranch_vccz .LBB94_37
; %bb.24:                               ;   in Loop: Header=BB94_11 Depth=1
	ds_read_b64 v[34:35], v28
	v_lshl_add_u64 v[36:37], v[0:1], 3, v[18:19]
	s_waitcnt lgkmcnt(0)
	global_store_dwordx2 v[36:37], v[34:35], off
	s_cbranch_execnz .LBB94_26
.LBB94_25:                              ;   in Loop: Header=BB94_11 Depth=1
	ds_read_b64 v[34:35], v28
	s_waitcnt lgkmcnt(0)
	global_store_dwordx2 v[16:17], v[34:35], off
.LBB94_26:                              ;   in Loop: Header=BB94_11 Depth=1
	s_or_b64 exec, exec, s[0:1]
	v_cndmask_b32_e64 v3, 0, 1, s[18:19]
	v_cmp_ne_u32_e64 s[0:1], 1, v3
	s_and_saveexec_b64 s[26:27], s[2:3]
	s_cbranch_execz .LBB94_30
; %bb.27:                               ;   in Loop: Header=BB94_11 Depth=1
	s_and_b64 vcc, exec, s[0:1]
	s_cbranch_vccnz .LBB94_38
; %bb.28:                               ;   in Loop: Header=BB94_11 Depth=1
	ds_read_b64 v[34:35], v28 offset:32
	v_lshl_add_u64 v[36:37], v[8:9], 3, v[18:19]
	s_waitcnt lgkmcnt(0)
	global_store_dwordx2 v[36:37], v[34:35], off
	s_cbranch_execnz .LBB94_30
.LBB94_29:                              ;   in Loop: Header=BB94_11 Depth=1
	ds_read_b64 v[34:35], v28 offset:32
	s_waitcnt lgkmcnt(0)
	global_store_dwordx2 v[16:17], v[34:35], off offset:32
.LBB94_30:                              ;   in Loop: Header=BB94_11 Depth=1
	s_or_b64 exec, exec, s[26:27]
	s_and_saveexec_b64 s[26:27], s[4:5]
	s_cbranch_execz .LBB94_34
; %bb.31:                               ;   in Loop: Header=BB94_11 Depth=1
	s_and_b64 vcc, exec, s[0:1]
	s_cbranch_vccnz .LBB94_39
; %bb.32:                               ;   in Loop: Header=BB94_11 Depth=1
	ds_read_b64 v[34:35], v28 offset:64
	v_lshl_add_u64 v[36:37], v[10:11], 3, v[18:19]
	s_waitcnt lgkmcnt(0)
	global_store_dwordx2 v[36:37], v[34:35], off
	s_cbranch_execnz .LBB94_34
.LBB94_33:                              ;   in Loop: Header=BB94_11 Depth=1
	ds_read_b64 v[34:35], v28 offset:64
	s_waitcnt lgkmcnt(0)
	global_store_dwordx2 v[16:17], v[34:35], off offset:64
.LBB94_34:                              ;   in Loop: Header=BB94_11 Depth=1
	s_or_b64 exec, exec, s[26:27]
	v_mov_b32_e32 v21, 1
	s_and_saveexec_b64 s[26:27], s[6:7]
	s_cbranch_execz .LBB94_9
; %bb.35:                               ;   in Loop: Header=BB94_11 Depth=1
	s_and_b64 vcc, exec, s[0:1]
	s_cbranch_vccnz .LBB94_40
; %bb.36:                               ;   in Loop: Header=BB94_11 Depth=1
	ds_read_b64 v[34:35], v28 offset:96
	v_lshl_add_u64 v[18:19], v[12:13], 3, v[18:19]
	s_mov_b32 s28, 1
	s_waitcnt lgkmcnt(0)
	global_store_dwordx2 v[18:19], v[34:35], off
	s_cbranch_execnz .LBB94_8
	s_branch .LBB94_41
.LBB94_37:                              ;   in Loop: Header=BB94_11 Depth=1
	s_branch .LBB94_25
.LBB94_38:                              ;   in Loop: Header=BB94_11 Depth=1
	s_branch .LBB94_29
.LBB94_39:                              ;   in Loop: Header=BB94_11 Depth=1
	s_branch .LBB94_33
.LBB94_40:                              ;   in Loop: Header=BB94_11 Depth=1
                                        ; implicit-def: $sgpr28
.LBB94_41:                              ;   in Loop: Header=BB94_11 Depth=1
	ds_read_b64 v[18:19], v28 offset:96
	s_mov_b32 s28, 1
	s_waitcnt lgkmcnt(0)
	global_store_dwordx2 v[16:17], v[18:19], off offset:96
	s_branch .LBB94_8
.LBB94_42:
	s_endpgm
	.section	.rodata,"a",@progbits
	.p2align	6, 0x0
	.amdhsa_kernel _ZN9rocsparseL44csr2gebsr_wavefront_per_row_multipass_kernelILi256ELi8ELi16ELi32EdEEv20rocsparse_direction_iiiiii21rocsparse_index_base_PKT3_PKiS7_S2_PS3_PiS9_
		.amdhsa_group_segment_fixed_size 8200
		.amdhsa_private_segment_fixed_size 0
		.amdhsa_kernarg_size 88
		.amdhsa_user_sgpr_count 2
		.amdhsa_user_sgpr_dispatch_ptr 0
		.amdhsa_user_sgpr_queue_ptr 0
		.amdhsa_user_sgpr_kernarg_segment_ptr 1
		.amdhsa_user_sgpr_dispatch_id 0
		.amdhsa_user_sgpr_kernarg_preload_length 0
		.amdhsa_user_sgpr_kernarg_preload_offset 0
		.amdhsa_user_sgpr_private_segment_size 0
		.amdhsa_uses_dynamic_stack 0
		.amdhsa_enable_private_segment 0
		.amdhsa_system_sgpr_workgroup_id_x 1
		.amdhsa_system_sgpr_workgroup_id_y 0
		.amdhsa_system_sgpr_workgroup_id_z 0
		.amdhsa_system_sgpr_workgroup_info 0
		.amdhsa_system_vgpr_workitem_id 0
		.amdhsa_next_free_vgpr 40
		.amdhsa_next_free_sgpr 35
		.amdhsa_accum_offset 40
		.amdhsa_reserve_vcc 1
		.amdhsa_float_round_mode_32 0
		.amdhsa_float_round_mode_16_64 0
		.amdhsa_float_denorm_mode_32 3
		.amdhsa_float_denorm_mode_16_64 3
		.amdhsa_dx10_clamp 1
		.amdhsa_ieee_mode 1
		.amdhsa_fp16_overflow 0
		.amdhsa_tg_split 0
		.amdhsa_exception_fp_ieee_invalid_op 0
		.amdhsa_exception_fp_denorm_src 0
		.amdhsa_exception_fp_ieee_div_zero 0
		.amdhsa_exception_fp_ieee_overflow 0
		.amdhsa_exception_fp_ieee_underflow 0
		.amdhsa_exception_fp_ieee_inexact 0
		.amdhsa_exception_int_div_zero 0
	.end_amdhsa_kernel
	.section	.text._ZN9rocsparseL44csr2gebsr_wavefront_per_row_multipass_kernelILi256ELi8ELi16ELi32EdEEv20rocsparse_direction_iiiiii21rocsparse_index_base_PKT3_PKiS7_S2_PS3_PiS9_,"axG",@progbits,_ZN9rocsparseL44csr2gebsr_wavefront_per_row_multipass_kernelILi256ELi8ELi16ELi32EdEEv20rocsparse_direction_iiiiii21rocsparse_index_base_PKT3_PKiS7_S2_PS3_PiS9_,comdat
.Lfunc_end94:
	.size	_ZN9rocsparseL44csr2gebsr_wavefront_per_row_multipass_kernelILi256ELi8ELi16ELi32EdEEv20rocsparse_direction_iiiiii21rocsparse_index_base_PKT3_PKiS7_S2_PS3_PiS9_, .Lfunc_end94-_ZN9rocsparseL44csr2gebsr_wavefront_per_row_multipass_kernelILi256ELi8ELi16ELi32EdEEv20rocsparse_direction_iiiiii21rocsparse_index_base_PKT3_PKiS7_S2_PS3_PiS9_
                                        ; -- End function
	.section	.AMDGPU.csdata,"",@progbits
; Kernel info:
; codeLenInByte = 1572
; NumSgprs: 41
; NumVgprs: 40
; NumAgprs: 0
; TotalNumVgprs: 40
; ScratchSize: 0
; MemoryBound: 0
; FloatMode: 240
; IeeeMode: 1
; LDSByteSize: 8200 bytes/workgroup (compile time only)
; SGPRBlocks: 5
; VGPRBlocks: 4
; NumSGPRsForWavesPerEU: 41
; NumVGPRsForWavesPerEU: 40
; AccumOffset: 40
; Occupancy: 7
; WaveLimiterHint : 0
; COMPUTE_PGM_RSRC2:SCRATCH_EN: 0
; COMPUTE_PGM_RSRC2:USER_SGPR: 2
; COMPUTE_PGM_RSRC2:TRAP_HANDLER: 0
; COMPUTE_PGM_RSRC2:TGID_X_EN: 1
; COMPUTE_PGM_RSRC2:TGID_Y_EN: 0
; COMPUTE_PGM_RSRC2:TGID_Z_EN: 0
; COMPUTE_PGM_RSRC2:TIDIG_COMP_CNT: 0
; COMPUTE_PGM_RSRC3_GFX90A:ACCUM_OFFSET: 9
; COMPUTE_PGM_RSRC3_GFX90A:TG_SPLIT: 0
	.section	.text._ZN9rocsparseL44csr2gebsr_wavefront_per_row_multipass_kernelILi256ELi8ELi32ELi64EdEEv20rocsparse_direction_iiiiii21rocsparse_index_base_PKT3_PKiS7_S2_PS3_PiS9_,"axG",@progbits,_ZN9rocsparseL44csr2gebsr_wavefront_per_row_multipass_kernelILi256ELi8ELi32ELi64EdEEv20rocsparse_direction_iiiiii21rocsparse_index_base_PKT3_PKiS7_S2_PS3_PiS9_,comdat
	.globl	_ZN9rocsparseL44csr2gebsr_wavefront_per_row_multipass_kernelILi256ELi8ELi32ELi64EdEEv20rocsparse_direction_iiiiii21rocsparse_index_base_PKT3_PKiS7_S2_PS3_PiS9_ ; -- Begin function _ZN9rocsparseL44csr2gebsr_wavefront_per_row_multipass_kernelILi256ELi8ELi32ELi64EdEEv20rocsparse_direction_iiiiii21rocsparse_index_base_PKT3_PKiS7_S2_PS3_PiS9_
	.p2align	8
	.type	_ZN9rocsparseL44csr2gebsr_wavefront_per_row_multipass_kernelILi256ELi8ELi32ELi64EdEEv20rocsparse_direction_iiiiii21rocsparse_index_base_PKT3_PKiS7_S2_PS3_PiS9_,@function
_ZN9rocsparseL44csr2gebsr_wavefront_per_row_multipass_kernelILi256ELi8ELi32ELi64EdEEv20rocsparse_direction_iiiiii21rocsparse_index_base_PKT3_PKiS7_S2_PS3_PiS9_: ; @_ZN9rocsparseL44csr2gebsr_wavefront_per_row_multipass_kernelILi256ELi8ELi32ELi64EdEEv20rocsparse_direction_iiiiii21rocsparse_index_base_PKT3_PKiS7_S2_PS3_PiS9_
; %bb.0:
	s_load_dwordx2 s[4:5], s[0:1], 0x0
	s_load_dwordx4 s[8:11], s[0:1], 0xc
	s_load_dword s30, s[0:1], 0x1c
	s_load_dwordx2 s[6:7], s[0:1], 0x28
	v_lshrrev_b32_e32 v22, 6, v0
	v_bfe_u32 v6, v0, 3, 3
	v_lshl_or_b32 v4, s2, 2, v22
	s_waitcnt lgkmcnt(0)
	v_mad_u64_u32 v[2:3], s[2:3], v4, s10, v[6:7]
	v_cmp_gt_i32_e64 s[2:3], s5, v2
	v_cmp_gt_i32_e32 vcc, s10, v6
	s_and_b64 s[2:3], vcc, s[2:3]
	v_mov_b32_e32 v23, 0
	v_mov_b32_e32 v20, 0
	s_and_saveexec_b64 s[12:13], s[2:3]
	s_cbranch_execz .LBB95_2
; %bb.1:
	v_ashrrev_i32_e32 v3, 31, v2
	v_lshl_add_u64 v[8:9], v[2:3], 2, s[6:7]
	global_load_dword v1, v[8:9], off
	s_waitcnt vmcnt(0)
	v_subrev_u32_e32 v20, s30, v1
.LBB95_2:
	s_or_b64 exec, exec, s[12:13]
	s_and_saveexec_b64 s[12:13], s[2:3]
	s_cbranch_execz .LBB95_4
; %bb.3:
	v_ashrrev_i32_e32 v3, 31, v2
	v_lshl_add_u64 v[2:3], v[2:3], 2, s[6:7]
	global_load_dword v1, v[2:3], off offset:4
	s_waitcnt vmcnt(0)
	v_subrev_u32_e32 v23, s30, v1
.LBB95_4:
	s_or_b64 exec, exec, s[12:13]
	s_load_dword s31, s[0:1], 0x38
	v_cmp_gt_i32_e64 s[2:3], s8, v4
	v_mov_b32_e32 v2, 0
	s_and_saveexec_b64 s[6:7], s[2:3]
	s_cbranch_execz .LBB95_6
; %bb.5:
	s_load_dwordx2 s[2:3], s[0:1], 0x48
	v_ashrrev_i32_e32 v5, 31, v4
	s_waitcnt lgkmcnt(0)
	v_lshl_add_u64 v[2:3], v[4:5], 2, s[2:3]
	global_load_dword v1, v[2:3], off
	s_waitcnt vmcnt(0)
	v_subrev_u32_e32 v2, s31, v1
.LBB95_6:
	s_or_b64 exec, exec, s[6:7]
	s_cmp_lt_i32 s9, 1
	s_cbranch_scc1 .LBB95_42
; %bb.7:
	v_and_b32_e32 v24, 7, v0
	v_lshlrev_b32_e32 v0, 8, v22
	s_load_dwordx2 s[12:13], s[0:1], 0x20
	s_load_dwordx2 s[14:15], s[0:1], 0x50
	;; [unrolled: 1-line block ×4, first 2 shown]
	v_lshl_or_b32 v25, v6, 5, v0
	v_mbcnt_lo_u32_b32 v0, -1, 0
	v_mbcnt_hi_u32_b32 v0, -1, v0
	v_lshlrev_b32_e32 v3, 2, v0
	v_lshlrev_b32_e32 v0, 3, v6
	v_mul_lo_u32 v6, v6, s11
	v_mov_b32_e32 v1, 0
	s_cmp_lg_u32 s4, 0
	v_ashrrev_i32_e32 v7, 31, v6
	v_or_b32_e32 v26, 28, v3
	s_cselect_b64 s[18:19], -1, 0
	s_ashr_i32 s8, s11, 31
	s_waitcnt lgkmcnt(0)
	v_lshl_add_u64 v[4:5], s[2:3], 0, v[0:1]
	v_lshl_add_u64 v[6:7], v[6:7], 3, s[2:3]
	v_lshlrev_b32_e32 v0, 3, v24
	v_or_b32_e32 v27, 0xfc, v3
	v_or_b32_e32 v3, 8, v24
	s_mul_hi_u32 s0, s11, s10
	s_mul_i32 s1, s8, s10
	s_mul_i32 s34, s11, s10
	v_lshl_add_u64 v[6:7], v[6:7], 0, v[0:1]
	v_mul_lo_u32 v0, v24, s10
	v_cmp_gt_u32_e64 s[2:3], s11, v3
	s_lshl_b32 s20, s10, 3
	v_or_b32_e32 v3, 16, v24
	s_abs_i32 s10, s11
	v_cmp_gt_u32_e64 s[4:5], s11, v3
	v_cvt_f32_u32_e32 v3, s10
	v_or_b32_e32 v8, v25, v24
	v_lshlrev_b32_e32 v28, 3, v8
	v_add_u32_e32 v8, s20, v0
	v_rcp_iflag_f32_e32 v3, v3
	s_add_i32 s33, s0, s1
	v_cmp_gt_u32_e64 s[0:1], s11, v24
	v_add_u32_e32 v10, s20, v8
	v_mul_f32_e32 v3, 0x4f7ffffe, v3
	v_cvt_u32_f32_e32 v3, v3
	v_or_b32_e32 v12, 24, v24
	v_cmp_gt_u32_e64 s[6:7], s11, v12
	v_add_u32_e32 v12, s20, v10
	s_and_b64 s[20:21], s[0:1], vcc
	s_sub_i32 s0, 0, s10
	v_mul_lo_u32 v14, s0, v3
	v_mul_hi_u32 v14, v3, v14
	v_mov_b32_e32 v9, v1
	v_mov_b32_e32 v11, v1
	;; [unrolled: 1-line block ×3, first 2 shown]
	s_and_b64 s[2:3], vcc, s[2:3]
	s_and_b64 s[4:5], vcc, s[4:5]
	;; [unrolled: 1-line block ×3, first 2 shown]
	v_add_u32_e32 v29, v3, v14
	v_or_b32_e32 v30, -8, v24
	s_mov_b64 s[22:23], 0
	v_mov_b32_e32 v14, v1
	v_mov_b32_e32 v15, v1
	v_mov_b32_e32 v31, 1
	v_mov_b32_e32 v3, v1
	s_branch .LBB95_11
.LBB95_8:                               ;   in Loop: Header=BB95_11 Depth=1
	v_mov_b32_e32 v21, s28
.LBB95_9:                               ;   in Loop: Header=BB95_11 Depth=1
	s_or_b64 exec, exec, s[26:27]
.LBB95_10:                              ;   in Loop: Header=BB95_11 Depth=1
	s_or_b64 exec, exec, s[24:25]
	v_mov_b32_dpp v3, v32 row_shr:1 row_mask:0xf bank_mask:0xf
	v_min_i32_e32 v3, v3, v32
	v_add_u32_e32 v2, v21, v2
	s_waitcnt lgkmcnt(0)
	v_mov_b32_dpp v16, v3 row_shr:2 row_mask:0xf bank_mask:0xf
	v_min_i32_e32 v3, v16, v3
	s_nop 1
	v_mov_b32_dpp v16, v3 row_shr:4 row_mask:0xf bank_mask:0xe
	v_min_i32_e32 v3, v16, v3
	s_nop 1
	;; [unrolled: 3-line block ×3, first 2 shown]
	v_mov_b32_dpp v16, v3 row_bcast:15 row_mask:0xa bank_mask:0xf
	v_min_i32_e32 v3, v16, v3
	s_nop 1
	v_mov_b32_dpp v16, v3 row_bcast:31 row_mask:0xc bank_mask:0xf
	v_min_i32_e32 v3, v16, v3
	ds_bpermute_b32 v3, v27, v3
	s_waitcnt lgkmcnt(0)
	v_cmp_le_i32_e32 vcc, s9, v3
	s_or_b64 s[22:23], vcc, s[22:23]
	s_andn2_b64 exec, exec, s[22:23]
	s_cbranch_execz .LBB95_42
.LBB95_11:                              ; =>This Loop Header: Depth=1
                                        ;     Child Loop BB95_12 Depth 2
                                        ;     Child Loop BB95_16 Depth 2
	s_mov_b64 s[0:1], 0
	v_mov_b32_e32 v16, v28
	v_mov_b32_e32 v17, v30
	ds_write_b8 v22, v1 offset:8192
.LBB95_12:                              ;   Parent Loop BB95_11 Depth=1
                                        ; =>  This Inner Loop Header: Depth=2
	v_add_u32_e32 v17, 8, v17
	v_cmp_lt_u32_e32 vcc, 23, v17
	ds_write_b64 v16, v[14:15]
	s_or_b64 s[0:1], vcc, s[0:1]
	v_add_u32_e32 v16, 64, v16
	s_andn2_b64 exec, exec, s[0:1]
	s_cbranch_execnz .LBB95_12
; %bb.13:                               ;   in Loop: Header=BB95_11 Depth=1
	s_or_b64 exec, exec, s[0:1]
	v_add_u32_e32 v16, v20, v24
	v_cmp_lt_i32_e32 vcc, v16, v23
	v_mov_b32_e32 v32, s9
	v_mov_b32_e32 v17, v23
	s_waitcnt lgkmcnt(0)
	s_and_saveexec_b64 s[24:25], vcc
	s_cbranch_execz .LBB95_21
; %bb.14:                               ;   in Loop: Header=BB95_11 Depth=1
	v_ashrrev_i32_e32 v17, 31, v16
	v_mul_lo_u32 v33, v3, s11
	v_lshl_add_u64 v[18:19], v[16:17], 2, s[16:17]
	v_lshl_add_u64 v[20:21], v[16:17], 3, s[12:13]
	s_mov_b64 s[26:27], 0
	v_mov_b32_e32 v32, s9
	v_mov_b32_e32 v17, v23
	s_branch .LBB95_16
.LBB95_15:                              ;   in Loop: Header=BB95_16 Depth=2
	s_or_b64 exec, exec, s[0:1]
	v_add_u32_e32 v16, 8, v16
	v_cmp_ge_i32_e64 s[0:1], v16, v23
	s_xor_b64 s[28:29], vcc, -1
	s_or_b64 s[0:1], s[28:29], s[0:1]
	s_and_b64 s[0:1], exec, s[0:1]
	v_lshl_add_u64 v[18:19], v[18:19], 0, 32
	s_or_b64 s[26:27], s[0:1], s[26:27]
	v_lshl_add_u64 v[20:21], v[20:21], 0, 64
	s_andn2_b64 exec, exec, s[26:27]
	s_cbranch_execz .LBB95_20
.LBB95_16:                              ;   Parent Loop BB95_11 Depth=1
                                        ; =>  This Inner Loop Header: Depth=2
	global_load_dword v34, v[18:19], off
	s_waitcnt vmcnt(0)
	v_subrev_u32_e32 v34, s30, v34
	v_sub_u32_e32 v36, 0, v34
	v_max_i32_e32 v36, v34, v36
	v_mul_hi_u32 v37, v36, v29
	v_mul_lo_u32 v38, v37, s10
	v_sub_u32_e32 v36, v36, v38
	v_add_u32_e32 v39, 1, v37
	v_cmp_le_u32_e32 vcc, s10, v36
	v_subrev_u32_e32 v38, s10, v36
	v_ashrrev_i32_e32 v35, 31, v34
	v_cndmask_b32_e32 v37, v37, v39, vcc
	v_cndmask_b32_e32 v36, v36, v38, vcc
	v_add_u32_e32 v38, 1, v37
	v_cmp_le_u32_e32 vcc, s10, v36
	v_xor_b32_e32 v35, s8, v35
	s_nop 0
	v_cndmask_b32_e32 v36, v37, v38, vcc
	v_xor_b32_e32 v36, v36, v35
	v_sub_u32_e32 v36, v36, v35
	v_cmp_eq_u32_e32 vcc, v36, v3
	v_cmp_ne_u32_e64 s[0:1], v36, v3
	v_mov_b32_e32 v35, v17
	s_and_saveexec_b64 s[28:29], s[0:1]
	s_xor_b64 s[0:1], exec, s[28:29]
; %bb.17:                               ;   in Loop: Header=BB95_16 Depth=2
	v_min_i32_e32 v32, v36, v32
                                        ; implicit-def: $vgpr34
                                        ; implicit-def: $vgpr35
; %bb.18:                               ;   in Loop: Header=BB95_16 Depth=2
	s_or_saveexec_b64 s[0:1], s[0:1]
	v_mov_b32_e32 v17, v16
	s_xor_b64 exec, exec, s[0:1]
	s_cbranch_execz .LBB95_15
; %bb.19:                               ;   in Loop: Header=BB95_16 Depth=2
	global_load_dwordx2 v[36:37], v[20:21], off
	v_sub_u32_e32 v17, v34, v33
	v_add_lshl_u32 v17, v25, v17, 3
	ds_write_b8 v22, v31 offset:8192
	s_waitcnt vmcnt(0)
	ds_write_b64 v17, v[36:37]
	v_mov_b32_e32 v17, v35
	s_branch .LBB95_15
.LBB95_20:                              ;   in Loop: Header=BB95_11 Depth=1
	s_or_b64 exec, exec, s[26:27]
.LBB95_21:                              ;   in Loop: Header=BB95_11 Depth=1
	s_or_b64 exec, exec, s[24:25]
	v_mov_b32_dpp v16, v17 row_shr:1 row_mask:0xf bank_mask:0xf
	v_min_i32_e32 v16, v16, v17
	s_waitcnt lgkmcnt(0)
	v_mov_b32_e32 v21, 0
	v_mov_b32_dpp v17, v16 row_shr:2 row_mask:0xf bank_mask:0xf
	v_min_i32_e32 v16, v17, v16
	ds_read_u8 v17, v22 offset:8192
	s_nop 0
	v_mov_b32_dpp v18, v16 row_shr:4 row_mask:0xf bank_mask:0xe
	v_min_i32_e32 v16, v18, v16
	ds_bpermute_b32 v20, v26, v16
	s_waitcnt lgkmcnt(1)
	v_and_b32_e32 v16, 1, v17
	v_cmp_eq_u32_e32 vcc, 1, v16
	s_and_saveexec_b64 s[24:25], vcc
	s_cbranch_execz .LBB95_10
; %bb.22:                               ;   in Loop: Header=BB95_11 Depth=1
	v_add_u32_e32 v18, s31, v3
	v_ashrrev_i32_e32 v3, 31, v2
	v_lshl_add_u64 v[16:17], v[2:3], 2, s[14:15]
	global_store_dword v[16:17], v18, off
	v_mul_lo_u32 v18, s33, v2
	v_mul_lo_u32 v3, s34, v3
	v_mad_u64_u32 v[16:17], s[0:1], s34, v2, 0
	v_add3_u32 v17, v17, v3, v18
	v_lshlrev_b64 v[16:17], 3, v[16:17]
	v_lshl_add_u64 v[18:19], v[4:5], 0, v[16:17]
	v_lshl_add_u64 v[16:17], v[6:7], 0, v[16:17]
	s_and_saveexec_b64 s[0:1], s[20:21]
	s_cbranch_execz .LBB95_26
; %bb.23:                               ;   in Loop: Header=BB95_11 Depth=1
	s_and_b64 vcc, exec, s[18:19]
	s_cbranch_vccz .LBB95_37
; %bb.24:                               ;   in Loop: Header=BB95_11 Depth=1
	ds_read_b64 v[34:35], v28
	v_lshl_add_u64 v[36:37], v[0:1], 3, v[18:19]
	s_waitcnt lgkmcnt(0)
	global_store_dwordx2 v[36:37], v[34:35], off
	s_cbranch_execnz .LBB95_26
.LBB95_25:                              ;   in Loop: Header=BB95_11 Depth=1
	ds_read_b64 v[34:35], v28
	s_waitcnt lgkmcnt(0)
	global_store_dwordx2 v[16:17], v[34:35], off
.LBB95_26:                              ;   in Loop: Header=BB95_11 Depth=1
	s_or_b64 exec, exec, s[0:1]
	v_cndmask_b32_e64 v3, 0, 1, s[18:19]
	v_cmp_ne_u32_e64 s[0:1], 1, v3
	s_and_saveexec_b64 s[26:27], s[2:3]
	s_cbranch_execz .LBB95_30
; %bb.27:                               ;   in Loop: Header=BB95_11 Depth=1
	s_and_b64 vcc, exec, s[0:1]
	s_cbranch_vccnz .LBB95_38
; %bb.28:                               ;   in Loop: Header=BB95_11 Depth=1
	ds_read_b64 v[34:35], v28 offset:64
	v_lshl_add_u64 v[36:37], v[8:9], 3, v[18:19]
	s_waitcnt lgkmcnt(0)
	global_store_dwordx2 v[36:37], v[34:35], off
	s_cbranch_execnz .LBB95_30
.LBB95_29:                              ;   in Loop: Header=BB95_11 Depth=1
	ds_read_b64 v[34:35], v28 offset:64
	s_waitcnt lgkmcnt(0)
	global_store_dwordx2 v[16:17], v[34:35], off offset:64
.LBB95_30:                              ;   in Loop: Header=BB95_11 Depth=1
	s_or_b64 exec, exec, s[26:27]
	s_and_saveexec_b64 s[26:27], s[4:5]
	s_cbranch_execz .LBB95_34
; %bb.31:                               ;   in Loop: Header=BB95_11 Depth=1
	s_and_b64 vcc, exec, s[0:1]
	s_cbranch_vccnz .LBB95_39
; %bb.32:                               ;   in Loop: Header=BB95_11 Depth=1
	ds_read_b64 v[34:35], v28 offset:128
	v_lshl_add_u64 v[36:37], v[10:11], 3, v[18:19]
	s_waitcnt lgkmcnt(0)
	global_store_dwordx2 v[36:37], v[34:35], off
	s_cbranch_execnz .LBB95_34
.LBB95_33:                              ;   in Loop: Header=BB95_11 Depth=1
	ds_read_b64 v[34:35], v28 offset:128
	s_waitcnt lgkmcnt(0)
	global_store_dwordx2 v[16:17], v[34:35], off offset:128
.LBB95_34:                              ;   in Loop: Header=BB95_11 Depth=1
	s_or_b64 exec, exec, s[26:27]
	v_mov_b32_e32 v21, 1
	s_and_saveexec_b64 s[26:27], s[6:7]
	s_cbranch_execz .LBB95_9
; %bb.35:                               ;   in Loop: Header=BB95_11 Depth=1
	s_and_b64 vcc, exec, s[0:1]
	s_cbranch_vccnz .LBB95_40
; %bb.36:                               ;   in Loop: Header=BB95_11 Depth=1
	ds_read_b64 v[34:35], v28 offset:192
	v_lshl_add_u64 v[18:19], v[12:13], 3, v[18:19]
	s_mov_b32 s28, 1
	s_waitcnt lgkmcnt(0)
	global_store_dwordx2 v[18:19], v[34:35], off
	s_cbranch_execnz .LBB95_8
	s_branch .LBB95_41
.LBB95_37:                              ;   in Loop: Header=BB95_11 Depth=1
	s_branch .LBB95_25
.LBB95_38:                              ;   in Loop: Header=BB95_11 Depth=1
	s_branch .LBB95_29
.LBB95_39:                              ;   in Loop: Header=BB95_11 Depth=1
	s_branch .LBB95_33
.LBB95_40:                              ;   in Loop: Header=BB95_11 Depth=1
                                        ; implicit-def: $sgpr28
.LBB95_41:                              ;   in Loop: Header=BB95_11 Depth=1
	ds_read_b64 v[18:19], v28 offset:192
	s_mov_b32 s28, 1
	s_waitcnt lgkmcnt(0)
	global_store_dwordx2 v[16:17], v[18:19], off offset:192
	s_branch .LBB95_8
.LBB95_42:
	s_endpgm
	.section	.rodata,"a",@progbits
	.p2align	6, 0x0
	.amdhsa_kernel _ZN9rocsparseL44csr2gebsr_wavefront_per_row_multipass_kernelILi256ELi8ELi32ELi64EdEEv20rocsparse_direction_iiiiii21rocsparse_index_base_PKT3_PKiS7_S2_PS3_PiS9_
		.amdhsa_group_segment_fixed_size 8200
		.amdhsa_private_segment_fixed_size 0
		.amdhsa_kernarg_size 88
		.amdhsa_user_sgpr_count 2
		.amdhsa_user_sgpr_dispatch_ptr 0
		.amdhsa_user_sgpr_queue_ptr 0
		.amdhsa_user_sgpr_kernarg_segment_ptr 1
		.amdhsa_user_sgpr_dispatch_id 0
		.amdhsa_user_sgpr_kernarg_preload_length 0
		.amdhsa_user_sgpr_kernarg_preload_offset 0
		.amdhsa_user_sgpr_private_segment_size 0
		.amdhsa_uses_dynamic_stack 0
		.amdhsa_enable_private_segment 0
		.amdhsa_system_sgpr_workgroup_id_x 1
		.amdhsa_system_sgpr_workgroup_id_y 0
		.amdhsa_system_sgpr_workgroup_id_z 0
		.amdhsa_system_sgpr_workgroup_info 0
		.amdhsa_system_vgpr_workitem_id 0
		.amdhsa_next_free_vgpr 40
		.amdhsa_next_free_sgpr 35
		.amdhsa_accum_offset 40
		.amdhsa_reserve_vcc 1
		.amdhsa_float_round_mode_32 0
		.amdhsa_float_round_mode_16_64 0
		.amdhsa_float_denorm_mode_32 3
		.amdhsa_float_denorm_mode_16_64 3
		.amdhsa_dx10_clamp 1
		.amdhsa_ieee_mode 1
		.amdhsa_fp16_overflow 0
		.amdhsa_tg_split 0
		.amdhsa_exception_fp_ieee_invalid_op 0
		.amdhsa_exception_fp_denorm_src 0
		.amdhsa_exception_fp_ieee_div_zero 0
		.amdhsa_exception_fp_ieee_overflow 0
		.amdhsa_exception_fp_ieee_underflow 0
		.amdhsa_exception_fp_ieee_inexact 0
		.amdhsa_exception_int_div_zero 0
	.end_amdhsa_kernel
	.section	.text._ZN9rocsparseL44csr2gebsr_wavefront_per_row_multipass_kernelILi256ELi8ELi32ELi64EdEEv20rocsparse_direction_iiiiii21rocsparse_index_base_PKT3_PKiS7_S2_PS3_PiS9_,"axG",@progbits,_ZN9rocsparseL44csr2gebsr_wavefront_per_row_multipass_kernelILi256ELi8ELi32ELi64EdEEv20rocsparse_direction_iiiiii21rocsparse_index_base_PKT3_PKiS7_S2_PS3_PiS9_,comdat
.Lfunc_end95:
	.size	_ZN9rocsparseL44csr2gebsr_wavefront_per_row_multipass_kernelILi256ELi8ELi32ELi64EdEEv20rocsparse_direction_iiiiii21rocsparse_index_base_PKT3_PKiS7_S2_PS3_PiS9_, .Lfunc_end95-_ZN9rocsparseL44csr2gebsr_wavefront_per_row_multipass_kernelILi256ELi8ELi32ELi64EdEEv20rocsparse_direction_iiiiii21rocsparse_index_base_PKT3_PKiS7_S2_PS3_PiS9_
                                        ; -- End function
	.section	.AMDGPU.csdata,"",@progbits
; Kernel info:
; codeLenInByte = 1604
; NumSgprs: 41
; NumVgprs: 40
; NumAgprs: 0
; TotalNumVgprs: 40
; ScratchSize: 0
; MemoryBound: 0
; FloatMode: 240
; IeeeMode: 1
; LDSByteSize: 8200 bytes/workgroup (compile time only)
; SGPRBlocks: 5
; VGPRBlocks: 4
; NumSGPRsForWavesPerEU: 41
; NumVGPRsForWavesPerEU: 40
; AccumOffset: 40
; Occupancy: 7
; WaveLimiterHint : 0
; COMPUTE_PGM_RSRC2:SCRATCH_EN: 0
; COMPUTE_PGM_RSRC2:USER_SGPR: 2
; COMPUTE_PGM_RSRC2:TRAP_HANDLER: 0
; COMPUTE_PGM_RSRC2:TGID_X_EN: 1
; COMPUTE_PGM_RSRC2:TGID_Y_EN: 0
; COMPUTE_PGM_RSRC2:TGID_Z_EN: 0
; COMPUTE_PGM_RSRC2:TIDIG_COMP_CNT: 0
; COMPUTE_PGM_RSRC3_GFX90A:ACCUM_OFFSET: 9
; COMPUTE_PGM_RSRC3_GFX90A:TG_SPLIT: 0
	.section	.text._ZN9rocsparseL44csr2gebsr_wavefront_per_row_multipass_kernelILi256ELi8ELi32ELi32EdEEv20rocsparse_direction_iiiiii21rocsparse_index_base_PKT3_PKiS7_S2_PS3_PiS9_,"axG",@progbits,_ZN9rocsparseL44csr2gebsr_wavefront_per_row_multipass_kernelILi256ELi8ELi32ELi32EdEEv20rocsparse_direction_iiiiii21rocsparse_index_base_PKT3_PKiS7_S2_PS3_PiS9_,comdat
	.globl	_ZN9rocsparseL44csr2gebsr_wavefront_per_row_multipass_kernelILi256ELi8ELi32ELi32EdEEv20rocsparse_direction_iiiiii21rocsparse_index_base_PKT3_PKiS7_S2_PS3_PiS9_ ; -- Begin function _ZN9rocsparseL44csr2gebsr_wavefront_per_row_multipass_kernelILi256ELi8ELi32ELi32EdEEv20rocsparse_direction_iiiiii21rocsparse_index_base_PKT3_PKiS7_S2_PS3_PiS9_
	.p2align	8
	.type	_ZN9rocsparseL44csr2gebsr_wavefront_per_row_multipass_kernelILi256ELi8ELi32ELi32EdEEv20rocsparse_direction_iiiiii21rocsparse_index_base_PKT3_PKiS7_S2_PS3_PiS9_,@function
_ZN9rocsparseL44csr2gebsr_wavefront_per_row_multipass_kernelILi256ELi8ELi32ELi32EdEEv20rocsparse_direction_iiiiii21rocsparse_index_base_PKT3_PKiS7_S2_PS3_PiS9_: ; @_ZN9rocsparseL44csr2gebsr_wavefront_per_row_multipass_kernelILi256ELi8ELi32ELi32EdEEv20rocsparse_direction_iiiiii21rocsparse_index_base_PKT3_PKiS7_S2_PS3_PiS9_
; %bb.0:
	s_load_dwordx2 s[4:5], s[0:1], 0x0
	s_load_dwordx4 s[16:19], s[0:1], 0xc
	s_load_dword s33, s[0:1], 0x1c
	s_load_dwordx2 s[6:7], s[0:1], 0x28
	v_lshrrev_b32_e32 v32, 5, v0
	v_bfe_u32 v8, v0, 2, 3
	v_lshl_or_b32 v4, s2, 3, v32
	s_waitcnt lgkmcnt(0)
	v_mad_u64_u32 v[2:3], s[2:3], v4, s18, v[8:9]
	v_cmp_gt_i32_e64 s[2:3], s5, v2
	v_cmp_gt_i32_e32 vcc, s18, v8
	s_and_b64 s[2:3], vcc, s[2:3]
	v_mov_b32_e32 v33, 0
	v_mov_b32_e32 v22, 0
	s_and_saveexec_b64 s[8:9], s[2:3]
	s_cbranch_execz .LBB96_2
; %bb.1:
	v_ashrrev_i32_e32 v3, 31, v2
	v_lshl_add_u64 v[6:7], v[2:3], 2, s[6:7]
	global_load_dword v1, v[6:7], off
	s_waitcnt vmcnt(0)
	v_subrev_u32_e32 v22, s33, v1
.LBB96_2:
	s_or_b64 exec, exec, s[8:9]
	s_and_saveexec_b64 s[8:9], s[2:3]
	s_cbranch_execz .LBB96_4
; %bb.3:
	v_ashrrev_i32_e32 v3, 31, v2
	v_lshl_add_u64 v[2:3], v[2:3], 2, s[6:7]
	global_load_dword v1, v[2:3], off offset:4
	s_waitcnt vmcnt(0)
	v_subrev_u32_e32 v33, s33, v1
.LBB96_4:
	s_or_b64 exec, exec, s[8:9]
	s_load_dword s40, s[0:1], 0x38
	v_cmp_gt_i32_e64 s[2:3], s16, v4
	v_mov_b32_e32 v2, 0
	s_and_saveexec_b64 s[6:7], s[2:3]
	s_cbranch_execz .LBB96_6
; %bb.5:
	s_load_dwordx2 s[2:3], s[0:1], 0x48
	v_ashrrev_i32_e32 v5, 31, v4
	s_waitcnt lgkmcnt(0)
	v_lshl_add_u64 v[2:3], v[4:5], 2, s[2:3]
	global_load_dword v1, v[2:3], off
	s_waitcnt vmcnt(0)
	v_subrev_u32_e32 v2, s40, v1
.LBB96_6:
	s_or_b64 exec, exec, s[6:7]
	s_cmp_lt_i32 s17, 1
	s_cbranch_scc1 .LBB96_60
; %bb.7:
	s_load_dwordx2 s[20:21], s[0:1], 0x20
	s_load_dwordx2 s[22:23], s[0:1], 0x50
	;; [unrolled: 1-line block ×4, first 2 shown]
	v_lshlrev_b32_e32 v1, 8, v32
	v_lshl_or_b32 v34, v8, 5, v1
	v_lshlrev_b32_e32 v4, 3, v8
	v_mul_lo_u32 v8, v8, s19
	v_and_b32_e32 v0, 3, v0
	v_mbcnt_lo_u32_b32 v1, -1, 0
	s_cmp_lg_u32 s4, 0
	v_mov_b32_e32 v5, 0
	v_ashrrev_i32_e32 v9, 31, v8
	v_mbcnt_hi_u32_b32 v1, -1, v1
	s_cselect_b64 s[26:27], -1, 0
	s_ashr_i32 s16, s19, 31
	s_waitcnt lgkmcnt(0)
	v_lshl_add_u64 v[6:7], s[2:3], 0, v[4:5]
	v_lshl_add_u64 v[8:9], v[8:9], 3, s[2:3]
	v_lshlrev_b32_e32 v4, 3, v0
	v_lshlrev_b32_e32 v3, 2, v1
	v_or_b32_e32 v10, v34, v0
	s_mul_hi_u32 s0, s19, s18
	s_mul_i32 s1, s16, s18
	s_mul_i32 s42, s19, s18
	v_lshl_add_u64 v[8:9], v[8:9], 0, v[4:5]
	v_mul_lo_u32 v4, v0, s18
	s_lshl_b32 s18, s18, 2
	v_or_b32_e32 v36, 12, v3
	v_or_b32_e32 v37, 0x7c, v3
	v_lshlrev_b32_e32 v38, 3, v10
	v_or_b32_e32 v3, 4, v0
	v_add_u32_e32 v10, s18, v4
	v_cmp_gt_u32_e64 s[2:3], s19, v3
	v_or_b32_e32 v3, 8, v0
	v_add_u32_e32 v12, s18, v10
	v_cmp_gt_u32_e64 s[4:5], s19, v3
	;; [unrolled: 3-line block ×6, first 2 shown]
	v_or_b32_e32 v3, 28, v0
	v_add_u32_e32 v24, s18, v20
	s_abs_i32 s18, s19
	v_cmp_gt_u32_e64 s[14:15], s19, v3
	v_cvt_f32_u32_e32 v3, s18
	s_add_i32 s41, s0, s1
	v_cmp_gt_u32_e64 s[0:1], s19, v0
	s_and_b64 s[28:29], s[0:1], vcc
	v_rcp_iflag_f32_e32 v3, v3
	s_sub_i32 s0, 0, s18
	s_mov_b32 s36, 0
	s_mov_b32 s37, s36
	v_mul_f32_e32 v3, 0x4f7ffffe, v3
	v_cvt_u32_f32_e32 v3, v3
	v_mov_b32_e32 v35, 0
	v_mov_b32_e32 v1, v5
	;; [unrolled: 1-line block ×3, first 2 shown]
	v_mul_lo_u32 v23, s0, v3
	v_mul_hi_u32 v23, v3, v23
	v_add_u32_e32 v39, v3, v23
	v_cndmask_b32_e64 v3, 0, 1, s[26:27]
	v_mov_b32_e32 v13, v5
	v_mov_b32_e32 v15, v5
	;; [unrolled: 1-line block ×6, first 2 shown]
	s_and_b64 s[30:31], vcc, s[2:3]
	s_and_b64 s[4:5], vcc, s[4:5]
	;; [unrolled: 1-line block ×7, first 2 shown]
	s_mov_b64 s[34:35], 0
	v_mov_b64_e32 v[26:27], s[36:37]
	v_cmp_ne_u32_e64 s[0:1], 1, v3
	v_mov_b32_e32 v40, 1
	v_mov_b32_e32 v3, 0
	s_branch .LBB96_11
.LBB96_8:                               ;   in Loop: Header=BB96_11 Depth=1
	v_mov_b32_e32 v23, s43
.LBB96_9:                               ;   in Loop: Header=BB96_11 Depth=1
	s_or_b64 exec, exec, s[36:37]
.LBB96_10:                              ;   in Loop: Header=BB96_11 Depth=1
	s_or_b64 exec, exec, s[2:3]
	v_mov_b32_dpp v3, v41 row_shr:1 row_mask:0xf bank_mask:0xf
	v_min_i32_e32 v3, v3, v41
	v_add_u32_e32 v2, v23, v2
	s_waitcnt lgkmcnt(0)
	v_mov_b32_dpp v28, v3 row_shr:2 row_mask:0xf bank_mask:0xf
	v_min_i32_e32 v3, v28, v3
	s_nop 1
	v_mov_b32_dpp v28, v3 row_shr:4 row_mask:0xf bank_mask:0xe
	v_min_i32_e32 v3, v28, v3
	s_nop 1
	;; [unrolled: 3-line block ×3, first 2 shown]
	v_mov_b32_dpp v28, v3 row_bcast:15 row_mask:0xa bank_mask:0xf
	v_min_i32_e32 v3, v28, v3
	ds_bpermute_b32 v3, v37, v3
	s_waitcnt lgkmcnt(0)
	v_cmp_le_i32_e32 vcc, s17, v3
	s_or_b64 s[34:35], vcc, s[34:35]
	s_andn2_b64 exec, exec, s[34:35]
	s_cbranch_execz .LBB96_60
.LBB96_11:                              ; =>This Loop Header: Depth=1
                                        ;     Child Loop BB96_14 Depth 2
	v_add_u32_e32 v30, v22, v0
	v_cmp_lt_i32_e32 vcc, v30, v33
	v_mov_b32_e32 v41, s17
	v_mov_b32_e32 v42, v33
	ds_write_b8 v32, v35 offset:16384
	ds_write2_b64 v38, v[26:27], v[26:27] offset1:4
	ds_write2_b64 v38, v[26:27], v[26:27] offset0:8 offset1:12
	ds_write2_b64 v38, v[26:27], v[26:27] offset0:16 offset1:20
	;; [unrolled: 1-line block ×3, first 2 shown]
	s_waitcnt lgkmcnt(0)
	s_and_saveexec_b64 s[36:37], vcc
	s_cbranch_execz .LBB96_19
; %bb.12:                               ;   in Loop: Header=BB96_11 Depth=1
	v_ashrrev_i32_e32 v23, 31, v22
	v_lshl_add_u64 v[28:29], v[0:1], 0, v[22:23]
	v_mul_lo_u32 v31, v3, s19
	v_lshl_add_u64 v[22:23], v[28:29], 2, s[24:25]
	v_lshl_add_u64 v[28:29], v[28:29], 3, s[20:21]
	s_mov_b64 s[38:39], 0
	v_mov_b32_e32 v41, s17
	v_mov_b32_e32 v42, v33
	s_branch .LBB96_14
.LBB96_13:                              ;   in Loop: Header=BB96_14 Depth=2
	s_or_b64 exec, exec, s[2:3]
	v_add_u32_e32 v30, 4, v30
	v_cmp_ge_i32_e64 s[2:3], v30, v33
	s_xor_b64 s[44:45], vcc, -1
	s_or_b64 s[2:3], s[44:45], s[2:3]
	s_and_b64 s[2:3], exec, s[2:3]
	v_lshl_add_u64 v[22:23], v[22:23], 0, 16
	s_or_b64 s[38:39], s[2:3], s[38:39]
	v_lshl_add_u64 v[28:29], v[28:29], 0, 32
	s_andn2_b64 exec, exec, s[38:39]
	s_cbranch_execz .LBB96_18
.LBB96_14:                              ;   Parent Loop BB96_11 Depth=1
                                        ; =>  This Inner Loop Header: Depth=2
	global_load_dword v43, v[22:23], off
	s_waitcnt vmcnt(0)
	v_subrev_u32_e32 v43, s33, v43
	v_sub_u32_e32 v45, 0, v43
	v_max_i32_e32 v45, v43, v45
	v_mul_hi_u32 v46, v45, v39
	v_mul_lo_u32 v47, v46, s18
	v_sub_u32_e32 v45, v45, v47
	v_add_u32_e32 v48, 1, v46
	v_cmp_le_u32_e32 vcc, s18, v45
	v_subrev_u32_e32 v47, s18, v45
	v_ashrrev_i32_e32 v44, 31, v43
	v_cndmask_b32_e32 v46, v46, v48, vcc
	v_cndmask_b32_e32 v45, v45, v47, vcc
	v_add_u32_e32 v47, 1, v46
	v_cmp_le_u32_e32 vcc, s18, v45
	v_xor_b32_e32 v44, s16, v44
	s_nop 0
	v_cndmask_b32_e32 v45, v46, v47, vcc
	v_xor_b32_e32 v45, v45, v44
	v_sub_u32_e32 v45, v45, v44
	v_cmp_eq_u32_e32 vcc, v45, v3
	v_cmp_ne_u32_e64 s[2:3], v45, v3
	v_mov_b32_e32 v44, v42
	s_and_saveexec_b64 s[44:45], s[2:3]
	s_xor_b64 s[2:3], exec, s[44:45]
; %bb.15:                               ;   in Loop: Header=BB96_14 Depth=2
	v_min_i32_e32 v41, v45, v41
                                        ; implicit-def: $vgpr43
                                        ; implicit-def: $vgpr44
; %bb.16:                               ;   in Loop: Header=BB96_14 Depth=2
	s_or_saveexec_b64 s[2:3], s[2:3]
	v_mov_b32_e32 v42, v30
	s_xor_b64 exec, exec, s[2:3]
	s_cbranch_execz .LBB96_13
; %bb.17:                               ;   in Loop: Header=BB96_14 Depth=2
	global_load_dwordx2 v[46:47], v[28:29], off
	v_sub_u32_e32 v42, v43, v31
	v_add_lshl_u32 v42, v34, v42, 3
	ds_write_b8 v32, v40 offset:16384
	s_waitcnt vmcnt(0)
	ds_write_b64 v42, v[46:47]
	v_mov_b32_e32 v42, v44
	s_branch .LBB96_13
.LBB96_18:                              ;   in Loop: Header=BB96_11 Depth=1
	s_or_b64 exec, exec, s[38:39]
.LBB96_19:                              ;   in Loop: Header=BB96_11 Depth=1
	s_or_b64 exec, exec, s[36:37]
	v_mov_b32_dpp v22, v42 row_shr:1 row_mask:0xf bank_mask:0xf
	v_min_i32_e32 v22, v22, v42
	s_waitcnt lgkmcnt(0)
	ds_read_u8 v23, v32 offset:16384
	v_mov_b32_dpp v28, v22 row_shr:2 row_mask:0xf bank_mask:0xf
	v_min_i32_e32 v22, v28, v22
	ds_bpermute_b32 v22, v36, v22
	s_waitcnt lgkmcnt(1)
	v_and_b32_e32 v23, 1, v23
	v_cmp_eq_u32_e32 vcc, 1, v23
	v_mov_b32_e32 v23, 0
	s_and_saveexec_b64 s[2:3], vcc
	s_cbranch_execz .LBB96_10
; %bb.20:                               ;   in Loop: Header=BB96_11 Depth=1
	v_add_u32_e32 v23, s40, v3
	v_ashrrev_i32_e32 v3, 31, v2
	v_lshl_add_u64 v[28:29], v[2:3], 2, s[22:23]
	global_store_dword v[28:29], v23, off
	v_mul_lo_u32 v23, s41, v2
	v_mul_lo_u32 v3, s42, v3
	v_mad_u64_u32 v[28:29], s[36:37], s42, v2, 0
	v_add3_u32 v29, v29, v3, v23
	v_lshlrev_b64 v[28:29], 3, v[28:29]
	v_lshl_add_u64 v[30:31], v[6:7], 0, v[28:29]
	v_lshl_add_u64 v[28:29], v[8:9], 0, v[28:29]
	s_and_saveexec_b64 s[36:37], s[28:29]
	s_cbranch_execz .LBB96_24
; %bb.21:                               ;   in Loop: Header=BB96_11 Depth=1
	s_and_b64 vcc, exec, s[26:27]
	s_cbranch_vccz .LBB96_51
; %bb.22:                               ;   in Loop: Header=BB96_11 Depth=1
	ds_read_b64 v[42:43], v38
	v_lshl_add_u64 v[44:45], v[4:5], 3, v[30:31]
	s_waitcnt lgkmcnt(0)
	global_store_dwordx2 v[44:45], v[42:43], off
	s_cbranch_execnz .LBB96_24
.LBB96_23:                              ;   in Loop: Header=BB96_11 Depth=1
	ds_read_b64 v[42:43], v38
	s_waitcnt lgkmcnt(0)
	global_store_dwordx2 v[28:29], v[42:43], off
.LBB96_24:                              ;   in Loop: Header=BB96_11 Depth=1
	s_or_b64 exec, exec, s[36:37]
	s_and_saveexec_b64 s[36:37], s[30:31]
	s_cbranch_execz .LBB96_28
; %bb.25:                               ;   in Loop: Header=BB96_11 Depth=1
	s_and_b64 vcc, exec, s[0:1]
	s_cbranch_vccnz .LBB96_52
; %bb.26:                               ;   in Loop: Header=BB96_11 Depth=1
	ds_read_b64 v[42:43], v38 offset:32
	v_lshl_add_u64 v[44:45], v[10:11], 3, v[30:31]
	s_waitcnt lgkmcnt(0)
	global_store_dwordx2 v[44:45], v[42:43], off
	s_cbranch_execnz .LBB96_28
.LBB96_27:                              ;   in Loop: Header=BB96_11 Depth=1
	ds_read_b64 v[42:43], v38 offset:32
	s_waitcnt lgkmcnt(0)
	global_store_dwordx2 v[28:29], v[42:43], off offset:32
.LBB96_28:                              ;   in Loop: Header=BB96_11 Depth=1
	s_or_b64 exec, exec, s[36:37]
	s_and_saveexec_b64 s[36:37], s[4:5]
	s_cbranch_execz .LBB96_32
; %bb.29:                               ;   in Loop: Header=BB96_11 Depth=1
	s_and_b64 vcc, exec, s[0:1]
	s_cbranch_vccnz .LBB96_53
; %bb.30:                               ;   in Loop: Header=BB96_11 Depth=1
	ds_read_b64 v[42:43], v38 offset:64
	v_lshl_add_u64 v[44:45], v[12:13], 3, v[30:31]
	s_waitcnt lgkmcnt(0)
	global_store_dwordx2 v[44:45], v[42:43], off
	s_cbranch_execnz .LBB96_32
.LBB96_31:                              ;   in Loop: Header=BB96_11 Depth=1
	ds_read_b64 v[42:43], v38 offset:64
	s_waitcnt lgkmcnt(0)
	global_store_dwordx2 v[28:29], v[42:43], off offset:64
.LBB96_32:                              ;   in Loop: Header=BB96_11 Depth=1
	s_or_b64 exec, exec, s[36:37]
	s_and_saveexec_b64 s[36:37], s[6:7]
	s_cbranch_execz .LBB96_36
; %bb.33:                               ;   in Loop: Header=BB96_11 Depth=1
	s_and_b64 vcc, exec, s[0:1]
	s_cbranch_vccnz .LBB96_54
; %bb.34:                               ;   in Loop: Header=BB96_11 Depth=1
	ds_read_b64 v[42:43], v38 offset:96
	v_lshl_add_u64 v[44:45], v[14:15], 3, v[30:31]
	s_waitcnt lgkmcnt(0)
	global_store_dwordx2 v[44:45], v[42:43], off
	s_cbranch_execnz .LBB96_36
.LBB96_35:                              ;   in Loop: Header=BB96_11 Depth=1
	ds_read_b64 v[42:43], v38 offset:96
	s_waitcnt lgkmcnt(0)
	global_store_dwordx2 v[28:29], v[42:43], off offset:96
.LBB96_36:                              ;   in Loop: Header=BB96_11 Depth=1
	s_or_b64 exec, exec, s[36:37]
	s_and_saveexec_b64 s[36:37], s[8:9]
	s_cbranch_execz .LBB96_40
; %bb.37:                               ;   in Loop: Header=BB96_11 Depth=1
	s_and_b64 vcc, exec, s[0:1]
	s_cbranch_vccnz .LBB96_55
; %bb.38:                               ;   in Loop: Header=BB96_11 Depth=1
	ds_read_b64 v[42:43], v38 offset:128
	v_lshl_add_u64 v[44:45], v[16:17], 3, v[30:31]
	s_waitcnt lgkmcnt(0)
	global_store_dwordx2 v[44:45], v[42:43], off
	s_cbranch_execnz .LBB96_40
.LBB96_39:                              ;   in Loop: Header=BB96_11 Depth=1
	ds_read_b64 v[42:43], v38 offset:128
	s_waitcnt lgkmcnt(0)
	global_store_dwordx2 v[28:29], v[42:43], off offset:128
.LBB96_40:                              ;   in Loop: Header=BB96_11 Depth=1
	s_or_b64 exec, exec, s[36:37]
	s_and_saveexec_b64 s[36:37], s[10:11]
	s_cbranch_execz .LBB96_44
; %bb.41:                               ;   in Loop: Header=BB96_11 Depth=1
	s_and_b64 vcc, exec, s[0:1]
	s_cbranch_vccnz .LBB96_56
; %bb.42:                               ;   in Loop: Header=BB96_11 Depth=1
	ds_read_b64 v[42:43], v38 offset:160
	v_lshl_add_u64 v[44:45], v[18:19], 3, v[30:31]
	s_waitcnt lgkmcnt(0)
	global_store_dwordx2 v[44:45], v[42:43], off
	s_cbranch_execnz .LBB96_44
.LBB96_43:                              ;   in Loop: Header=BB96_11 Depth=1
	ds_read_b64 v[42:43], v38 offset:160
	s_waitcnt lgkmcnt(0)
	global_store_dwordx2 v[28:29], v[42:43], off offset:160
.LBB96_44:                              ;   in Loop: Header=BB96_11 Depth=1
	s_or_b64 exec, exec, s[36:37]
	s_and_saveexec_b64 s[36:37], s[12:13]
	s_cbranch_execz .LBB96_48
; %bb.45:                               ;   in Loop: Header=BB96_11 Depth=1
	s_and_b64 vcc, exec, s[0:1]
	s_cbranch_vccnz .LBB96_57
; %bb.46:                               ;   in Loop: Header=BB96_11 Depth=1
	ds_read_b64 v[42:43], v38 offset:192
	v_lshl_add_u64 v[44:45], v[20:21], 3, v[30:31]
	s_waitcnt lgkmcnt(0)
	global_store_dwordx2 v[44:45], v[42:43], off
	s_cbranch_execnz .LBB96_48
.LBB96_47:                              ;   in Loop: Header=BB96_11 Depth=1
	ds_read_b64 v[42:43], v38 offset:192
	s_waitcnt lgkmcnt(0)
	global_store_dwordx2 v[28:29], v[42:43], off offset:192
.LBB96_48:                              ;   in Loop: Header=BB96_11 Depth=1
	s_or_b64 exec, exec, s[36:37]
	v_mov_b32_e32 v23, 1
	s_and_saveexec_b64 s[36:37], s[14:15]
	s_cbranch_execz .LBB96_9
; %bb.49:                               ;   in Loop: Header=BB96_11 Depth=1
	s_and_b64 vcc, exec, s[0:1]
	s_cbranch_vccnz .LBB96_58
; %bb.50:                               ;   in Loop: Header=BB96_11 Depth=1
	ds_read_b64 v[42:43], v38 offset:224
	v_lshl_add_u64 v[30:31], v[24:25], 3, v[30:31]
	s_mov_b32 s43, 1
	s_waitcnt lgkmcnt(0)
	global_store_dwordx2 v[30:31], v[42:43], off
	s_cbranch_execnz .LBB96_8
	s_branch .LBB96_59
.LBB96_51:                              ;   in Loop: Header=BB96_11 Depth=1
	s_branch .LBB96_23
.LBB96_52:                              ;   in Loop: Header=BB96_11 Depth=1
	s_branch .LBB96_27
.LBB96_53:                              ;   in Loop: Header=BB96_11 Depth=1
	s_branch .LBB96_31
.LBB96_54:                              ;   in Loop: Header=BB96_11 Depth=1
	s_branch .LBB96_35
.LBB96_55:                              ;   in Loop: Header=BB96_11 Depth=1
	s_branch .LBB96_39
.LBB96_56:                              ;   in Loop: Header=BB96_11 Depth=1
	s_branch .LBB96_43
.LBB96_57:                              ;   in Loop: Header=BB96_11 Depth=1
	s_branch .LBB96_47
.LBB96_58:                              ;   in Loop: Header=BB96_11 Depth=1
                                        ; implicit-def: $sgpr43
.LBB96_59:                              ;   in Loop: Header=BB96_11 Depth=1
	ds_read_b64 v[30:31], v38 offset:224
	s_mov_b32 s43, 1
	s_waitcnt lgkmcnt(0)
	global_store_dwordx2 v[28:29], v[30:31], off offset:224
	s_branch .LBB96_8
.LBB96_60:
	s_endpgm
	.section	.rodata,"a",@progbits
	.p2align	6, 0x0
	.amdhsa_kernel _ZN9rocsparseL44csr2gebsr_wavefront_per_row_multipass_kernelILi256ELi8ELi32ELi32EdEEv20rocsparse_direction_iiiiii21rocsparse_index_base_PKT3_PKiS7_S2_PS3_PiS9_
		.amdhsa_group_segment_fixed_size 16392
		.amdhsa_private_segment_fixed_size 0
		.amdhsa_kernarg_size 88
		.amdhsa_user_sgpr_count 2
		.amdhsa_user_sgpr_dispatch_ptr 0
		.amdhsa_user_sgpr_queue_ptr 0
		.amdhsa_user_sgpr_kernarg_segment_ptr 1
		.amdhsa_user_sgpr_dispatch_id 0
		.amdhsa_user_sgpr_kernarg_preload_length 0
		.amdhsa_user_sgpr_kernarg_preload_offset 0
		.amdhsa_user_sgpr_private_segment_size 0
		.amdhsa_uses_dynamic_stack 0
		.amdhsa_enable_private_segment 0
		.amdhsa_system_sgpr_workgroup_id_x 1
		.amdhsa_system_sgpr_workgroup_id_y 0
		.amdhsa_system_sgpr_workgroup_id_z 0
		.amdhsa_system_sgpr_workgroup_info 0
		.amdhsa_system_vgpr_workitem_id 0
		.amdhsa_next_free_vgpr 49
		.amdhsa_next_free_sgpr 46
		.amdhsa_accum_offset 52
		.amdhsa_reserve_vcc 1
		.amdhsa_float_round_mode_32 0
		.amdhsa_float_round_mode_16_64 0
		.amdhsa_float_denorm_mode_32 3
		.amdhsa_float_denorm_mode_16_64 3
		.amdhsa_dx10_clamp 1
		.amdhsa_ieee_mode 1
		.amdhsa_fp16_overflow 0
		.amdhsa_tg_split 0
		.amdhsa_exception_fp_ieee_invalid_op 0
		.amdhsa_exception_fp_denorm_src 0
		.amdhsa_exception_fp_ieee_div_zero 0
		.amdhsa_exception_fp_ieee_overflow 0
		.amdhsa_exception_fp_ieee_underflow 0
		.amdhsa_exception_fp_ieee_inexact 0
		.amdhsa_exception_int_div_zero 0
	.end_amdhsa_kernel
	.section	.text._ZN9rocsparseL44csr2gebsr_wavefront_per_row_multipass_kernelILi256ELi8ELi32ELi32EdEEv20rocsparse_direction_iiiiii21rocsparse_index_base_PKT3_PKiS7_S2_PS3_PiS9_,"axG",@progbits,_ZN9rocsparseL44csr2gebsr_wavefront_per_row_multipass_kernelILi256ELi8ELi32ELi32EdEEv20rocsparse_direction_iiiiii21rocsparse_index_base_PKT3_PKiS7_S2_PS3_PiS9_,comdat
.Lfunc_end96:
	.size	_ZN9rocsparseL44csr2gebsr_wavefront_per_row_multipass_kernelILi256ELi8ELi32ELi32EdEEv20rocsparse_direction_iiiiii21rocsparse_index_base_PKT3_PKiS7_S2_PS3_PiS9_, .Lfunc_end96-_ZN9rocsparseL44csr2gebsr_wavefront_per_row_multipass_kernelILi256ELi8ELi32ELi32EdEEv20rocsparse_direction_iiiiii21rocsparse_index_base_PKT3_PKiS7_S2_PS3_PiS9_
                                        ; -- End function
	.section	.AMDGPU.csdata,"",@progbits
; Kernel info:
; codeLenInByte = 1972
; NumSgprs: 52
; NumVgprs: 49
; NumAgprs: 0
; TotalNumVgprs: 49
; ScratchSize: 0
; MemoryBound: 0
; FloatMode: 240
; IeeeMode: 1
; LDSByteSize: 16392 bytes/workgroup (compile time only)
; SGPRBlocks: 6
; VGPRBlocks: 6
; NumSGPRsForWavesPerEU: 52
; NumVGPRsForWavesPerEU: 49
; AccumOffset: 52
; Occupancy: 3
; WaveLimiterHint : 0
; COMPUTE_PGM_RSRC2:SCRATCH_EN: 0
; COMPUTE_PGM_RSRC2:USER_SGPR: 2
; COMPUTE_PGM_RSRC2:TRAP_HANDLER: 0
; COMPUTE_PGM_RSRC2:TGID_X_EN: 1
; COMPUTE_PGM_RSRC2:TGID_Y_EN: 0
; COMPUTE_PGM_RSRC2:TGID_Z_EN: 0
; COMPUTE_PGM_RSRC2:TIDIG_COMP_CNT: 0
; COMPUTE_PGM_RSRC3_GFX90A:ACCUM_OFFSET: 12
; COMPUTE_PGM_RSRC3_GFX90A:TG_SPLIT: 0
	.section	.text._ZN9rocsparseL44csr2gebsr_wavefront_per_row_multipass_kernelILi256ELi8ELi64ELi64EdEEv20rocsparse_direction_iiiiii21rocsparse_index_base_PKT3_PKiS7_S2_PS3_PiS9_,"axG",@progbits,_ZN9rocsparseL44csr2gebsr_wavefront_per_row_multipass_kernelILi256ELi8ELi64ELi64EdEEv20rocsparse_direction_iiiiii21rocsparse_index_base_PKT3_PKiS7_S2_PS3_PiS9_,comdat
	.globl	_ZN9rocsparseL44csr2gebsr_wavefront_per_row_multipass_kernelILi256ELi8ELi64ELi64EdEEv20rocsparse_direction_iiiiii21rocsparse_index_base_PKT3_PKiS7_S2_PS3_PiS9_ ; -- Begin function _ZN9rocsparseL44csr2gebsr_wavefront_per_row_multipass_kernelILi256ELi8ELi64ELi64EdEEv20rocsparse_direction_iiiiii21rocsparse_index_base_PKT3_PKiS7_S2_PS3_PiS9_
	.p2align	8
	.type	_ZN9rocsparseL44csr2gebsr_wavefront_per_row_multipass_kernelILi256ELi8ELi64ELi64EdEEv20rocsparse_direction_iiiiii21rocsparse_index_base_PKT3_PKiS7_S2_PS3_PiS9_,@function
_ZN9rocsparseL44csr2gebsr_wavefront_per_row_multipass_kernelILi256ELi8ELi64ELi64EdEEv20rocsparse_direction_iiiiii21rocsparse_index_base_PKT3_PKiS7_S2_PS3_PiS9_: ; @_ZN9rocsparseL44csr2gebsr_wavefront_per_row_multipass_kernelILi256ELi8ELi64ELi64EdEEv20rocsparse_direction_iiiiii21rocsparse_index_base_PKT3_PKiS7_S2_PS3_PiS9_
; %bb.0:
	s_load_dwordx2 s[4:5], s[0:1], 0x0
	s_load_dwordx4 s[16:19], s[0:1], 0xc
	s_load_dword s33, s[0:1], 0x1c
	s_load_dwordx2 s[6:7], s[0:1], 0x28
	v_lshrrev_b32_e32 v32, 6, v0
	v_bfe_u32 v8, v0, 3, 3
	v_lshl_or_b32 v4, s2, 2, v32
	s_waitcnt lgkmcnt(0)
	v_mad_u64_u32 v[2:3], s[2:3], v4, s18, v[8:9]
	v_cmp_gt_i32_e64 s[2:3], s5, v2
	v_cmp_gt_i32_e32 vcc, s18, v8
	s_and_b64 s[2:3], vcc, s[2:3]
	v_mov_b32_e32 v33, 0
	v_mov_b32_e32 v22, 0
	s_and_saveexec_b64 s[8:9], s[2:3]
	s_cbranch_execz .LBB97_2
; %bb.1:
	v_ashrrev_i32_e32 v3, 31, v2
	v_lshl_add_u64 v[6:7], v[2:3], 2, s[6:7]
	global_load_dword v1, v[6:7], off
	s_waitcnt vmcnt(0)
	v_subrev_u32_e32 v22, s33, v1
.LBB97_2:
	s_or_b64 exec, exec, s[8:9]
	s_and_saveexec_b64 s[8:9], s[2:3]
	s_cbranch_execz .LBB97_4
; %bb.3:
	v_ashrrev_i32_e32 v3, 31, v2
	v_lshl_add_u64 v[2:3], v[2:3], 2, s[6:7]
	global_load_dword v1, v[2:3], off offset:4
	s_waitcnt vmcnt(0)
	v_subrev_u32_e32 v33, s33, v1
.LBB97_4:
	s_or_b64 exec, exec, s[8:9]
	s_load_dword s40, s[0:1], 0x38
	v_cmp_gt_i32_e64 s[2:3], s16, v4
	v_mov_b32_e32 v2, 0
	s_and_saveexec_b64 s[6:7], s[2:3]
	s_cbranch_execz .LBB97_6
; %bb.5:
	s_load_dwordx2 s[2:3], s[0:1], 0x48
	v_ashrrev_i32_e32 v5, 31, v4
	s_waitcnt lgkmcnt(0)
	v_lshl_add_u64 v[2:3], v[4:5], 2, s[2:3]
	global_load_dword v1, v[2:3], off
	s_waitcnt vmcnt(0)
	v_subrev_u32_e32 v2, s40, v1
.LBB97_6:
	s_or_b64 exec, exec, s[6:7]
	s_cmp_lt_i32 s17, 1
	s_cbranch_scc1 .LBB97_60
; %bb.7:
	s_load_dwordx2 s[20:21], s[0:1], 0x20
	s_load_dwordx2 s[22:23], s[0:1], 0x50
	;; [unrolled: 1-line block ×4, first 2 shown]
	v_lshlrev_b32_e32 v1, 9, v32
	v_lshl_or_b32 v34, v8, 6, v1
	v_lshlrev_b32_e32 v4, 3, v8
	v_mul_lo_u32 v8, v8, s19
	v_and_b32_e32 v0, 7, v0
	v_mbcnt_lo_u32_b32 v1, -1, 0
	s_cmp_lg_u32 s4, 0
	v_mov_b32_e32 v5, 0
	v_ashrrev_i32_e32 v9, 31, v8
	v_mbcnt_hi_u32_b32 v1, -1, v1
	s_cselect_b64 s[26:27], -1, 0
	s_ashr_i32 s16, s19, 31
	s_waitcnt lgkmcnt(0)
	v_lshl_add_u64 v[6:7], s[2:3], 0, v[4:5]
	v_lshl_add_u64 v[8:9], v[8:9], 3, s[2:3]
	v_lshlrev_b32_e32 v4, 3, v0
	v_lshlrev_b32_e32 v3, 2, v1
	v_or_b32_e32 v10, v34, v0
	s_mul_hi_u32 s0, s19, s18
	s_mul_i32 s1, s16, s18
	s_mul_i32 s42, s19, s18
	v_lshl_add_u64 v[8:9], v[8:9], 0, v[4:5]
	v_mul_lo_u32 v4, v0, s18
	s_lshl_b32 s18, s18, 3
	v_or_b32_e32 v36, 28, v3
	v_or_b32_e32 v37, 0xfc, v3
	v_lshlrev_b32_e32 v38, 3, v10
	v_or_b32_e32 v3, 8, v0
	v_add_u32_e32 v10, s18, v4
	v_cmp_gt_u32_e64 s[2:3], s19, v3
	v_or_b32_e32 v3, 16, v0
	v_add_u32_e32 v12, s18, v10
	v_cmp_gt_u32_e64 s[4:5], s19, v3
	;; [unrolled: 3-line block ×6, first 2 shown]
	v_or_b32_e32 v3, 56, v0
	v_add_u32_e32 v24, s18, v20
	s_abs_i32 s18, s19
	v_cmp_gt_u32_e64 s[14:15], s19, v3
	v_cvt_f32_u32_e32 v3, s18
	s_add_i32 s41, s0, s1
	v_cmp_gt_u32_e64 s[0:1], s19, v0
	s_and_b64 s[28:29], s[0:1], vcc
	v_rcp_iflag_f32_e32 v3, v3
	s_sub_i32 s0, 0, s18
	s_mov_b32 s36, 0
	s_mov_b32 s37, s36
	v_mul_f32_e32 v3, 0x4f7ffffe, v3
	v_cvt_u32_f32_e32 v3, v3
	v_mov_b32_e32 v35, 0
	v_mov_b32_e32 v1, v5
	v_mov_b32_e32 v11, v5
	v_mul_lo_u32 v23, s0, v3
	v_mul_hi_u32 v23, v3, v23
	v_add_u32_e32 v39, v3, v23
	v_cndmask_b32_e64 v3, 0, 1, s[26:27]
	v_mov_b32_e32 v13, v5
	v_mov_b32_e32 v15, v5
	;; [unrolled: 1-line block ×6, first 2 shown]
	s_and_b64 s[30:31], vcc, s[2:3]
	s_and_b64 s[4:5], vcc, s[4:5]
	;; [unrolled: 1-line block ×7, first 2 shown]
	s_mov_b64 s[34:35], 0
	v_mov_b64_e32 v[26:27], s[36:37]
	v_cmp_ne_u32_e64 s[0:1], 1, v3
	v_mov_b32_e32 v40, 1
	v_mov_b32_e32 v3, 0
	s_branch .LBB97_11
.LBB97_8:                               ;   in Loop: Header=BB97_11 Depth=1
	v_mov_b32_e32 v23, s43
.LBB97_9:                               ;   in Loop: Header=BB97_11 Depth=1
	s_or_b64 exec, exec, s[36:37]
.LBB97_10:                              ;   in Loop: Header=BB97_11 Depth=1
	s_or_b64 exec, exec, s[2:3]
	v_mov_b32_dpp v3, v41 row_shr:1 row_mask:0xf bank_mask:0xf
	v_min_i32_e32 v3, v3, v41
	v_add_u32_e32 v2, v23, v2
	s_waitcnt lgkmcnt(0)
	v_mov_b32_dpp v28, v3 row_shr:2 row_mask:0xf bank_mask:0xf
	v_min_i32_e32 v3, v28, v3
	s_nop 1
	v_mov_b32_dpp v28, v3 row_shr:4 row_mask:0xf bank_mask:0xe
	v_min_i32_e32 v3, v28, v3
	s_nop 1
	v_mov_b32_dpp v28, v3 row_shr:8 row_mask:0xf bank_mask:0xc
	v_min_i32_e32 v3, v28, v3
	s_nop 1
	v_mov_b32_dpp v28, v3 row_bcast:15 row_mask:0xa bank_mask:0xf
	v_min_i32_e32 v3, v28, v3
	s_nop 1
	v_mov_b32_dpp v28, v3 row_bcast:31 row_mask:0xc bank_mask:0xf
	v_min_i32_e32 v3, v28, v3
	ds_bpermute_b32 v3, v37, v3
	s_waitcnt lgkmcnt(0)
	v_cmp_le_i32_e32 vcc, s17, v3
	s_or_b64 s[34:35], vcc, s[34:35]
	s_andn2_b64 exec, exec, s[34:35]
	s_cbranch_execz .LBB97_60
.LBB97_11:                              ; =>This Loop Header: Depth=1
                                        ;     Child Loop BB97_14 Depth 2
	v_add_u32_e32 v30, v22, v0
	v_cmp_lt_i32_e32 vcc, v30, v33
	v_mov_b32_e32 v41, s17
	v_mov_b32_e32 v42, v33
	ds_write_b8 v32, v35 offset:16384
	ds_write2_b64 v38, v[26:27], v[26:27] offset1:8
	ds_write2_b64 v38, v[26:27], v[26:27] offset0:16 offset1:24
	ds_write2_b64 v38, v[26:27], v[26:27] offset0:32 offset1:40
	;; [unrolled: 1-line block ×3, first 2 shown]
	s_waitcnt lgkmcnt(0)
	s_and_saveexec_b64 s[36:37], vcc
	s_cbranch_execz .LBB97_19
; %bb.12:                               ;   in Loop: Header=BB97_11 Depth=1
	v_ashrrev_i32_e32 v23, 31, v22
	v_lshl_add_u64 v[28:29], v[0:1], 0, v[22:23]
	v_mul_lo_u32 v31, v3, s19
	v_lshl_add_u64 v[22:23], v[28:29], 2, s[24:25]
	v_lshl_add_u64 v[28:29], v[28:29], 3, s[20:21]
	s_mov_b64 s[38:39], 0
	v_mov_b32_e32 v41, s17
	v_mov_b32_e32 v42, v33
	s_branch .LBB97_14
.LBB97_13:                              ;   in Loop: Header=BB97_14 Depth=2
	s_or_b64 exec, exec, s[2:3]
	v_add_u32_e32 v30, 8, v30
	v_cmp_ge_i32_e64 s[2:3], v30, v33
	s_xor_b64 s[44:45], vcc, -1
	s_or_b64 s[2:3], s[44:45], s[2:3]
	s_and_b64 s[2:3], exec, s[2:3]
	v_lshl_add_u64 v[22:23], v[22:23], 0, 32
	s_or_b64 s[38:39], s[2:3], s[38:39]
	v_lshl_add_u64 v[28:29], v[28:29], 0, 64
	s_andn2_b64 exec, exec, s[38:39]
	s_cbranch_execz .LBB97_18
.LBB97_14:                              ;   Parent Loop BB97_11 Depth=1
                                        ; =>  This Inner Loop Header: Depth=2
	global_load_dword v43, v[22:23], off
	s_waitcnt vmcnt(0)
	v_subrev_u32_e32 v43, s33, v43
	v_sub_u32_e32 v45, 0, v43
	v_max_i32_e32 v45, v43, v45
	v_mul_hi_u32 v46, v45, v39
	v_mul_lo_u32 v47, v46, s18
	v_sub_u32_e32 v45, v45, v47
	v_add_u32_e32 v48, 1, v46
	v_cmp_le_u32_e32 vcc, s18, v45
	v_subrev_u32_e32 v47, s18, v45
	v_ashrrev_i32_e32 v44, 31, v43
	v_cndmask_b32_e32 v46, v46, v48, vcc
	v_cndmask_b32_e32 v45, v45, v47, vcc
	v_add_u32_e32 v47, 1, v46
	v_cmp_le_u32_e32 vcc, s18, v45
	v_xor_b32_e32 v44, s16, v44
	s_nop 0
	v_cndmask_b32_e32 v45, v46, v47, vcc
	v_xor_b32_e32 v45, v45, v44
	v_sub_u32_e32 v45, v45, v44
	v_cmp_eq_u32_e32 vcc, v45, v3
	v_cmp_ne_u32_e64 s[2:3], v45, v3
	v_mov_b32_e32 v44, v42
	s_and_saveexec_b64 s[44:45], s[2:3]
	s_xor_b64 s[2:3], exec, s[44:45]
; %bb.15:                               ;   in Loop: Header=BB97_14 Depth=2
	v_min_i32_e32 v41, v45, v41
                                        ; implicit-def: $vgpr43
                                        ; implicit-def: $vgpr44
; %bb.16:                               ;   in Loop: Header=BB97_14 Depth=2
	s_or_saveexec_b64 s[2:3], s[2:3]
	v_mov_b32_e32 v42, v30
	s_xor_b64 exec, exec, s[2:3]
	s_cbranch_execz .LBB97_13
; %bb.17:                               ;   in Loop: Header=BB97_14 Depth=2
	global_load_dwordx2 v[46:47], v[28:29], off
	v_sub_u32_e32 v42, v43, v31
	v_add_lshl_u32 v42, v34, v42, 3
	ds_write_b8 v32, v40 offset:16384
	s_waitcnt vmcnt(0)
	ds_write_b64 v42, v[46:47]
	v_mov_b32_e32 v42, v44
	s_branch .LBB97_13
.LBB97_18:                              ;   in Loop: Header=BB97_11 Depth=1
	s_or_b64 exec, exec, s[38:39]
.LBB97_19:                              ;   in Loop: Header=BB97_11 Depth=1
	s_or_b64 exec, exec, s[36:37]
	v_mov_b32_dpp v22, v42 row_shr:1 row_mask:0xf bank_mask:0xf
	v_min_i32_e32 v22, v22, v42
	s_waitcnt lgkmcnt(0)
	s_nop 0
	v_mov_b32_dpp v23, v22 row_shr:2 row_mask:0xf bank_mask:0xf
	v_min_i32_e32 v22, v23, v22
	ds_read_u8 v23, v32 offset:16384
	s_waitcnt lgkmcnt(0)
	v_and_b32_e32 v23, 1, v23
	v_mov_b32_dpp v28, v22 row_shr:4 row_mask:0xf bank_mask:0xe
	v_min_i32_e32 v22, v28, v22
	ds_bpermute_b32 v22, v36, v22
	v_cmp_eq_u32_e32 vcc, 1, v23
	v_mov_b32_e32 v23, 0
	s_and_saveexec_b64 s[2:3], vcc
	s_cbranch_execz .LBB97_10
; %bb.20:                               ;   in Loop: Header=BB97_11 Depth=1
	v_add_u32_e32 v23, s40, v3
	v_ashrrev_i32_e32 v3, 31, v2
	v_lshl_add_u64 v[28:29], v[2:3], 2, s[22:23]
	global_store_dword v[28:29], v23, off
	v_mul_lo_u32 v23, s41, v2
	v_mul_lo_u32 v3, s42, v3
	v_mad_u64_u32 v[28:29], s[36:37], s42, v2, 0
	v_add3_u32 v29, v29, v3, v23
	v_lshlrev_b64 v[28:29], 3, v[28:29]
	v_lshl_add_u64 v[30:31], v[6:7], 0, v[28:29]
	v_lshl_add_u64 v[28:29], v[8:9], 0, v[28:29]
	s_and_saveexec_b64 s[36:37], s[28:29]
	s_cbranch_execz .LBB97_24
; %bb.21:                               ;   in Loop: Header=BB97_11 Depth=1
	s_and_b64 vcc, exec, s[26:27]
	s_cbranch_vccz .LBB97_51
; %bb.22:                               ;   in Loop: Header=BB97_11 Depth=1
	ds_read_b64 v[42:43], v38
	v_lshl_add_u64 v[44:45], v[4:5], 3, v[30:31]
	s_waitcnt lgkmcnt(0)
	global_store_dwordx2 v[44:45], v[42:43], off
	s_cbranch_execnz .LBB97_24
.LBB97_23:                              ;   in Loop: Header=BB97_11 Depth=1
	ds_read_b64 v[42:43], v38
	s_waitcnt lgkmcnt(0)
	global_store_dwordx2 v[28:29], v[42:43], off
.LBB97_24:                              ;   in Loop: Header=BB97_11 Depth=1
	s_or_b64 exec, exec, s[36:37]
	s_and_saveexec_b64 s[36:37], s[30:31]
	s_cbranch_execz .LBB97_28
; %bb.25:                               ;   in Loop: Header=BB97_11 Depth=1
	s_and_b64 vcc, exec, s[0:1]
	s_cbranch_vccnz .LBB97_52
; %bb.26:                               ;   in Loop: Header=BB97_11 Depth=1
	ds_read_b64 v[42:43], v38 offset:64
	v_lshl_add_u64 v[44:45], v[10:11], 3, v[30:31]
	s_waitcnt lgkmcnt(0)
	global_store_dwordx2 v[44:45], v[42:43], off
	s_cbranch_execnz .LBB97_28
.LBB97_27:                              ;   in Loop: Header=BB97_11 Depth=1
	ds_read_b64 v[42:43], v38 offset:64
	s_waitcnt lgkmcnt(0)
	global_store_dwordx2 v[28:29], v[42:43], off offset:64
.LBB97_28:                              ;   in Loop: Header=BB97_11 Depth=1
	s_or_b64 exec, exec, s[36:37]
	s_and_saveexec_b64 s[36:37], s[4:5]
	s_cbranch_execz .LBB97_32
; %bb.29:                               ;   in Loop: Header=BB97_11 Depth=1
	s_and_b64 vcc, exec, s[0:1]
	s_cbranch_vccnz .LBB97_53
; %bb.30:                               ;   in Loop: Header=BB97_11 Depth=1
	ds_read_b64 v[42:43], v38 offset:128
	v_lshl_add_u64 v[44:45], v[12:13], 3, v[30:31]
	s_waitcnt lgkmcnt(0)
	global_store_dwordx2 v[44:45], v[42:43], off
	s_cbranch_execnz .LBB97_32
.LBB97_31:                              ;   in Loop: Header=BB97_11 Depth=1
	ds_read_b64 v[42:43], v38 offset:128
	s_waitcnt lgkmcnt(0)
	global_store_dwordx2 v[28:29], v[42:43], off offset:128
.LBB97_32:                              ;   in Loop: Header=BB97_11 Depth=1
	s_or_b64 exec, exec, s[36:37]
	s_and_saveexec_b64 s[36:37], s[6:7]
	s_cbranch_execz .LBB97_36
; %bb.33:                               ;   in Loop: Header=BB97_11 Depth=1
	s_and_b64 vcc, exec, s[0:1]
	s_cbranch_vccnz .LBB97_54
; %bb.34:                               ;   in Loop: Header=BB97_11 Depth=1
	ds_read_b64 v[42:43], v38 offset:192
	v_lshl_add_u64 v[44:45], v[14:15], 3, v[30:31]
	s_waitcnt lgkmcnt(0)
	global_store_dwordx2 v[44:45], v[42:43], off
	s_cbranch_execnz .LBB97_36
.LBB97_35:                              ;   in Loop: Header=BB97_11 Depth=1
	ds_read_b64 v[42:43], v38 offset:192
	s_waitcnt lgkmcnt(0)
	global_store_dwordx2 v[28:29], v[42:43], off offset:192
.LBB97_36:                              ;   in Loop: Header=BB97_11 Depth=1
	s_or_b64 exec, exec, s[36:37]
	s_and_saveexec_b64 s[36:37], s[8:9]
	s_cbranch_execz .LBB97_40
; %bb.37:                               ;   in Loop: Header=BB97_11 Depth=1
	s_and_b64 vcc, exec, s[0:1]
	s_cbranch_vccnz .LBB97_55
; %bb.38:                               ;   in Loop: Header=BB97_11 Depth=1
	ds_read_b64 v[42:43], v38 offset:256
	v_lshl_add_u64 v[44:45], v[16:17], 3, v[30:31]
	s_waitcnt lgkmcnt(0)
	global_store_dwordx2 v[44:45], v[42:43], off
	s_cbranch_execnz .LBB97_40
.LBB97_39:                              ;   in Loop: Header=BB97_11 Depth=1
	ds_read_b64 v[42:43], v38 offset:256
	s_waitcnt lgkmcnt(0)
	global_store_dwordx2 v[28:29], v[42:43], off offset:256
.LBB97_40:                              ;   in Loop: Header=BB97_11 Depth=1
	s_or_b64 exec, exec, s[36:37]
	s_and_saveexec_b64 s[36:37], s[10:11]
	s_cbranch_execz .LBB97_44
; %bb.41:                               ;   in Loop: Header=BB97_11 Depth=1
	s_and_b64 vcc, exec, s[0:1]
	s_cbranch_vccnz .LBB97_56
; %bb.42:                               ;   in Loop: Header=BB97_11 Depth=1
	ds_read_b64 v[42:43], v38 offset:320
	v_lshl_add_u64 v[44:45], v[18:19], 3, v[30:31]
	s_waitcnt lgkmcnt(0)
	global_store_dwordx2 v[44:45], v[42:43], off
	s_cbranch_execnz .LBB97_44
.LBB97_43:                              ;   in Loop: Header=BB97_11 Depth=1
	ds_read_b64 v[42:43], v38 offset:320
	s_waitcnt lgkmcnt(0)
	global_store_dwordx2 v[28:29], v[42:43], off offset:320
.LBB97_44:                              ;   in Loop: Header=BB97_11 Depth=1
	s_or_b64 exec, exec, s[36:37]
	s_and_saveexec_b64 s[36:37], s[12:13]
	s_cbranch_execz .LBB97_48
; %bb.45:                               ;   in Loop: Header=BB97_11 Depth=1
	s_and_b64 vcc, exec, s[0:1]
	s_cbranch_vccnz .LBB97_57
; %bb.46:                               ;   in Loop: Header=BB97_11 Depth=1
	ds_read_b64 v[42:43], v38 offset:384
	v_lshl_add_u64 v[44:45], v[20:21], 3, v[30:31]
	s_waitcnt lgkmcnt(0)
	global_store_dwordx2 v[44:45], v[42:43], off
	s_cbranch_execnz .LBB97_48
.LBB97_47:                              ;   in Loop: Header=BB97_11 Depth=1
	ds_read_b64 v[42:43], v38 offset:384
	s_waitcnt lgkmcnt(0)
	global_store_dwordx2 v[28:29], v[42:43], off offset:384
.LBB97_48:                              ;   in Loop: Header=BB97_11 Depth=1
	s_or_b64 exec, exec, s[36:37]
	v_mov_b32_e32 v23, 1
	s_and_saveexec_b64 s[36:37], s[14:15]
	s_cbranch_execz .LBB97_9
; %bb.49:                               ;   in Loop: Header=BB97_11 Depth=1
	s_and_b64 vcc, exec, s[0:1]
	s_cbranch_vccnz .LBB97_58
; %bb.50:                               ;   in Loop: Header=BB97_11 Depth=1
	ds_read_b64 v[42:43], v38 offset:448
	v_lshl_add_u64 v[30:31], v[24:25], 3, v[30:31]
	s_mov_b32 s43, 1
	s_waitcnt lgkmcnt(0)
	global_store_dwordx2 v[30:31], v[42:43], off
	s_cbranch_execnz .LBB97_8
	s_branch .LBB97_59
.LBB97_51:                              ;   in Loop: Header=BB97_11 Depth=1
	s_branch .LBB97_23
.LBB97_52:                              ;   in Loop: Header=BB97_11 Depth=1
	s_branch .LBB97_27
.LBB97_53:                              ;   in Loop: Header=BB97_11 Depth=1
	s_branch .LBB97_31
.LBB97_54:                              ;   in Loop: Header=BB97_11 Depth=1
	s_branch .LBB97_35
.LBB97_55:                              ;   in Loop: Header=BB97_11 Depth=1
	s_branch .LBB97_39
.LBB97_56:                              ;   in Loop: Header=BB97_11 Depth=1
	s_branch .LBB97_43
.LBB97_57:                              ;   in Loop: Header=BB97_11 Depth=1
	s_branch .LBB97_47
.LBB97_58:                              ;   in Loop: Header=BB97_11 Depth=1
                                        ; implicit-def: $sgpr43
.LBB97_59:                              ;   in Loop: Header=BB97_11 Depth=1
	ds_read_b64 v[30:31], v38 offset:448
	s_mov_b32 s43, 1
	s_waitcnt lgkmcnt(0)
	global_store_dwordx2 v[28:29], v[30:31], off offset:448
	s_branch .LBB97_8
.LBB97_60:
	s_endpgm
	.section	.rodata,"a",@progbits
	.p2align	6, 0x0
	.amdhsa_kernel _ZN9rocsparseL44csr2gebsr_wavefront_per_row_multipass_kernelILi256ELi8ELi64ELi64EdEEv20rocsparse_direction_iiiiii21rocsparse_index_base_PKT3_PKiS7_S2_PS3_PiS9_
		.amdhsa_group_segment_fixed_size 16392
		.amdhsa_private_segment_fixed_size 0
		.amdhsa_kernarg_size 88
		.amdhsa_user_sgpr_count 2
		.amdhsa_user_sgpr_dispatch_ptr 0
		.amdhsa_user_sgpr_queue_ptr 0
		.amdhsa_user_sgpr_kernarg_segment_ptr 1
		.amdhsa_user_sgpr_dispatch_id 0
		.amdhsa_user_sgpr_kernarg_preload_length 0
		.amdhsa_user_sgpr_kernarg_preload_offset 0
		.amdhsa_user_sgpr_private_segment_size 0
		.amdhsa_uses_dynamic_stack 0
		.amdhsa_enable_private_segment 0
		.amdhsa_system_sgpr_workgroup_id_x 1
		.amdhsa_system_sgpr_workgroup_id_y 0
		.amdhsa_system_sgpr_workgroup_id_z 0
		.amdhsa_system_sgpr_workgroup_info 0
		.amdhsa_system_vgpr_workitem_id 0
		.amdhsa_next_free_vgpr 49
		.amdhsa_next_free_sgpr 46
		.amdhsa_accum_offset 52
		.amdhsa_reserve_vcc 1
		.amdhsa_float_round_mode_32 0
		.amdhsa_float_round_mode_16_64 0
		.amdhsa_float_denorm_mode_32 3
		.amdhsa_float_denorm_mode_16_64 3
		.amdhsa_dx10_clamp 1
		.amdhsa_ieee_mode 1
		.amdhsa_fp16_overflow 0
		.amdhsa_tg_split 0
		.amdhsa_exception_fp_ieee_invalid_op 0
		.amdhsa_exception_fp_denorm_src 0
		.amdhsa_exception_fp_ieee_div_zero 0
		.amdhsa_exception_fp_ieee_overflow 0
		.amdhsa_exception_fp_ieee_underflow 0
		.amdhsa_exception_fp_ieee_inexact 0
		.amdhsa_exception_int_div_zero 0
	.end_amdhsa_kernel
	.section	.text._ZN9rocsparseL44csr2gebsr_wavefront_per_row_multipass_kernelILi256ELi8ELi64ELi64EdEEv20rocsparse_direction_iiiiii21rocsparse_index_base_PKT3_PKiS7_S2_PS3_PiS9_,"axG",@progbits,_ZN9rocsparseL44csr2gebsr_wavefront_per_row_multipass_kernelILi256ELi8ELi64ELi64EdEEv20rocsparse_direction_iiiiii21rocsparse_index_base_PKT3_PKiS7_S2_PS3_PiS9_,comdat
.Lfunc_end97:
	.size	_ZN9rocsparseL44csr2gebsr_wavefront_per_row_multipass_kernelILi256ELi8ELi64ELi64EdEEv20rocsparse_direction_iiiiii21rocsparse_index_base_PKT3_PKiS7_S2_PS3_PiS9_, .Lfunc_end97-_ZN9rocsparseL44csr2gebsr_wavefront_per_row_multipass_kernelILi256ELi8ELi64ELi64EdEEv20rocsparse_direction_iiiiii21rocsparse_index_base_PKT3_PKiS7_S2_PS3_PiS9_
                                        ; -- End function
	.section	.AMDGPU.csdata,"",@progbits
; Kernel info:
; codeLenInByte = 2004
; NumSgprs: 52
; NumVgprs: 49
; NumAgprs: 0
; TotalNumVgprs: 49
; ScratchSize: 0
; MemoryBound: 0
; FloatMode: 240
; IeeeMode: 1
; LDSByteSize: 16392 bytes/workgroup (compile time only)
; SGPRBlocks: 6
; VGPRBlocks: 6
; NumSGPRsForWavesPerEU: 52
; NumVGPRsForWavesPerEU: 49
; AccumOffset: 52
; Occupancy: 3
; WaveLimiterHint : 0
; COMPUTE_PGM_RSRC2:SCRATCH_EN: 0
; COMPUTE_PGM_RSRC2:USER_SGPR: 2
; COMPUTE_PGM_RSRC2:TRAP_HANDLER: 0
; COMPUTE_PGM_RSRC2:TGID_X_EN: 1
; COMPUTE_PGM_RSRC2:TGID_Y_EN: 0
; COMPUTE_PGM_RSRC2:TGID_Z_EN: 0
; COMPUTE_PGM_RSRC2:TIDIG_COMP_CNT: 0
; COMPUTE_PGM_RSRC3_GFX90A:ACCUM_OFFSET: 12
; COMPUTE_PGM_RSRC3_GFX90A:TG_SPLIT: 0
	.section	.text._ZN9rocsparseL44csr2gebsr_wavefront_per_row_multipass_kernelILi128ELi8ELi64ELi32EdEEv20rocsparse_direction_iiiiii21rocsparse_index_base_PKT3_PKiS7_S2_PS3_PiS9_,"axG",@progbits,_ZN9rocsparseL44csr2gebsr_wavefront_per_row_multipass_kernelILi128ELi8ELi64ELi32EdEEv20rocsparse_direction_iiiiii21rocsparse_index_base_PKT3_PKiS7_S2_PS3_PiS9_,comdat
	.globl	_ZN9rocsparseL44csr2gebsr_wavefront_per_row_multipass_kernelILi128ELi8ELi64ELi32EdEEv20rocsparse_direction_iiiiii21rocsparse_index_base_PKT3_PKiS7_S2_PS3_PiS9_ ; -- Begin function _ZN9rocsparseL44csr2gebsr_wavefront_per_row_multipass_kernelILi128ELi8ELi64ELi32EdEEv20rocsparse_direction_iiiiii21rocsparse_index_base_PKT3_PKiS7_S2_PS3_PiS9_
	.p2align	8
	.type	_ZN9rocsparseL44csr2gebsr_wavefront_per_row_multipass_kernelILi128ELi8ELi64ELi32EdEEv20rocsparse_direction_iiiiii21rocsparse_index_base_PKT3_PKiS7_S2_PS3_PiS9_,@function
_ZN9rocsparseL44csr2gebsr_wavefront_per_row_multipass_kernelILi128ELi8ELi64ELi32EdEEv20rocsparse_direction_iiiiii21rocsparse_index_base_PKT3_PKiS7_S2_PS3_PiS9_: ; @_ZN9rocsparseL44csr2gebsr_wavefront_per_row_multipass_kernelILi128ELi8ELi64ELi32EdEEv20rocsparse_direction_iiiiii21rocsparse_index_base_PKT3_PKiS7_S2_PS3_PiS9_
; %bb.0:
	s_load_dwordx2 s[4:5], s[0:1], 0x0
	s_load_dwordx4 s[36:39], s[0:1], 0xc
	s_load_dword s33, s[0:1], 0x1c
	s_load_dwordx2 s[6:7], s[0:1], 0x28
	v_lshrrev_b32_e32 v46, 5, v0
	v_bfe_u32 v6, v0, 2, 3
	v_lshl_or_b32 v4, s2, 2, v46
	s_waitcnt lgkmcnt(0)
	v_mad_u64_u32 v[2:3], s[2:3], v4, s38, v[6:7]
	v_cmp_gt_i32_e64 s[2:3], s5, v2
	v_cmp_gt_i32_e32 vcc, s38, v6
	s_and_b64 s[2:3], vcc, s[2:3]
	v_mov_b32_e32 v47, 0
	v_mov_b32_e32 v44, 0
	s_and_saveexec_b64 s[8:9], s[2:3]
	s_cbranch_execz .LBB98_2
; %bb.1:
	v_ashrrev_i32_e32 v3, 31, v2
	v_lshl_add_u64 v[8:9], v[2:3], 2, s[6:7]
	global_load_dword v1, v[8:9], off
	s_waitcnt vmcnt(0)
	v_subrev_u32_e32 v44, s33, v1
.LBB98_2:
	s_or_b64 exec, exec, s[8:9]
	s_and_saveexec_b64 s[8:9], s[2:3]
	s_cbranch_execz .LBB98_4
; %bb.3:
	v_ashrrev_i32_e32 v3, 31, v2
	v_lshl_add_u64 v[2:3], v[2:3], 2, s[6:7]
	global_load_dword v1, v[2:3], off offset:4
	s_waitcnt vmcnt(0)
	v_subrev_u32_e32 v47, s33, v1
.LBB98_4:
	s_or_b64 exec, exec, s[8:9]
	s_load_dword s56, s[0:1], 0x38
	v_cmp_gt_i32_e64 s[2:3], s36, v4
	v_mov_b32_e32 v2, 0
	s_and_saveexec_b64 s[6:7], s[2:3]
	s_cbranch_execz .LBB98_6
; %bb.5:
	s_load_dwordx2 s[2:3], s[0:1], 0x48
	v_ashrrev_i32_e32 v5, 31, v4
	s_waitcnt lgkmcnt(0)
	v_lshl_add_u64 v[2:3], v[4:5], 2, s[2:3]
	global_load_dword v1, v[2:3], off
	s_waitcnt vmcnt(0)
	v_subrev_u32_e32 v2, s56, v1
.LBB98_6:
	s_or_b64 exec, exec, s[6:7]
	s_cmp_lt_i32 s37, 1
	s_cbranch_scc1 .LBB98_102
; %bb.7:
	v_and_b32_e32 v48, 3, v0
	v_lshlrev_b32_e32 v0, 9, v46
	s_load_dwordx2 s[34:35], s[0:1], 0x20
	s_load_dwordx2 s[40:41], s[0:1], 0x50
	;; [unrolled: 1-line block ×4, first 2 shown]
	v_lshl_or_b32 v49, v6, 6, v0
	v_mbcnt_lo_u32_b32 v0, -1, 0
	v_mbcnt_hi_u32_b32 v0, -1, v0
	v_lshlrev_b32_e32 v3, 2, v0
	v_lshlrev_b32_e32 v0, 3, v6
	v_mul_lo_u32 v6, v6, s39
	v_mov_b32_e32 v1, 0
	s_cmp_lg_u32 s4, 0
	v_ashrrev_i32_e32 v7, 31, v6
	s_cselect_b64 s[44:45], -1, 0
	s_ashr_i32 s36, s39, 31
	s_waitcnt lgkmcnt(0)
	v_lshl_add_u64 v[4:5], s[2:3], 0, v[0:1]
	v_lshl_add_u64 v[6:7], v[6:7], 3, s[2:3]
	v_lshlrev_b32_e32 v0, 3, v48
	v_or_b32_e32 v8, v49, v48
	s_mul_hi_u32 s0, s39, s38
	s_mul_i32 s1, s36, s38
	s_mul_i32 s58, s39, s38
	v_lshl_add_u64 v[6:7], v[6:7], 0, v[0:1]
	v_mul_lo_u32 v0, v48, s38
	s_lshl_b32 s38, s38, 2
	v_or_b32_e32 v50, 12, v3
	v_or_b32_e32 v51, 0x7c, v3
	v_lshlrev_b32_e32 v52, 3, v8
	v_or_b32_e32 v3, 4, v48
	v_add_u32_e32 v8, s38, v0
	v_cmp_gt_u32_e64 s[2:3], s39, v3
	v_or_b32_e32 v3, 8, v48
	v_add_u32_e32 v10, s38, v8
	v_cmp_gt_u32_e64 s[4:5], s39, v3
	;; [unrolled: 3-line block ×14, first 2 shown]
	v_or_b32_e32 v3, 60, v48
	v_add_u32_e32 v36, s38, v34
	s_abs_i32 s38, s39
	v_cmp_gt_u32_e64 s[30:31], s39, v3
	v_cvt_f32_u32_e32 v3, s38
	s_add_i32 s57, s0, s1
	v_cmp_gt_u32_e64 s[0:1], s39, v48
	s_and_b64 s[46:47], s[0:1], vcc
	v_rcp_iflag_f32_e32 v3, v3
	s_sub_i32 s0, 0, s38
	v_mov_b32_e32 v9, v1
	v_mov_b32_e32 v11, v1
	v_mul_f32_e32 v3, 0x4f7ffffe, v3
	v_cvt_u32_f32_e32 v3, v3
	v_mov_b32_e32 v13, v1
	v_mov_b32_e32 v15, v1
	;; [unrolled: 1-line block ×3, first 2 shown]
	v_mul_lo_u32 v38, s0, v3
	v_mul_hi_u32 v38, v3, v38
	v_add_u32_e32 v53, v3, v38
	v_cndmask_b32_e64 v3, 0, 1, s[44:45]
	v_mov_b32_e32 v19, v1
	v_mov_b32_e32 v21, v1
	;; [unrolled: 1-line block ×10, first 2 shown]
	s_and_b64 s[48:49], vcc, s[2:3]
	s_and_b64 s[4:5], vcc, s[4:5]
	;; [unrolled: 1-line block ×15, first 2 shown]
	v_or_b32_e32 v54, -4, v48
	s_mov_b64 s[50:51], 0
	v_mov_b32_e32 v38, v1
	v_mov_b32_e32 v39, v1
	v_cmp_ne_u32_e64 s[0:1], 1, v3
	v_mov_b32_e32 v55, 1
	v_mov_b32_e32 v3, v1
	s_branch .LBB98_11
.LBB98_8:                               ;   in Loop: Header=BB98_11 Depth=1
	v_mov_b32_e32 v45, s59
.LBB98_9:                               ;   in Loop: Header=BB98_11 Depth=1
	s_or_b64 exec, exec, s[52:53]
.LBB98_10:                              ;   in Loop: Header=BB98_11 Depth=1
	s_or_b64 exec, exec, s[2:3]
	v_mov_b32_dpp v3, v56 row_shr:1 row_mask:0xf bank_mask:0xf
	v_min_i32_e32 v3, v3, v56
	v_add_u32_e32 v2, v45, v2
	s_waitcnt lgkmcnt(0)
	v_mov_b32_dpp v40, v3 row_shr:2 row_mask:0xf bank_mask:0xf
	v_min_i32_e32 v3, v40, v3
	s_nop 1
	v_mov_b32_dpp v40, v3 row_shr:4 row_mask:0xf bank_mask:0xe
	v_min_i32_e32 v3, v40, v3
	s_nop 1
	;; [unrolled: 3-line block ×3, first 2 shown]
	v_mov_b32_dpp v40, v3 row_bcast:15 row_mask:0xa bank_mask:0xf
	v_min_i32_e32 v3, v40, v3
	ds_bpermute_b32 v3, v51, v3
	s_waitcnt lgkmcnt(0)
	v_cmp_le_i32_e32 vcc, s37, v3
	s_or_b64 s[50:51], vcc, s[50:51]
	s_andn2_b64 exec, exec, s[50:51]
	s_cbranch_execz .LBB98_102
.LBB98_11:                              ; =>This Loop Header: Depth=1
                                        ;     Child Loop BB98_12 Depth 2
                                        ;     Child Loop BB98_16 Depth 2
	s_mov_b64 s[2:3], 0
	v_mov_b32_e32 v40, v52
	v_mov_b32_e32 v41, v54
	ds_write_b8 v46, v1 offset:16384
.LBB98_12:                              ;   Parent Loop BB98_11 Depth=1
                                        ; =>  This Inner Loop Header: Depth=2
	v_add_u32_e32 v41, 4, v41
	v_cmp_lt_u32_e32 vcc, 59, v41
	ds_write_b64 v40, v[38:39]
	s_or_b64 s[2:3], vcc, s[2:3]
	v_add_u32_e32 v40, 32, v40
	s_andn2_b64 exec, exec, s[2:3]
	s_cbranch_execnz .LBB98_12
; %bb.13:                               ;   in Loop: Header=BB98_11 Depth=1
	s_or_b64 exec, exec, s[2:3]
	v_add_u32_e32 v40, v44, v48
	v_cmp_lt_i32_e32 vcc, v40, v47
	v_mov_b32_e32 v56, s37
	v_mov_b32_e32 v41, v47
	s_waitcnt lgkmcnt(0)
	s_and_saveexec_b64 s[52:53], vcc
	s_cbranch_execz .LBB98_21
; %bb.14:                               ;   in Loop: Header=BB98_11 Depth=1
	v_ashrrev_i32_e32 v41, 31, v40
	v_mul_lo_u32 v57, v3, s39
	v_lshl_add_u64 v[42:43], v[40:41], 2, s[42:43]
	v_lshl_add_u64 v[44:45], v[40:41], 3, s[34:35]
	s_mov_b64 s[54:55], 0
	v_mov_b32_e32 v56, s37
	v_mov_b32_e32 v41, v47
	s_branch .LBB98_16
.LBB98_15:                              ;   in Loop: Header=BB98_16 Depth=2
	s_or_b64 exec, exec, s[2:3]
	v_add_u32_e32 v40, 4, v40
	v_cmp_ge_i32_e64 s[2:3], v40, v47
	s_xor_b64 s[60:61], vcc, -1
	s_or_b64 s[2:3], s[60:61], s[2:3]
	s_and_b64 s[2:3], exec, s[2:3]
	v_lshl_add_u64 v[42:43], v[42:43], 0, 16
	s_or_b64 s[54:55], s[2:3], s[54:55]
	v_lshl_add_u64 v[44:45], v[44:45], 0, 32
	s_andn2_b64 exec, exec, s[54:55]
	s_cbranch_execz .LBB98_20
.LBB98_16:                              ;   Parent Loop BB98_11 Depth=1
                                        ; =>  This Inner Loop Header: Depth=2
	global_load_dword v58, v[42:43], off
	s_waitcnt vmcnt(0)
	v_subrev_u32_e32 v58, s33, v58
	v_sub_u32_e32 v60, 0, v58
	v_max_i32_e32 v60, v58, v60
	v_mul_hi_u32 v61, v60, v53
	v_mul_lo_u32 v62, v61, s38
	v_sub_u32_e32 v60, v60, v62
	v_add_u32_e32 v63, 1, v61
	v_cmp_le_u32_e32 vcc, s38, v60
	v_subrev_u32_e32 v62, s38, v60
	v_ashrrev_i32_e32 v59, 31, v58
	v_cndmask_b32_e32 v61, v61, v63, vcc
	v_cndmask_b32_e32 v60, v60, v62, vcc
	v_add_u32_e32 v62, 1, v61
	v_cmp_le_u32_e32 vcc, s38, v60
	v_xor_b32_e32 v59, s36, v59
	s_nop 0
	v_cndmask_b32_e32 v60, v61, v62, vcc
	v_xor_b32_e32 v60, v60, v59
	v_sub_u32_e32 v60, v60, v59
	v_cmp_eq_u32_e32 vcc, v60, v3
	v_cmp_ne_u32_e64 s[2:3], v60, v3
	v_mov_b32_e32 v59, v41
	s_and_saveexec_b64 s[60:61], s[2:3]
	s_xor_b64 s[2:3], exec, s[60:61]
; %bb.17:                               ;   in Loop: Header=BB98_16 Depth=2
	v_min_i32_e32 v56, v60, v56
                                        ; implicit-def: $vgpr58
                                        ; implicit-def: $vgpr59
; %bb.18:                               ;   in Loop: Header=BB98_16 Depth=2
	s_or_saveexec_b64 s[2:3], s[2:3]
	v_mov_b32_e32 v41, v40
	s_xor_b64 exec, exec, s[2:3]
	s_cbranch_execz .LBB98_15
; %bb.19:                               ;   in Loop: Header=BB98_16 Depth=2
	global_load_dwordx2 v[60:61], v[44:45], off
	v_sub_u32_e32 v41, v58, v57
	v_add_lshl_u32 v41, v49, v41, 3
	ds_write_b8 v46, v55 offset:16384
	s_waitcnt vmcnt(0)
	ds_write_b64 v41, v[60:61]
	v_mov_b32_e32 v41, v59
	s_branch .LBB98_15
.LBB98_20:                              ;   in Loop: Header=BB98_11 Depth=1
	s_or_b64 exec, exec, s[54:55]
.LBB98_21:                              ;   in Loop: Header=BB98_11 Depth=1
	s_or_b64 exec, exec, s[52:53]
	v_mov_b32_dpp v40, v41 row_shr:1 row_mask:0xf bank_mask:0xf
	v_min_i32_e32 v40, v40, v41
	s_waitcnt lgkmcnt(0)
	ds_read_u8 v41, v46 offset:16384
	v_mov_b32_dpp v42, v40 row_shr:2 row_mask:0xf bank_mask:0xf
	v_min_i32_e32 v40, v42, v40
	ds_bpermute_b32 v44, v50, v40
	v_mov_b32_e32 v45, 0
	s_waitcnt lgkmcnt(1)
	v_and_b32_e32 v40, 1, v41
	v_cmp_eq_u32_e32 vcc, 1, v40
	s_and_saveexec_b64 s[2:3], vcc
	s_cbranch_execz .LBB98_10
; %bb.22:                               ;   in Loop: Header=BB98_11 Depth=1
	v_add_u32_e32 v42, s56, v3
	v_ashrrev_i32_e32 v3, 31, v2
	v_lshl_add_u64 v[40:41], v[2:3], 2, s[40:41]
	global_store_dword v[40:41], v42, off
	v_mul_lo_u32 v42, s57, v2
	v_mul_lo_u32 v3, s58, v3
	v_mad_u64_u32 v[40:41], s[52:53], s58, v2, 0
	v_add3_u32 v41, v41, v3, v42
	v_lshlrev_b64 v[40:41], 3, v[40:41]
	v_lshl_add_u64 v[42:43], v[4:5], 0, v[40:41]
	v_lshl_add_u64 v[40:41], v[6:7], 0, v[40:41]
	s_and_saveexec_b64 s[52:53], s[46:47]
	s_cbranch_execz .LBB98_26
; %bb.23:                               ;   in Loop: Header=BB98_11 Depth=1
	s_and_b64 vcc, exec, s[44:45]
	s_cbranch_vccz .LBB98_85
; %bb.24:                               ;   in Loop: Header=BB98_11 Depth=1
	ds_read_b64 v[58:59], v52
	v_lshl_add_u64 v[60:61], v[0:1], 3, v[42:43]
	s_waitcnt lgkmcnt(0)
	global_store_dwordx2 v[60:61], v[58:59], off
	s_cbranch_execnz .LBB98_26
.LBB98_25:                              ;   in Loop: Header=BB98_11 Depth=1
	ds_read_b64 v[58:59], v52
	s_waitcnt lgkmcnt(0)
	global_store_dwordx2 v[40:41], v[58:59], off
.LBB98_26:                              ;   in Loop: Header=BB98_11 Depth=1
	s_or_b64 exec, exec, s[52:53]
	s_and_saveexec_b64 s[52:53], s[48:49]
	s_cbranch_execz .LBB98_30
; %bb.27:                               ;   in Loop: Header=BB98_11 Depth=1
	s_and_b64 vcc, exec, s[0:1]
	s_cbranch_vccnz .LBB98_86
; %bb.28:                               ;   in Loop: Header=BB98_11 Depth=1
	ds_read_b64 v[58:59], v52 offset:32
	v_lshl_add_u64 v[60:61], v[8:9], 3, v[42:43]
	s_waitcnt lgkmcnt(0)
	global_store_dwordx2 v[60:61], v[58:59], off
	s_cbranch_execnz .LBB98_30
.LBB98_29:                              ;   in Loop: Header=BB98_11 Depth=1
	ds_read_b64 v[58:59], v52 offset:32
	s_waitcnt lgkmcnt(0)
	global_store_dwordx2 v[40:41], v[58:59], off offset:32
.LBB98_30:                              ;   in Loop: Header=BB98_11 Depth=1
	s_or_b64 exec, exec, s[52:53]
	s_and_saveexec_b64 s[52:53], s[4:5]
	s_cbranch_execz .LBB98_34
; %bb.31:                               ;   in Loop: Header=BB98_11 Depth=1
	s_and_b64 vcc, exec, s[0:1]
	s_cbranch_vccnz .LBB98_87
; %bb.32:                               ;   in Loop: Header=BB98_11 Depth=1
	ds_read_b64 v[58:59], v52 offset:64
	v_lshl_add_u64 v[60:61], v[10:11], 3, v[42:43]
	s_waitcnt lgkmcnt(0)
	global_store_dwordx2 v[60:61], v[58:59], off
	s_cbranch_execnz .LBB98_34
.LBB98_33:                              ;   in Loop: Header=BB98_11 Depth=1
	ds_read_b64 v[58:59], v52 offset:64
	s_waitcnt lgkmcnt(0)
	global_store_dwordx2 v[40:41], v[58:59], off offset:64
.LBB98_34:                              ;   in Loop: Header=BB98_11 Depth=1
	s_or_b64 exec, exec, s[52:53]
	s_and_saveexec_b64 s[52:53], s[6:7]
	s_cbranch_execz .LBB98_38
; %bb.35:                               ;   in Loop: Header=BB98_11 Depth=1
	s_and_b64 vcc, exec, s[0:1]
	s_cbranch_vccnz .LBB98_88
; %bb.36:                               ;   in Loop: Header=BB98_11 Depth=1
	ds_read_b64 v[58:59], v52 offset:96
	v_lshl_add_u64 v[60:61], v[12:13], 3, v[42:43]
	s_waitcnt lgkmcnt(0)
	global_store_dwordx2 v[60:61], v[58:59], off
	s_cbranch_execnz .LBB98_38
.LBB98_37:                              ;   in Loop: Header=BB98_11 Depth=1
	ds_read_b64 v[58:59], v52 offset:96
	s_waitcnt lgkmcnt(0)
	global_store_dwordx2 v[40:41], v[58:59], off offset:96
.LBB98_38:                              ;   in Loop: Header=BB98_11 Depth=1
	s_or_b64 exec, exec, s[52:53]
	s_and_saveexec_b64 s[52:53], s[8:9]
	s_cbranch_execz .LBB98_42
; %bb.39:                               ;   in Loop: Header=BB98_11 Depth=1
	s_and_b64 vcc, exec, s[0:1]
	s_cbranch_vccnz .LBB98_89
; %bb.40:                               ;   in Loop: Header=BB98_11 Depth=1
	ds_read_b64 v[58:59], v52 offset:128
	v_lshl_add_u64 v[60:61], v[14:15], 3, v[42:43]
	s_waitcnt lgkmcnt(0)
	global_store_dwordx2 v[60:61], v[58:59], off
	s_cbranch_execnz .LBB98_42
.LBB98_41:                              ;   in Loop: Header=BB98_11 Depth=1
	ds_read_b64 v[58:59], v52 offset:128
	s_waitcnt lgkmcnt(0)
	global_store_dwordx2 v[40:41], v[58:59], off offset:128
.LBB98_42:                              ;   in Loop: Header=BB98_11 Depth=1
	s_or_b64 exec, exec, s[52:53]
	s_and_saveexec_b64 s[52:53], s[10:11]
	s_cbranch_execz .LBB98_46
; %bb.43:                               ;   in Loop: Header=BB98_11 Depth=1
	s_and_b64 vcc, exec, s[0:1]
	s_cbranch_vccnz .LBB98_90
; %bb.44:                               ;   in Loop: Header=BB98_11 Depth=1
	ds_read_b64 v[58:59], v52 offset:160
	v_lshl_add_u64 v[60:61], v[16:17], 3, v[42:43]
	s_waitcnt lgkmcnt(0)
	global_store_dwordx2 v[60:61], v[58:59], off
	s_cbranch_execnz .LBB98_46
.LBB98_45:                              ;   in Loop: Header=BB98_11 Depth=1
	ds_read_b64 v[58:59], v52 offset:160
	s_waitcnt lgkmcnt(0)
	global_store_dwordx2 v[40:41], v[58:59], off offset:160
.LBB98_46:                              ;   in Loop: Header=BB98_11 Depth=1
	s_or_b64 exec, exec, s[52:53]
	s_and_saveexec_b64 s[52:53], s[12:13]
	s_cbranch_execz .LBB98_50
; %bb.47:                               ;   in Loop: Header=BB98_11 Depth=1
	s_and_b64 vcc, exec, s[0:1]
	s_cbranch_vccnz .LBB98_91
; %bb.48:                               ;   in Loop: Header=BB98_11 Depth=1
	ds_read_b64 v[58:59], v52 offset:192
	v_lshl_add_u64 v[60:61], v[18:19], 3, v[42:43]
	s_waitcnt lgkmcnt(0)
	global_store_dwordx2 v[60:61], v[58:59], off
	s_cbranch_execnz .LBB98_50
.LBB98_49:                              ;   in Loop: Header=BB98_11 Depth=1
	ds_read_b64 v[58:59], v52 offset:192
	s_waitcnt lgkmcnt(0)
	global_store_dwordx2 v[40:41], v[58:59], off offset:192
.LBB98_50:                              ;   in Loop: Header=BB98_11 Depth=1
	s_or_b64 exec, exec, s[52:53]
	s_and_saveexec_b64 s[52:53], s[14:15]
	s_cbranch_execz .LBB98_54
; %bb.51:                               ;   in Loop: Header=BB98_11 Depth=1
	s_and_b64 vcc, exec, s[0:1]
	s_cbranch_vccnz .LBB98_92
; %bb.52:                               ;   in Loop: Header=BB98_11 Depth=1
	ds_read_b64 v[58:59], v52 offset:224
	v_lshl_add_u64 v[60:61], v[20:21], 3, v[42:43]
	s_waitcnt lgkmcnt(0)
	global_store_dwordx2 v[60:61], v[58:59], off
	s_cbranch_execnz .LBB98_54
.LBB98_53:                              ;   in Loop: Header=BB98_11 Depth=1
	ds_read_b64 v[58:59], v52 offset:224
	s_waitcnt lgkmcnt(0)
	global_store_dwordx2 v[40:41], v[58:59], off offset:224
.LBB98_54:                              ;   in Loop: Header=BB98_11 Depth=1
	s_or_b64 exec, exec, s[52:53]
	s_and_saveexec_b64 s[52:53], s[16:17]
	s_cbranch_execz .LBB98_58
; %bb.55:                               ;   in Loop: Header=BB98_11 Depth=1
	s_and_b64 vcc, exec, s[0:1]
	s_cbranch_vccnz .LBB98_93
; %bb.56:                               ;   in Loop: Header=BB98_11 Depth=1
	ds_read_b64 v[58:59], v52 offset:256
	v_lshl_add_u64 v[60:61], v[22:23], 3, v[42:43]
	s_waitcnt lgkmcnt(0)
	global_store_dwordx2 v[60:61], v[58:59], off
	s_cbranch_execnz .LBB98_58
.LBB98_57:                              ;   in Loop: Header=BB98_11 Depth=1
	ds_read_b64 v[58:59], v52 offset:256
	s_waitcnt lgkmcnt(0)
	global_store_dwordx2 v[40:41], v[58:59], off offset:256
.LBB98_58:                              ;   in Loop: Header=BB98_11 Depth=1
	s_or_b64 exec, exec, s[52:53]
	s_and_saveexec_b64 s[52:53], s[18:19]
	s_cbranch_execz .LBB98_62
; %bb.59:                               ;   in Loop: Header=BB98_11 Depth=1
	s_and_b64 vcc, exec, s[0:1]
	s_cbranch_vccnz .LBB98_94
; %bb.60:                               ;   in Loop: Header=BB98_11 Depth=1
	ds_read_b64 v[58:59], v52 offset:288
	v_lshl_add_u64 v[60:61], v[24:25], 3, v[42:43]
	s_waitcnt lgkmcnt(0)
	global_store_dwordx2 v[60:61], v[58:59], off
	s_cbranch_execnz .LBB98_62
.LBB98_61:                              ;   in Loop: Header=BB98_11 Depth=1
	ds_read_b64 v[58:59], v52 offset:288
	s_waitcnt lgkmcnt(0)
	global_store_dwordx2 v[40:41], v[58:59], off offset:288
.LBB98_62:                              ;   in Loop: Header=BB98_11 Depth=1
	s_or_b64 exec, exec, s[52:53]
	s_and_saveexec_b64 s[52:53], s[20:21]
	s_cbranch_execz .LBB98_66
; %bb.63:                               ;   in Loop: Header=BB98_11 Depth=1
	s_and_b64 vcc, exec, s[0:1]
	s_cbranch_vccnz .LBB98_95
; %bb.64:                               ;   in Loop: Header=BB98_11 Depth=1
	ds_read_b64 v[58:59], v52 offset:320
	v_lshl_add_u64 v[60:61], v[26:27], 3, v[42:43]
	s_waitcnt lgkmcnt(0)
	global_store_dwordx2 v[60:61], v[58:59], off
	s_cbranch_execnz .LBB98_66
.LBB98_65:                              ;   in Loop: Header=BB98_11 Depth=1
	ds_read_b64 v[58:59], v52 offset:320
	s_waitcnt lgkmcnt(0)
	global_store_dwordx2 v[40:41], v[58:59], off offset:320
.LBB98_66:                              ;   in Loop: Header=BB98_11 Depth=1
	s_or_b64 exec, exec, s[52:53]
	s_and_saveexec_b64 s[52:53], s[22:23]
	s_cbranch_execz .LBB98_70
; %bb.67:                               ;   in Loop: Header=BB98_11 Depth=1
	s_and_b64 vcc, exec, s[0:1]
	s_cbranch_vccnz .LBB98_96
; %bb.68:                               ;   in Loop: Header=BB98_11 Depth=1
	ds_read_b64 v[58:59], v52 offset:352
	v_lshl_add_u64 v[60:61], v[28:29], 3, v[42:43]
	s_waitcnt lgkmcnt(0)
	global_store_dwordx2 v[60:61], v[58:59], off
	s_cbranch_execnz .LBB98_70
.LBB98_69:                              ;   in Loop: Header=BB98_11 Depth=1
	ds_read_b64 v[58:59], v52 offset:352
	s_waitcnt lgkmcnt(0)
	global_store_dwordx2 v[40:41], v[58:59], off offset:352
.LBB98_70:                              ;   in Loop: Header=BB98_11 Depth=1
	s_or_b64 exec, exec, s[52:53]
	s_and_saveexec_b64 s[52:53], s[24:25]
	s_cbranch_execz .LBB98_74
; %bb.71:                               ;   in Loop: Header=BB98_11 Depth=1
	s_and_b64 vcc, exec, s[0:1]
	s_cbranch_vccnz .LBB98_97
; %bb.72:                               ;   in Loop: Header=BB98_11 Depth=1
	ds_read_b64 v[58:59], v52 offset:384
	v_lshl_add_u64 v[60:61], v[30:31], 3, v[42:43]
	s_waitcnt lgkmcnt(0)
	global_store_dwordx2 v[60:61], v[58:59], off
	s_cbranch_execnz .LBB98_74
.LBB98_73:                              ;   in Loop: Header=BB98_11 Depth=1
	ds_read_b64 v[58:59], v52 offset:384
	s_waitcnt lgkmcnt(0)
	global_store_dwordx2 v[40:41], v[58:59], off offset:384
.LBB98_74:                              ;   in Loop: Header=BB98_11 Depth=1
	s_or_b64 exec, exec, s[52:53]
	s_and_saveexec_b64 s[52:53], s[26:27]
	s_cbranch_execz .LBB98_78
; %bb.75:                               ;   in Loop: Header=BB98_11 Depth=1
	s_and_b64 vcc, exec, s[0:1]
	s_cbranch_vccnz .LBB98_98
; %bb.76:                               ;   in Loop: Header=BB98_11 Depth=1
	ds_read_b64 v[58:59], v52 offset:416
	v_lshl_add_u64 v[60:61], v[32:33], 3, v[42:43]
	s_waitcnt lgkmcnt(0)
	global_store_dwordx2 v[60:61], v[58:59], off
	s_cbranch_execnz .LBB98_78
.LBB98_77:                              ;   in Loop: Header=BB98_11 Depth=1
	ds_read_b64 v[58:59], v52 offset:416
	s_waitcnt lgkmcnt(0)
	global_store_dwordx2 v[40:41], v[58:59], off offset:416
.LBB98_78:                              ;   in Loop: Header=BB98_11 Depth=1
	s_or_b64 exec, exec, s[52:53]
	s_and_saveexec_b64 s[52:53], s[28:29]
	s_cbranch_execz .LBB98_82
; %bb.79:                               ;   in Loop: Header=BB98_11 Depth=1
	s_and_b64 vcc, exec, s[0:1]
	s_cbranch_vccnz .LBB98_99
; %bb.80:                               ;   in Loop: Header=BB98_11 Depth=1
	ds_read_b64 v[58:59], v52 offset:448
	v_lshl_add_u64 v[60:61], v[34:35], 3, v[42:43]
	s_waitcnt lgkmcnt(0)
	global_store_dwordx2 v[60:61], v[58:59], off
	s_cbranch_execnz .LBB98_82
.LBB98_81:                              ;   in Loop: Header=BB98_11 Depth=1
	ds_read_b64 v[58:59], v52 offset:448
	s_waitcnt lgkmcnt(0)
	global_store_dwordx2 v[40:41], v[58:59], off offset:448
.LBB98_82:                              ;   in Loop: Header=BB98_11 Depth=1
	s_or_b64 exec, exec, s[52:53]
	v_mov_b32_e32 v45, 1
	s_and_saveexec_b64 s[52:53], s[30:31]
	s_cbranch_execz .LBB98_9
; %bb.83:                               ;   in Loop: Header=BB98_11 Depth=1
	s_and_b64 vcc, exec, s[0:1]
	s_cbranch_vccnz .LBB98_100
; %bb.84:                               ;   in Loop: Header=BB98_11 Depth=1
	ds_read_b64 v[58:59], v52 offset:480
	v_lshl_add_u64 v[42:43], v[36:37], 3, v[42:43]
	s_mov_b32 s59, 1
	s_waitcnt lgkmcnt(0)
	global_store_dwordx2 v[42:43], v[58:59], off
	s_cbranch_execnz .LBB98_8
	s_branch .LBB98_101
.LBB98_85:                              ;   in Loop: Header=BB98_11 Depth=1
	s_branch .LBB98_25
.LBB98_86:                              ;   in Loop: Header=BB98_11 Depth=1
	s_branch .LBB98_29
.LBB98_87:                              ;   in Loop: Header=BB98_11 Depth=1
	s_branch .LBB98_33
.LBB98_88:                              ;   in Loop: Header=BB98_11 Depth=1
	s_branch .LBB98_37
.LBB98_89:                              ;   in Loop: Header=BB98_11 Depth=1
	s_branch .LBB98_41
.LBB98_90:                              ;   in Loop: Header=BB98_11 Depth=1
	s_branch .LBB98_45
.LBB98_91:                              ;   in Loop: Header=BB98_11 Depth=1
	s_branch .LBB98_49
.LBB98_92:                              ;   in Loop: Header=BB98_11 Depth=1
	s_branch .LBB98_53
.LBB98_93:                              ;   in Loop: Header=BB98_11 Depth=1
	s_branch .LBB98_57
.LBB98_94:                              ;   in Loop: Header=BB98_11 Depth=1
	s_branch .LBB98_61
.LBB98_95:                              ;   in Loop: Header=BB98_11 Depth=1
	s_branch .LBB98_65
.LBB98_96:                              ;   in Loop: Header=BB98_11 Depth=1
	s_branch .LBB98_69
.LBB98_97:                              ;   in Loop: Header=BB98_11 Depth=1
	s_branch .LBB98_73
.LBB98_98:                              ;   in Loop: Header=BB98_11 Depth=1
	s_branch .LBB98_77
.LBB98_99:                              ;   in Loop: Header=BB98_11 Depth=1
	s_branch .LBB98_81
.LBB98_100:                             ;   in Loop: Header=BB98_11 Depth=1
                                        ; implicit-def: $sgpr59
.LBB98_101:                             ;   in Loop: Header=BB98_11 Depth=1
	ds_read_b64 v[42:43], v52 offset:480
	s_mov_b32 s59, 1
	s_waitcnt lgkmcnt(0)
	global_store_dwordx2 v[40:41], v[42:43], off offset:480
	s_branch .LBB98_8
.LBB98_102:
	s_endpgm
	.section	.rodata,"a",@progbits
	.p2align	6, 0x0
	.amdhsa_kernel _ZN9rocsparseL44csr2gebsr_wavefront_per_row_multipass_kernelILi128ELi8ELi64ELi32EdEEv20rocsparse_direction_iiiiii21rocsparse_index_base_PKT3_PKiS7_S2_PS3_PiS9_
		.amdhsa_group_segment_fixed_size 16392
		.amdhsa_private_segment_fixed_size 0
		.amdhsa_kernarg_size 88
		.amdhsa_user_sgpr_count 2
		.amdhsa_user_sgpr_dispatch_ptr 0
		.amdhsa_user_sgpr_queue_ptr 0
		.amdhsa_user_sgpr_kernarg_segment_ptr 1
		.amdhsa_user_sgpr_dispatch_id 0
		.amdhsa_user_sgpr_kernarg_preload_length 0
		.amdhsa_user_sgpr_kernarg_preload_offset 0
		.amdhsa_user_sgpr_private_segment_size 0
		.amdhsa_uses_dynamic_stack 0
		.amdhsa_enable_private_segment 0
		.amdhsa_system_sgpr_workgroup_id_x 1
		.amdhsa_system_sgpr_workgroup_id_y 0
		.amdhsa_system_sgpr_workgroup_id_z 0
		.amdhsa_system_sgpr_workgroup_info 0
		.amdhsa_system_vgpr_workitem_id 0
		.amdhsa_next_free_vgpr 64
		.amdhsa_next_free_sgpr 62
		.amdhsa_accum_offset 64
		.amdhsa_reserve_vcc 1
		.amdhsa_float_round_mode_32 0
		.amdhsa_float_round_mode_16_64 0
		.amdhsa_float_denorm_mode_32 3
		.amdhsa_float_denorm_mode_16_64 3
		.amdhsa_dx10_clamp 1
		.amdhsa_ieee_mode 1
		.amdhsa_fp16_overflow 0
		.amdhsa_tg_split 0
		.amdhsa_exception_fp_ieee_invalid_op 0
		.amdhsa_exception_fp_denorm_src 0
		.amdhsa_exception_fp_ieee_div_zero 0
		.amdhsa_exception_fp_ieee_overflow 0
		.amdhsa_exception_fp_ieee_underflow 0
		.amdhsa_exception_fp_ieee_inexact 0
		.amdhsa_exception_int_div_zero 0
	.end_amdhsa_kernel
	.section	.text._ZN9rocsparseL44csr2gebsr_wavefront_per_row_multipass_kernelILi128ELi8ELi64ELi32EdEEv20rocsparse_direction_iiiiii21rocsparse_index_base_PKT3_PKiS7_S2_PS3_PiS9_,"axG",@progbits,_ZN9rocsparseL44csr2gebsr_wavefront_per_row_multipass_kernelILi128ELi8ELi64ELi32EdEEv20rocsparse_direction_iiiiii21rocsparse_index_base_PKT3_PKiS7_S2_PS3_PiS9_,comdat
.Lfunc_end98:
	.size	_ZN9rocsparseL44csr2gebsr_wavefront_per_row_multipass_kernelILi128ELi8ELi64ELi32EdEEv20rocsparse_direction_iiiiii21rocsparse_index_base_PKT3_PKiS7_S2_PS3_PiS9_, .Lfunc_end98-_ZN9rocsparseL44csr2gebsr_wavefront_per_row_multipass_kernelILi128ELi8ELi64ELi32EdEEv20rocsparse_direction_iiiiii21rocsparse_index_base_PKT3_PKiS7_S2_PS3_PiS9_
                                        ; -- End function
	.section	.AMDGPU.csdata,"",@progbits
; Kernel info:
; codeLenInByte = 2772
; NumSgprs: 68
; NumVgprs: 64
; NumAgprs: 0
; TotalNumVgprs: 64
; ScratchSize: 0
; MemoryBound: 0
; FloatMode: 240
; IeeeMode: 1
; LDSByteSize: 16392 bytes/workgroup (compile time only)
; SGPRBlocks: 8
; VGPRBlocks: 7
; NumSGPRsForWavesPerEU: 68
; NumVGPRsForWavesPerEU: 64
; AccumOffset: 64
; Occupancy: 2
; WaveLimiterHint : 0
; COMPUTE_PGM_RSRC2:SCRATCH_EN: 0
; COMPUTE_PGM_RSRC2:USER_SGPR: 2
; COMPUTE_PGM_RSRC2:TRAP_HANDLER: 0
; COMPUTE_PGM_RSRC2:TGID_X_EN: 1
; COMPUTE_PGM_RSRC2:TGID_Y_EN: 0
; COMPUTE_PGM_RSRC2:TGID_Z_EN: 0
; COMPUTE_PGM_RSRC2:TIDIG_COMP_CNT: 0
; COMPUTE_PGM_RSRC3_GFX90A:ACCUM_OFFSET: 15
; COMPUTE_PGM_RSRC3_GFX90A:TG_SPLIT: 0
	.section	.text._ZN9rocsparseL44csr2gebsr_wavefront_per_row_multipass_kernelILi256ELi16ELi2ELi32EdEEv20rocsparse_direction_iiiiii21rocsparse_index_base_PKT3_PKiS7_S2_PS3_PiS9_,"axG",@progbits,_ZN9rocsparseL44csr2gebsr_wavefront_per_row_multipass_kernelILi256ELi16ELi2ELi32EdEEv20rocsparse_direction_iiiiii21rocsparse_index_base_PKT3_PKiS7_S2_PS3_PiS9_,comdat
	.globl	_ZN9rocsparseL44csr2gebsr_wavefront_per_row_multipass_kernelILi256ELi16ELi2ELi32EdEEv20rocsparse_direction_iiiiii21rocsparse_index_base_PKT3_PKiS7_S2_PS3_PiS9_ ; -- Begin function _ZN9rocsparseL44csr2gebsr_wavefront_per_row_multipass_kernelILi256ELi16ELi2ELi32EdEEv20rocsparse_direction_iiiiii21rocsparse_index_base_PKT3_PKiS7_S2_PS3_PiS9_
	.p2align	8
	.type	_ZN9rocsparseL44csr2gebsr_wavefront_per_row_multipass_kernelILi256ELi16ELi2ELi32EdEEv20rocsparse_direction_iiiiii21rocsparse_index_base_PKT3_PKiS7_S2_PS3_PiS9_,@function
_ZN9rocsparseL44csr2gebsr_wavefront_per_row_multipass_kernelILi256ELi16ELi2ELi32EdEEv20rocsparse_direction_iiiiii21rocsparse_index_base_PKT3_PKiS7_S2_PS3_PiS9_: ; @_ZN9rocsparseL44csr2gebsr_wavefront_per_row_multipass_kernelILi256ELi16ELi2ELi32EdEEv20rocsparse_direction_iiiiii21rocsparse_index_base_PKT3_PKiS7_S2_PS3_PiS9_
; %bb.0:
	s_load_dwordx2 s[14:15], s[0:1], 0x0
	s_load_dwordx4 s[4:7], s[0:1], 0xc
	s_load_dword s20, s[0:1], 0x1c
	s_load_dwordx2 s[8:9], s[0:1], 0x28
	v_lshrrev_b32_e32 v12, 5, v0
	v_bfe_u32 v6, v0, 1, 4
	v_lshl_or_b32 v4, s2, 3, v12
	s_waitcnt lgkmcnt(0)
	v_mad_u64_u32 v[2:3], s[2:3], v4, s6, v[6:7]
	v_cmp_gt_i32_e64 s[2:3], s15, v2
	v_cmp_gt_i32_e32 vcc, s6, v6
	s_and_b64 s[2:3], vcc, s[2:3]
	v_mov_b32_e32 v13, 0
	v_mov_b32_e32 v8, 0
	s_and_saveexec_b64 s[10:11], s[2:3]
	s_cbranch_execz .LBB99_2
; %bb.1:
	v_ashrrev_i32_e32 v3, 31, v2
	v_lshl_add_u64 v[8:9], v[2:3], 2, s[8:9]
	global_load_dword v1, v[8:9], off
	s_waitcnt vmcnt(0)
	v_subrev_u32_e32 v8, s20, v1
.LBB99_2:
	s_or_b64 exec, exec, s[10:11]
	s_and_saveexec_b64 s[10:11], s[2:3]
	s_cbranch_execz .LBB99_4
; %bb.3:
	v_ashrrev_i32_e32 v3, 31, v2
	v_lshl_add_u64 v[2:3], v[2:3], 2, s[8:9]
	global_load_dword v1, v[2:3], off offset:4
	s_waitcnt vmcnt(0)
	v_subrev_u32_e32 v13, s20, v1
.LBB99_4:
	s_or_b64 exec, exec, s[10:11]
	s_load_dword s21, s[0:1], 0x38
	v_cmp_gt_i32_e64 s[2:3], s4, v4
	v_mov_b32_e32 v2, 0
	s_and_saveexec_b64 s[8:9], s[2:3]
	s_cbranch_execz .LBB99_6
; %bb.5:
	s_load_dwordx2 s[2:3], s[0:1], 0x48
	v_ashrrev_i32_e32 v5, 31, v4
	s_waitcnt lgkmcnt(0)
	v_lshl_add_u64 v[2:3], v[4:5], 2, s[2:3]
	global_load_dword v1, v[2:3], off
	s_waitcnt vmcnt(0)
	v_subrev_u32_e32 v2, s21, v1
.LBB99_6:
	s_or_b64 exec, exec, s[8:9]
	s_cmp_lt_i32 s5, 1
	s_cbranch_scc1 .LBB99_21
; %bb.7:
	v_and_b32_e32 v4, 1, v0
	s_load_dwordx2 s[2:3], s[0:1], 0x20
	s_load_dwordx2 s[8:9], s[0:1], 0x50
	;; [unrolled: 1-line block ×4, first 2 shown]
	v_cmp_gt_u32_e64 s[0:1], s7, v4
	s_and_b64 s[12:13], vcc, s[0:1]
	s_cmp_eq_u32 s14, 0
	s_cselect_b64 vcc, -1, 0
	s_abs_i32 s4, s7
	v_cvt_f32_u32_e32 v9, s4
	v_and_b32_e32 v0, 0xe0, v0
	v_lshl_or_b32 v14, v6, 1, v0
	v_mbcnt_lo_u32_b32 v0, -1, 0
	v_rcp_iflag_f32_e32 v9, v9
	v_mbcnt_hi_u32_b32 v0, -1, v0
	v_lshlrev_b32_e32 v3, 2, v0
	v_mov_b32_e32 v5, 0
	v_or_b32_e32 v15, 4, v3
	v_or_b32_e32 v0, v14, v4
	;; [unrolled: 1-line block ×3, first 2 shown]
	v_mul_f32_e32 v3, 0x4f7ffffe, v9
	v_lshlrev_b32_e32 v16, 3, v0
	v_mul_lo_u32 v0, v4, s6
	v_mov_b32_e32 v1, v5
	v_lshlrev_b32_e32 v10, 3, v6
	v_mul_lo_u32 v6, v6, s7
	v_cvt_u32_f32_e32 v3, v3
	s_waitcnt lgkmcnt(0)
	v_lshl_add_u64 v[0:1], v[0:1], 3, s[16:17]
	v_mov_b32_e32 v11, v5
	v_ashrrev_i32_e32 v7, 31, v6
	s_ashr_i32 s22, s7, 31
	v_lshl_add_u64 v[0:1], v[0:1], 0, v[10:11]
	v_lshl_add_u64 v[6:7], v[6:7], 3, s[16:17]
	v_lshlrev_b32_e32 v10, 3, v4
	s_mul_hi_u32 s0, s7, s6
	s_mul_i32 s1, s22, s6
	v_lshl_add_u64 v[6:7], v[6:7], 0, v[10:11]
	s_add_i32 s23, s0, s1
	s_sub_i32 s0, 0, s4
	v_cndmask_b32_e32 v0, v0, v6, vcc
	v_mul_lo_u32 v6, s0, v3
	v_mul_hi_u32 v6, v3, v6
	s_mul_i32 s6, s7, s6
	v_cndmask_b32_e32 v1, v1, v7, vcc
	v_add_u32_e32 v18, v3, v6
	s_mov_b64 s[14:15], 0
	v_mov_b32_e32 v6, v5
	v_mov_b32_e32 v7, v5
	;; [unrolled: 1-line block ×4, first 2 shown]
	s_branch .LBB99_10
.LBB99_8:                               ;   in Loop: Header=BB99_10 Depth=1
	s_or_b64 exec, exec, s[16:17]
	v_mov_b32_e32 v9, 1
.LBB99_9:                               ;   in Loop: Header=BB99_10 Depth=1
	s_or_b64 exec, exec, s[0:1]
	v_mov_b32_dpp v3, v20 row_shr:1 row_mask:0xf bank_mask:0xf
	v_min_i32_e32 v3, v3, v20
	v_add_u32_e32 v2, v9, v2
	s_waitcnt lgkmcnt(0)
	v_mov_b32_dpp v10, v3 row_shr:2 row_mask:0xf bank_mask:0xf
	v_min_i32_e32 v3, v10, v3
	s_nop 1
	v_mov_b32_dpp v10, v3 row_shr:4 row_mask:0xf bank_mask:0xe
	v_min_i32_e32 v3, v10, v3
	s_nop 1
	;; [unrolled: 3-line block ×3, first 2 shown]
	v_mov_b32_dpp v10, v3 row_bcast:15 row_mask:0xa bank_mask:0xf
	v_min_i32_e32 v3, v10, v3
	ds_bpermute_b32 v3, v17, v3
	s_waitcnt lgkmcnt(0)
	v_cmp_le_i32_e32 vcc, s5, v3
	s_or_b64 s[14:15], vcc, s[14:15]
	s_andn2_b64 exec, exec, s[14:15]
	s_cbranch_execz .LBB99_21
.LBB99_10:                              ; =>This Loop Header: Depth=1
                                        ;     Child Loop BB99_13 Depth 2
	v_add_u32_e32 v21, v8, v4
	v_cmp_lt_i32_e32 vcc, v21, v13
	v_mov_b32_e32 v20, s5
	v_mov_b32_e32 v23, v13
	ds_write_b8 v12, v5 offset:2048
	ds_write_b64 v16, v[6:7]
	s_waitcnt lgkmcnt(0)
	s_and_saveexec_b64 s[16:17], vcc
	s_cbranch_execz .LBB99_18
; %bb.11:                               ;   in Loop: Header=BB99_10 Depth=1
	v_ashrrev_i32_e32 v9, 31, v8
	v_lshl_add_u64 v[10:11], v[4:5], 0, v[8:9]
	v_mul_lo_u32 v22, v3, s7
	v_lshl_add_u64 v[8:9], v[10:11], 2, s[10:11]
	v_lshl_add_u64 v[10:11], v[10:11], 3, s[2:3]
	s_mov_b64 s[18:19], 0
	v_mov_b32_e32 v20, s5
	v_mov_b32_e32 v23, v13
	s_branch .LBB99_13
.LBB99_12:                              ;   in Loop: Header=BB99_13 Depth=2
	s_or_b64 exec, exec, s[0:1]
	v_add_u32_e32 v21, 2, v21
	v_cmp_ge_i32_e64 s[0:1], v21, v13
	s_xor_b64 s[24:25], vcc, -1
	s_or_b64 s[0:1], s[24:25], s[0:1]
	s_and_b64 s[0:1], exec, s[0:1]
	v_lshl_add_u64 v[8:9], v[8:9], 0, 8
	s_or_b64 s[18:19], s[0:1], s[18:19]
	v_lshl_add_u64 v[10:11], v[10:11], 0, 16
	s_andn2_b64 exec, exec, s[18:19]
	s_cbranch_execz .LBB99_17
.LBB99_13:                              ;   Parent Loop BB99_10 Depth=1
                                        ; =>  This Inner Loop Header: Depth=2
	global_load_dword v24, v[8:9], off
	s_waitcnt vmcnt(0)
	v_subrev_u32_e32 v24, s20, v24
	v_sub_u32_e32 v26, 0, v24
	v_max_i32_e32 v26, v24, v26
	v_mul_hi_u32 v27, v26, v18
	v_mul_lo_u32 v28, v27, s4
	v_sub_u32_e32 v26, v26, v28
	v_add_u32_e32 v29, 1, v27
	v_cmp_le_u32_e32 vcc, s4, v26
	v_subrev_u32_e32 v28, s4, v26
	v_ashrrev_i32_e32 v25, 31, v24
	v_cndmask_b32_e32 v27, v27, v29, vcc
	v_cndmask_b32_e32 v26, v26, v28, vcc
	v_add_u32_e32 v28, 1, v27
	v_cmp_le_u32_e32 vcc, s4, v26
	v_xor_b32_e32 v25, s22, v25
	s_nop 0
	v_cndmask_b32_e32 v26, v27, v28, vcc
	v_xor_b32_e32 v26, v26, v25
	v_sub_u32_e32 v26, v26, v25
	v_cmp_eq_u32_e32 vcc, v26, v3
	v_cmp_ne_u32_e64 s[0:1], v26, v3
	v_mov_b32_e32 v25, v23
	s_and_saveexec_b64 s[24:25], s[0:1]
	s_xor_b64 s[0:1], exec, s[24:25]
; %bb.14:                               ;   in Loop: Header=BB99_13 Depth=2
	v_min_i32_e32 v20, v26, v20
                                        ; implicit-def: $vgpr24
                                        ; implicit-def: $vgpr25
; %bb.15:                               ;   in Loop: Header=BB99_13 Depth=2
	s_or_saveexec_b64 s[0:1], s[0:1]
	v_mov_b32_e32 v23, v21
	s_xor_b64 exec, exec, s[0:1]
	s_cbranch_execz .LBB99_12
; %bb.16:                               ;   in Loop: Header=BB99_13 Depth=2
	global_load_dwordx2 v[26:27], v[10:11], off
	v_sub_u32_e32 v23, v24, v22
	v_add_lshl_u32 v23, v14, v23, 3
	ds_write_b8 v12, v19 offset:2048
	s_waitcnt vmcnt(0)
	ds_write_b64 v23, v[26:27]
	v_mov_b32_e32 v23, v25
	s_branch .LBB99_12
.LBB99_17:                              ;   in Loop: Header=BB99_10 Depth=1
	s_or_b64 exec, exec, s[18:19]
.LBB99_18:                              ;   in Loop: Header=BB99_10 Depth=1
	s_or_b64 exec, exec, s[16:17]
	s_waitcnt lgkmcnt(0)
	ds_read_u8 v9, v12 offset:2048
	v_mov_b32_dpp v8, v23 row_shr:1 row_mask:0xf bank_mask:0xf
	v_min_i32_e32 v8, v8, v23
	ds_bpermute_b32 v8, v15, v8
	s_waitcnt lgkmcnt(1)
	v_and_b32_e32 v9, 1, v9
	v_cmp_eq_u32_e32 vcc, 1, v9
	v_mov_b32_e32 v9, 0
	s_and_saveexec_b64 s[0:1], vcc
	s_cbranch_execz .LBB99_9
; %bb.19:                               ;   in Loop: Header=BB99_10 Depth=1
	v_add_u32_e32 v9, s21, v3
	v_ashrrev_i32_e32 v3, 31, v2
	v_lshl_add_u64 v[10:11], v[2:3], 2, s[8:9]
	global_store_dword v[10:11], v9, off
	s_and_saveexec_b64 s[16:17], s[12:13]
	s_cbranch_execz .LBB99_8
; %bb.20:                               ;   in Loop: Header=BB99_10 Depth=1
	ds_read_b64 v[10:11], v16
	v_mul_lo_u32 v9, s23, v2
	v_mul_lo_u32 v3, s6, v3
	v_mad_u64_u32 v[22:23], s[18:19], s6, v2, 0
	v_add3_u32 v23, v23, v3, v9
	v_lshl_add_u64 v[22:23], v[22:23], 3, v[0:1]
	s_waitcnt lgkmcnt(0)
	global_store_dwordx2 v[22:23], v[10:11], off
	s_branch .LBB99_8
.LBB99_21:
	s_endpgm
	.section	.rodata,"a",@progbits
	.p2align	6, 0x0
	.amdhsa_kernel _ZN9rocsparseL44csr2gebsr_wavefront_per_row_multipass_kernelILi256ELi16ELi2ELi32EdEEv20rocsparse_direction_iiiiii21rocsparse_index_base_PKT3_PKiS7_S2_PS3_PiS9_
		.amdhsa_group_segment_fixed_size 2056
		.amdhsa_private_segment_fixed_size 0
		.amdhsa_kernarg_size 88
		.amdhsa_user_sgpr_count 2
		.amdhsa_user_sgpr_dispatch_ptr 0
		.amdhsa_user_sgpr_queue_ptr 0
		.amdhsa_user_sgpr_kernarg_segment_ptr 1
		.amdhsa_user_sgpr_dispatch_id 0
		.amdhsa_user_sgpr_kernarg_preload_length 0
		.amdhsa_user_sgpr_kernarg_preload_offset 0
		.amdhsa_user_sgpr_private_segment_size 0
		.amdhsa_uses_dynamic_stack 0
		.amdhsa_enable_private_segment 0
		.amdhsa_system_sgpr_workgroup_id_x 1
		.amdhsa_system_sgpr_workgroup_id_y 0
		.amdhsa_system_sgpr_workgroup_id_z 0
		.amdhsa_system_sgpr_workgroup_info 0
		.amdhsa_system_vgpr_workitem_id 0
		.amdhsa_next_free_vgpr 30
		.amdhsa_next_free_sgpr 26
		.amdhsa_accum_offset 32
		.amdhsa_reserve_vcc 1
		.amdhsa_float_round_mode_32 0
		.amdhsa_float_round_mode_16_64 0
		.amdhsa_float_denorm_mode_32 3
		.amdhsa_float_denorm_mode_16_64 3
		.amdhsa_dx10_clamp 1
		.amdhsa_ieee_mode 1
		.amdhsa_fp16_overflow 0
		.amdhsa_tg_split 0
		.amdhsa_exception_fp_ieee_invalid_op 0
		.amdhsa_exception_fp_denorm_src 0
		.amdhsa_exception_fp_ieee_div_zero 0
		.amdhsa_exception_fp_ieee_overflow 0
		.amdhsa_exception_fp_ieee_underflow 0
		.amdhsa_exception_fp_ieee_inexact 0
		.amdhsa_exception_int_div_zero 0
	.end_amdhsa_kernel
	.section	.text._ZN9rocsparseL44csr2gebsr_wavefront_per_row_multipass_kernelILi256ELi16ELi2ELi32EdEEv20rocsparse_direction_iiiiii21rocsparse_index_base_PKT3_PKiS7_S2_PS3_PiS9_,"axG",@progbits,_ZN9rocsparseL44csr2gebsr_wavefront_per_row_multipass_kernelILi256ELi16ELi2ELi32EdEEv20rocsparse_direction_iiiiii21rocsparse_index_base_PKT3_PKiS7_S2_PS3_PiS9_,comdat
.Lfunc_end99:
	.size	_ZN9rocsparseL44csr2gebsr_wavefront_per_row_multipass_kernelILi256ELi16ELi2ELi32EdEEv20rocsparse_direction_iiiiii21rocsparse_index_base_PKT3_PKiS7_S2_PS3_PiS9_, .Lfunc_end99-_ZN9rocsparseL44csr2gebsr_wavefront_per_row_multipass_kernelILi256ELi16ELi2ELi32EdEEv20rocsparse_direction_iiiiii21rocsparse_index_base_PKT3_PKiS7_S2_PS3_PiS9_
                                        ; -- End function
	.section	.AMDGPU.csdata,"",@progbits
; Kernel info:
; codeLenInByte = 1160
; NumSgprs: 32
; NumVgprs: 30
; NumAgprs: 0
; TotalNumVgprs: 30
; ScratchSize: 0
; MemoryBound: 0
; FloatMode: 240
; IeeeMode: 1
; LDSByteSize: 2056 bytes/workgroup (compile time only)
; SGPRBlocks: 3
; VGPRBlocks: 3
; NumSGPRsForWavesPerEU: 32
; NumVGPRsForWavesPerEU: 30
; AccumOffset: 32
; Occupancy: 8
; WaveLimiterHint : 0
; COMPUTE_PGM_RSRC2:SCRATCH_EN: 0
; COMPUTE_PGM_RSRC2:USER_SGPR: 2
; COMPUTE_PGM_RSRC2:TRAP_HANDLER: 0
; COMPUTE_PGM_RSRC2:TGID_X_EN: 1
; COMPUTE_PGM_RSRC2:TGID_Y_EN: 0
; COMPUTE_PGM_RSRC2:TGID_Z_EN: 0
; COMPUTE_PGM_RSRC2:TIDIG_COMP_CNT: 0
; COMPUTE_PGM_RSRC3_GFX90A:ACCUM_OFFSET: 7
; COMPUTE_PGM_RSRC3_GFX90A:TG_SPLIT: 0
	.section	.text._ZN9rocsparseL44csr2gebsr_wavefront_per_row_multipass_kernelILi256ELi16ELi4ELi64EdEEv20rocsparse_direction_iiiiii21rocsparse_index_base_PKT3_PKiS7_S2_PS3_PiS9_,"axG",@progbits,_ZN9rocsparseL44csr2gebsr_wavefront_per_row_multipass_kernelILi256ELi16ELi4ELi64EdEEv20rocsparse_direction_iiiiii21rocsparse_index_base_PKT3_PKiS7_S2_PS3_PiS9_,comdat
	.globl	_ZN9rocsparseL44csr2gebsr_wavefront_per_row_multipass_kernelILi256ELi16ELi4ELi64EdEEv20rocsparse_direction_iiiiii21rocsparse_index_base_PKT3_PKiS7_S2_PS3_PiS9_ ; -- Begin function _ZN9rocsparseL44csr2gebsr_wavefront_per_row_multipass_kernelILi256ELi16ELi4ELi64EdEEv20rocsparse_direction_iiiiii21rocsparse_index_base_PKT3_PKiS7_S2_PS3_PiS9_
	.p2align	8
	.type	_ZN9rocsparseL44csr2gebsr_wavefront_per_row_multipass_kernelILi256ELi16ELi4ELi64EdEEv20rocsparse_direction_iiiiii21rocsparse_index_base_PKT3_PKiS7_S2_PS3_PiS9_,@function
_ZN9rocsparseL44csr2gebsr_wavefront_per_row_multipass_kernelILi256ELi16ELi4ELi64EdEEv20rocsparse_direction_iiiiii21rocsparse_index_base_PKT3_PKiS7_S2_PS3_PiS9_: ; @_ZN9rocsparseL44csr2gebsr_wavefront_per_row_multipass_kernelILi256ELi16ELi4ELi64EdEEv20rocsparse_direction_iiiiii21rocsparse_index_base_PKT3_PKiS7_S2_PS3_PiS9_
; %bb.0:
	s_load_dwordx2 s[14:15], s[0:1], 0x0
	s_load_dwordx4 s[4:7], s[0:1], 0xc
	s_load_dword s20, s[0:1], 0x1c
	s_load_dwordx2 s[8:9], s[0:1], 0x28
	v_lshrrev_b32_e32 v12, 6, v0
	v_bfe_u32 v6, v0, 2, 4
	v_lshl_or_b32 v4, s2, 2, v12
	s_waitcnt lgkmcnt(0)
	v_mad_u64_u32 v[2:3], s[2:3], v4, s6, v[6:7]
	v_cmp_gt_i32_e64 s[2:3], s15, v2
	v_cmp_gt_i32_e32 vcc, s6, v6
	s_and_b64 s[2:3], vcc, s[2:3]
	v_mov_b32_e32 v13, 0
	v_mov_b32_e32 v8, 0
	s_and_saveexec_b64 s[10:11], s[2:3]
	s_cbranch_execz .LBB100_2
; %bb.1:
	v_ashrrev_i32_e32 v3, 31, v2
	v_lshl_add_u64 v[8:9], v[2:3], 2, s[8:9]
	global_load_dword v1, v[8:9], off
	s_waitcnt vmcnt(0)
	v_subrev_u32_e32 v8, s20, v1
.LBB100_2:
	s_or_b64 exec, exec, s[10:11]
	s_and_saveexec_b64 s[10:11], s[2:3]
	s_cbranch_execz .LBB100_4
; %bb.3:
	v_ashrrev_i32_e32 v3, 31, v2
	v_lshl_add_u64 v[2:3], v[2:3], 2, s[8:9]
	global_load_dword v1, v[2:3], off offset:4
	s_waitcnt vmcnt(0)
	v_subrev_u32_e32 v13, s20, v1
.LBB100_4:
	s_or_b64 exec, exec, s[10:11]
	s_load_dword s21, s[0:1], 0x38
	v_cmp_gt_i32_e64 s[2:3], s4, v4
	v_mov_b32_e32 v2, 0
	s_and_saveexec_b64 s[8:9], s[2:3]
	s_cbranch_execz .LBB100_6
; %bb.5:
	s_load_dwordx2 s[2:3], s[0:1], 0x48
	v_ashrrev_i32_e32 v5, 31, v4
	s_waitcnt lgkmcnt(0)
	v_lshl_add_u64 v[2:3], v[4:5], 2, s[2:3]
	global_load_dword v1, v[2:3], off
	s_waitcnt vmcnt(0)
	v_subrev_u32_e32 v2, s21, v1
.LBB100_6:
	s_or_b64 exec, exec, s[8:9]
	s_cmp_lt_i32 s5, 1
	s_cbranch_scc1 .LBB100_21
; %bb.7:
	v_and_b32_e32 v4, 3, v0
	s_load_dwordx2 s[2:3], s[0:1], 0x20
	s_load_dwordx2 s[8:9], s[0:1], 0x50
	;; [unrolled: 1-line block ×4, first 2 shown]
	v_cmp_gt_u32_e64 s[0:1], s7, v4
	s_and_b64 s[12:13], vcc, s[0:1]
	s_cmp_eq_u32 s14, 0
	s_cselect_b64 vcc, -1, 0
	s_abs_i32 s4, s7
	v_cvt_f32_u32_e32 v9, s4
	v_and_b32_e32 v0, 0xc0, v0
	v_lshl_or_b32 v14, v6, 2, v0
	v_mbcnt_lo_u32_b32 v0, -1, 0
	v_rcp_iflag_f32_e32 v9, v9
	v_mbcnt_hi_u32_b32 v0, -1, v0
	v_lshlrev_b32_e32 v3, 2, v0
	v_mov_b32_e32 v5, 0
	v_or_b32_e32 v15, 12, v3
	v_or_b32_e32 v0, v14, v4
	;; [unrolled: 1-line block ×3, first 2 shown]
	v_mul_f32_e32 v3, 0x4f7ffffe, v9
	v_lshlrev_b32_e32 v16, 3, v0
	v_mul_lo_u32 v0, v4, s6
	v_mov_b32_e32 v1, v5
	v_lshlrev_b32_e32 v10, 3, v6
	v_mul_lo_u32 v6, v6, s7
	v_cvt_u32_f32_e32 v3, v3
	s_waitcnt lgkmcnt(0)
	v_lshl_add_u64 v[0:1], v[0:1], 3, s[16:17]
	v_mov_b32_e32 v11, v5
	v_ashrrev_i32_e32 v7, 31, v6
	s_ashr_i32 s22, s7, 31
	v_lshl_add_u64 v[0:1], v[0:1], 0, v[10:11]
	v_lshl_add_u64 v[6:7], v[6:7], 3, s[16:17]
	v_lshlrev_b32_e32 v10, 3, v4
	s_mul_hi_u32 s0, s7, s6
	s_mul_i32 s1, s22, s6
	v_lshl_add_u64 v[6:7], v[6:7], 0, v[10:11]
	s_add_i32 s23, s0, s1
	s_sub_i32 s0, 0, s4
	v_cndmask_b32_e32 v0, v0, v6, vcc
	v_mul_lo_u32 v6, s0, v3
	v_mul_hi_u32 v6, v3, v6
	s_mul_i32 s6, s7, s6
	v_cndmask_b32_e32 v1, v1, v7, vcc
	v_add_u32_e32 v18, v3, v6
	s_mov_b64 s[14:15], 0
	v_mov_b32_e32 v6, v5
	v_mov_b32_e32 v7, v5
	v_mov_b32_e32 v19, 1
	v_mov_b32_e32 v3, v5
	s_branch .LBB100_10
.LBB100_8:                              ;   in Loop: Header=BB100_10 Depth=1
	s_or_b64 exec, exec, s[16:17]
	v_mov_b32_e32 v9, 1
.LBB100_9:                              ;   in Loop: Header=BB100_10 Depth=1
	s_or_b64 exec, exec, s[0:1]
	v_mov_b32_dpp v3, v20 row_shr:1 row_mask:0xf bank_mask:0xf
	v_min_i32_e32 v3, v3, v20
	v_add_u32_e32 v2, v9, v2
	s_waitcnt lgkmcnt(0)
	v_mov_b32_dpp v10, v3 row_shr:2 row_mask:0xf bank_mask:0xf
	v_min_i32_e32 v3, v10, v3
	s_nop 1
	v_mov_b32_dpp v10, v3 row_shr:4 row_mask:0xf bank_mask:0xe
	v_min_i32_e32 v3, v10, v3
	s_nop 1
	v_mov_b32_dpp v10, v3 row_shr:8 row_mask:0xf bank_mask:0xc
	v_min_i32_e32 v3, v10, v3
	s_nop 1
	v_mov_b32_dpp v10, v3 row_bcast:15 row_mask:0xa bank_mask:0xf
	v_min_i32_e32 v3, v10, v3
	s_nop 1
	v_mov_b32_dpp v10, v3 row_bcast:31 row_mask:0xc bank_mask:0xf
	v_min_i32_e32 v3, v10, v3
	ds_bpermute_b32 v3, v17, v3
	s_waitcnt lgkmcnt(0)
	v_cmp_le_i32_e32 vcc, s5, v3
	s_or_b64 s[14:15], vcc, s[14:15]
	s_andn2_b64 exec, exec, s[14:15]
	s_cbranch_execz .LBB100_21
.LBB100_10:                             ; =>This Loop Header: Depth=1
                                        ;     Child Loop BB100_13 Depth 2
	v_add_u32_e32 v21, v8, v4
	v_cmp_lt_i32_e32 vcc, v21, v13
	v_mov_b32_e32 v20, s5
	v_mov_b32_e32 v23, v13
	ds_write_b8 v12, v5 offset:2048
	ds_write_b64 v16, v[6:7]
	s_waitcnt lgkmcnt(0)
	s_and_saveexec_b64 s[16:17], vcc
	s_cbranch_execz .LBB100_18
; %bb.11:                               ;   in Loop: Header=BB100_10 Depth=1
	v_ashrrev_i32_e32 v9, 31, v8
	v_lshl_add_u64 v[10:11], v[4:5], 0, v[8:9]
	v_mul_lo_u32 v22, v3, s7
	v_lshl_add_u64 v[8:9], v[10:11], 2, s[10:11]
	v_lshl_add_u64 v[10:11], v[10:11], 3, s[2:3]
	s_mov_b64 s[18:19], 0
	v_mov_b32_e32 v20, s5
	v_mov_b32_e32 v23, v13
	s_branch .LBB100_13
.LBB100_12:                             ;   in Loop: Header=BB100_13 Depth=2
	s_or_b64 exec, exec, s[0:1]
	v_add_u32_e32 v21, 4, v21
	v_cmp_ge_i32_e64 s[0:1], v21, v13
	s_xor_b64 s[24:25], vcc, -1
	s_or_b64 s[0:1], s[24:25], s[0:1]
	s_and_b64 s[0:1], exec, s[0:1]
	v_lshl_add_u64 v[8:9], v[8:9], 0, 16
	s_or_b64 s[18:19], s[0:1], s[18:19]
	v_lshl_add_u64 v[10:11], v[10:11], 0, 32
	s_andn2_b64 exec, exec, s[18:19]
	s_cbranch_execz .LBB100_17
.LBB100_13:                             ;   Parent Loop BB100_10 Depth=1
                                        ; =>  This Inner Loop Header: Depth=2
	global_load_dword v24, v[8:9], off
	s_waitcnt vmcnt(0)
	v_subrev_u32_e32 v24, s20, v24
	v_sub_u32_e32 v26, 0, v24
	v_max_i32_e32 v26, v24, v26
	v_mul_hi_u32 v27, v26, v18
	v_mul_lo_u32 v28, v27, s4
	v_sub_u32_e32 v26, v26, v28
	v_add_u32_e32 v29, 1, v27
	v_cmp_le_u32_e32 vcc, s4, v26
	v_subrev_u32_e32 v28, s4, v26
	v_ashrrev_i32_e32 v25, 31, v24
	v_cndmask_b32_e32 v27, v27, v29, vcc
	v_cndmask_b32_e32 v26, v26, v28, vcc
	v_add_u32_e32 v28, 1, v27
	v_cmp_le_u32_e32 vcc, s4, v26
	v_xor_b32_e32 v25, s22, v25
	s_nop 0
	v_cndmask_b32_e32 v26, v27, v28, vcc
	v_xor_b32_e32 v26, v26, v25
	v_sub_u32_e32 v26, v26, v25
	v_cmp_eq_u32_e32 vcc, v26, v3
	v_cmp_ne_u32_e64 s[0:1], v26, v3
	v_mov_b32_e32 v25, v23
	s_and_saveexec_b64 s[24:25], s[0:1]
	s_xor_b64 s[0:1], exec, s[24:25]
; %bb.14:                               ;   in Loop: Header=BB100_13 Depth=2
	v_min_i32_e32 v20, v26, v20
                                        ; implicit-def: $vgpr24
                                        ; implicit-def: $vgpr25
; %bb.15:                               ;   in Loop: Header=BB100_13 Depth=2
	s_or_saveexec_b64 s[0:1], s[0:1]
	v_mov_b32_e32 v23, v21
	s_xor_b64 exec, exec, s[0:1]
	s_cbranch_execz .LBB100_12
; %bb.16:                               ;   in Loop: Header=BB100_13 Depth=2
	global_load_dwordx2 v[26:27], v[10:11], off
	v_sub_u32_e32 v23, v24, v22
	v_add_lshl_u32 v23, v14, v23, 3
	ds_write_b8 v12, v19 offset:2048
	s_waitcnt vmcnt(0)
	ds_write_b64 v23, v[26:27]
	v_mov_b32_e32 v23, v25
	s_branch .LBB100_12
.LBB100_17:                             ;   in Loop: Header=BB100_10 Depth=1
	s_or_b64 exec, exec, s[18:19]
.LBB100_18:                             ;   in Loop: Header=BB100_10 Depth=1
	s_or_b64 exec, exec, s[16:17]
	v_mov_b32_dpp v8, v23 row_shr:1 row_mask:0xf bank_mask:0xf
	v_min_i32_e32 v8, v8, v23
	s_waitcnt lgkmcnt(0)
	ds_read_u8 v9, v12 offset:2048
	v_mov_b32_dpp v10, v8 row_shr:2 row_mask:0xf bank_mask:0xf
	v_min_i32_e32 v8, v10, v8
	ds_bpermute_b32 v8, v15, v8
	s_waitcnt lgkmcnt(1)
	v_and_b32_e32 v9, 1, v9
	v_cmp_eq_u32_e32 vcc, 1, v9
	v_mov_b32_e32 v9, 0
	s_and_saveexec_b64 s[0:1], vcc
	s_cbranch_execz .LBB100_9
; %bb.19:                               ;   in Loop: Header=BB100_10 Depth=1
	v_add_u32_e32 v9, s21, v3
	v_ashrrev_i32_e32 v3, 31, v2
	v_lshl_add_u64 v[10:11], v[2:3], 2, s[8:9]
	global_store_dword v[10:11], v9, off
	s_and_saveexec_b64 s[16:17], s[12:13]
	s_cbranch_execz .LBB100_8
; %bb.20:                               ;   in Loop: Header=BB100_10 Depth=1
	ds_read_b64 v[10:11], v16
	v_mul_lo_u32 v9, s23, v2
	v_mul_lo_u32 v3, s6, v3
	v_mad_u64_u32 v[22:23], s[18:19], s6, v2, 0
	v_add3_u32 v23, v23, v3, v9
	v_lshl_add_u64 v[22:23], v[22:23], 3, v[0:1]
	s_waitcnt lgkmcnt(0)
	global_store_dwordx2 v[22:23], v[10:11], off
	s_branch .LBB100_8
.LBB100_21:
	s_endpgm
	.section	.rodata,"a",@progbits
	.p2align	6, 0x0
	.amdhsa_kernel _ZN9rocsparseL44csr2gebsr_wavefront_per_row_multipass_kernelILi256ELi16ELi4ELi64EdEEv20rocsparse_direction_iiiiii21rocsparse_index_base_PKT3_PKiS7_S2_PS3_PiS9_
		.amdhsa_group_segment_fixed_size 2056
		.amdhsa_private_segment_fixed_size 0
		.amdhsa_kernarg_size 88
		.amdhsa_user_sgpr_count 2
		.amdhsa_user_sgpr_dispatch_ptr 0
		.amdhsa_user_sgpr_queue_ptr 0
		.amdhsa_user_sgpr_kernarg_segment_ptr 1
		.amdhsa_user_sgpr_dispatch_id 0
		.amdhsa_user_sgpr_kernarg_preload_length 0
		.amdhsa_user_sgpr_kernarg_preload_offset 0
		.amdhsa_user_sgpr_private_segment_size 0
		.amdhsa_uses_dynamic_stack 0
		.amdhsa_enable_private_segment 0
		.amdhsa_system_sgpr_workgroup_id_x 1
		.amdhsa_system_sgpr_workgroup_id_y 0
		.amdhsa_system_sgpr_workgroup_id_z 0
		.amdhsa_system_sgpr_workgroup_info 0
		.amdhsa_system_vgpr_workitem_id 0
		.amdhsa_next_free_vgpr 30
		.amdhsa_next_free_sgpr 26
		.amdhsa_accum_offset 32
		.amdhsa_reserve_vcc 1
		.amdhsa_float_round_mode_32 0
		.amdhsa_float_round_mode_16_64 0
		.amdhsa_float_denorm_mode_32 3
		.amdhsa_float_denorm_mode_16_64 3
		.amdhsa_dx10_clamp 1
		.amdhsa_ieee_mode 1
		.amdhsa_fp16_overflow 0
		.amdhsa_tg_split 0
		.amdhsa_exception_fp_ieee_invalid_op 0
		.amdhsa_exception_fp_denorm_src 0
		.amdhsa_exception_fp_ieee_div_zero 0
		.amdhsa_exception_fp_ieee_overflow 0
		.amdhsa_exception_fp_ieee_underflow 0
		.amdhsa_exception_fp_ieee_inexact 0
		.amdhsa_exception_int_div_zero 0
	.end_amdhsa_kernel
	.section	.text._ZN9rocsparseL44csr2gebsr_wavefront_per_row_multipass_kernelILi256ELi16ELi4ELi64EdEEv20rocsparse_direction_iiiiii21rocsparse_index_base_PKT3_PKiS7_S2_PS3_PiS9_,"axG",@progbits,_ZN9rocsparseL44csr2gebsr_wavefront_per_row_multipass_kernelILi256ELi16ELi4ELi64EdEEv20rocsparse_direction_iiiiii21rocsparse_index_base_PKT3_PKiS7_S2_PS3_PiS9_,comdat
.Lfunc_end100:
	.size	_ZN9rocsparseL44csr2gebsr_wavefront_per_row_multipass_kernelILi256ELi16ELi4ELi64EdEEv20rocsparse_direction_iiiiii21rocsparse_index_base_PKT3_PKiS7_S2_PS3_PiS9_, .Lfunc_end100-_ZN9rocsparseL44csr2gebsr_wavefront_per_row_multipass_kernelILi256ELi16ELi4ELi64EdEEv20rocsparse_direction_iiiiii21rocsparse_index_base_PKT3_PKiS7_S2_PS3_PiS9_
                                        ; -- End function
	.section	.AMDGPU.csdata,"",@progbits
; Kernel info:
; codeLenInByte = 1188
; NumSgprs: 32
; NumVgprs: 30
; NumAgprs: 0
; TotalNumVgprs: 30
; ScratchSize: 0
; MemoryBound: 0
; FloatMode: 240
; IeeeMode: 1
; LDSByteSize: 2056 bytes/workgroup (compile time only)
; SGPRBlocks: 3
; VGPRBlocks: 3
; NumSGPRsForWavesPerEU: 32
; NumVGPRsForWavesPerEU: 30
; AccumOffset: 32
; Occupancy: 8
; WaveLimiterHint : 0
; COMPUTE_PGM_RSRC2:SCRATCH_EN: 0
; COMPUTE_PGM_RSRC2:USER_SGPR: 2
; COMPUTE_PGM_RSRC2:TRAP_HANDLER: 0
; COMPUTE_PGM_RSRC2:TGID_X_EN: 1
; COMPUTE_PGM_RSRC2:TGID_Y_EN: 0
; COMPUTE_PGM_RSRC2:TGID_Z_EN: 0
; COMPUTE_PGM_RSRC2:TIDIG_COMP_CNT: 0
; COMPUTE_PGM_RSRC3_GFX90A:ACCUM_OFFSET: 7
; COMPUTE_PGM_RSRC3_GFX90A:TG_SPLIT: 0
	.section	.text._ZN9rocsparseL44csr2gebsr_wavefront_per_row_multipass_kernelILi256ELi16ELi4ELi32EdEEv20rocsparse_direction_iiiiii21rocsparse_index_base_PKT3_PKiS7_S2_PS3_PiS9_,"axG",@progbits,_ZN9rocsparseL44csr2gebsr_wavefront_per_row_multipass_kernelILi256ELi16ELi4ELi32EdEEv20rocsparse_direction_iiiiii21rocsparse_index_base_PKT3_PKiS7_S2_PS3_PiS9_,comdat
	.globl	_ZN9rocsparseL44csr2gebsr_wavefront_per_row_multipass_kernelILi256ELi16ELi4ELi32EdEEv20rocsparse_direction_iiiiii21rocsparse_index_base_PKT3_PKiS7_S2_PS3_PiS9_ ; -- Begin function _ZN9rocsparseL44csr2gebsr_wavefront_per_row_multipass_kernelILi256ELi16ELi4ELi32EdEEv20rocsparse_direction_iiiiii21rocsparse_index_base_PKT3_PKiS7_S2_PS3_PiS9_
	.p2align	8
	.type	_ZN9rocsparseL44csr2gebsr_wavefront_per_row_multipass_kernelILi256ELi16ELi4ELi32EdEEv20rocsparse_direction_iiiiii21rocsparse_index_base_PKT3_PKiS7_S2_PS3_PiS9_,@function
_ZN9rocsparseL44csr2gebsr_wavefront_per_row_multipass_kernelILi256ELi16ELi4ELi32EdEEv20rocsparse_direction_iiiiii21rocsparse_index_base_PKT3_PKiS7_S2_PS3_PiS9_: ; @_ZN9rocsparseL44csr2gebsr_wavefront_per_row_multipass_kernelILi256ELi16ELi4ELi32EdEEv20rocsparse_direction_iiiiii21rocsparse_index_base_PKT3_PKiS7_S2_PS3_PiS9_
; %bb.0:
	s_load_dwordx2 s[14:15], s[0:1], 0x0
	s_load_dwordx4 s[4:7], s[0:1], 0xc
	s_load_dword s24, s[0:1], 0x1c
	s_load_dwordx2 s[8:9], s[0:1], 0x28
	v_lshrrev_b32_e32 v18, 5, v0
	v_bfe_u32 v6, v0, 1, 4
	v_lshl_or_b32 v4, s2, 3, v18
	s_waitcnt lgkmcnt(0)
	v_mad_u64_u32 v[2:3], s[2:3], v4, s6, v[6:7]
	v_cmp_gt_i32_e64 s[2:3], s15, v2
	v_cmp_gt_i32_e32 vcc, s6, v6
	s_and_b64 s[2:3], vcc, s[2:3]
	v_mov_b32_e32 v19, 0
	v_mov_b32_e32 v16, 0
	s_and_saveexec_b64 s[10:11], s[2:3]
	s_cbranch_execz .LBB101_2
; %bb.1:
	v_ashrrev_i32_e32 v3, 31, v2
	v_lshl_add_u64 v[8:9], v[2:3], 2, s[8:9]
	global_load_dword v1, v[8:9], off
	s_waitcnt vmcnt(0)
	v_subrev_u32_e32 v16, s24, v1
.LBB101_2:
	s_or_b64 exec, exec, s[10:11]
	s_and_saveexec_b64 s[10:11], s[2:3]
	s_cbranch_execz .LBB101_4
; %bb.3:
	v_ashrrev_i32_e32 v3, 31, v2
	v_lshl_add_u64 v[2:3], v[2:3], 2, s[8:9]
	global_load_dword v1, v[2:3], off offset:4
	s_waitcnt vmcnt(0)
	v_subrev_u32_e32 v19, s24, v1
.LBB101_4:
	s_or_b64 exec, exec, s[10:11]
	s_load_dword s25, s[0:1], 0x38
	v_cmp_gt_i32_e64 s[2:3], s4, v4
	v_mov_b32_e32 v2, 0
	s_and_saveexec_b64 s[8:9], s[2:3]
	s_cbranch_execz .LBB101_6
; %bb.5:
	s_load_dwordx2 s[2:3], s[0:1], 0x48
	v_ashrrev_i32_e32 v5, 31, v4
	s_waitcnt lgkmcnt(0)
	v_lshl_add_u64 v[2:3], v[4:5], 2, s[2:3]
	global_load_dword v1, v[2:3], off
	s_waitcnt vmcnt(0)
	v_subrev_u32_e32 v2, s25, v1
.LBB101_6:
	s_or_b64 exec, exec, s[8:9]
	s_cmp_lt_i32 s5, 1
	s_cbranch_scc1 .LBB101_32
; %bb.7:
	v_and_b32_e32 v20, 1, v0
	v_lshlrev_b32_e32 v0, 6, v18
	v_lshl_or_b32 v21, v6, 2, v0
	v_mbcnt_lo_u32_b32 v0, -1, 0
	v_mbcnt_hi_u32_b32 v0, -1, v0
	s_cmp_lg_u32 s14, 0
	v_lshlrev_b32_e32 v3, 2, v0
	s_cselect_b64 s[14:15], -1, 0
	s_abs_i32 s28, s7
	v_or_b32_e32 v22, 4, v3
	v_or_b32_e32 v23, 0x7c, v3
	v_cvt_f32_u32_e32 v3, s28
	s_load_dwordx2 s[8:9], s[0:1], 0x20
	s_load_dwordx2 s[10:11], s[0:1], 0x50
	s_load_dwordx2 s[2:3], s[0:1], 0x40
	s_load_dwordx2 s[12:13], s[0:1], 0x30
	s_ashr_i32 s4, s7, 31
	s_mul_hi_u32 s0, s7, s6
	v_rcp_iflag_f32_e32 v3, v3
	s_mul_i32 s1, s4, s6
	s_add_i32 s26, s0, s1
	v_lshlrev_b32_e32 v0, 3, v6
	v_mul_f32_e32 v3, 0x4f7ffffe, v3
	v_cvt_u32_f32_e32 v3, v3
	v_mul_lo_u32 v6, v6, s7
	v_cmp_gt_u32_e64 s[0:1], s7, v20
	v_mov_b32_e32 v1, 0
	v_or_b32_e32 v8, v21, v20
	v_ashrrev_i32_e32 v7, 31, v6
	s_and_b64 s[16:17], s[0:1], vcc
	s_sub_i32 s0, 0, s28
	s_waitcnt lgkmcnt(0)
	v_lshl_add_u64 v[4:5], s[2:3], 0, v[0:1]
	v_lshl_add_u64 v[6:7], v[6:7], 3, s[2:3]
	v_lshlrev_b32_e32 v0, 3, v20
	v_lshlrev_b32_e32 v24, 3, v8
	v_or_b32_e32 v8, 2, v20
	v_mul_lo_u32 v10, s0, v3
	v_lshl_add_u64 v[6:7], v[6:7], 0, v[0:1]
	v_mul_lo_u32 v0, v20, s6
	v_cmp_gt_u32_e64 s[2:3], s7, v8
	v_mul_hi_u32 v10, v3, v10
	s_mul_i32 s27, s7, s6
	v_lshl_add_u32 v8, s6, 1, v0
	v_mov_b32_e32 v9, v1
	s_and_b64 s[2:3], vcc, s[2:3]
	v_add_u32_e32 v25, v3, v10
	v_or_b32_e32 v26, -2, v20
	s_mov_b64 s[18:19], 0
	v_mov_b32_e32 v10, v1
	v_mov_b32_e32 v11, v1
	;; [unrolled: 1-line block ×4, first 2 shown]
	s_branch .LBB101_11
.LBB101_8:                              ;   in Loop: Header=BB101_11 Depth=1
	v_mov_b32_e32 v17, s6
.LBB101_9:                              ;   in Loop: Header=BB101_11 Depth=1
	s_or_b64 exec, exec, s[20:21]
.LBB101_10:                             ;   in Loop: Header=BB101_11 Depth=1
	s_or_b64 exec, exec, s[0:1]
	v_mov_b32_dpp v3, v28 row_shr:1 row_mask:0xf bank_mask:0xf
	v_min_i32_e32 v3, v3, v28
	v_add_u32_e32 v2, v17, v2
	s_waitcnt lgkmcnt(0)
	v_mov_b32_dpp v12, v3 row_shr:2 row_mask:0xf bank_mask:0xf
	v_min_i32_e32 v3, v12, v3
	s_nop 1
	v_mov_b32_dpp v12, v3 row_shr:4 row_mask:0xf bank_mask:0xe
	v_min_i32_e32 v3, v12, v3
	s_nop 1
	;; [unrolled: 3-line block ×3, first 2 shown]
	v_mov_b32_dpp v12, v3 row_bcast:15 row_mask:0xa bank_mask:0xf
	v_min_i32_e32 v3, v12, v3
	ds_bpermute_b32 v3, v23, v3
	s_waitcnt lgkmcnt(0)
	v_cmp_le_i32_e32 vcc, s5, v3
	s_or_b64 s[18:19], vcc, s[18:19]
	s_andn2_b64 exec, exec, s[18:19]
	s_cbranch_execz .LBB101_32
.LBB101_11:                             ; =>This Loop Header: Depth=1
                                        ;     Child Loop BB101_12 Depth 2
                                        ;     Child Loop BB101_16 Depth 2
	s_mov_b64 s[0:1], 0
	v_mov_b32_e32 v12, v24
	v_mov_b32_e32 v13, v26
	ds_write_b8 v18, v1 offset:4096
.LBB101_12:                             ;   Parent Loop BB101_11 Depth=1
                                        ; =>  This Inner Loop Header: Depth=2
	v_add_co_u32_e32 v13, vcc, 2, v13
	s_xor_b64 s[20:21], vcc, -1
	s_and_b64 s[20:21], exec, s[20:21]
	ds_write_b64 v12, v[10:11]
	s_or_b64 s[0:1], s[20:21], s[0:1]
	v_add_u32_e32 v12, 16, v12
	s_andn2_b64 exec, exec, s[0:1]
	s_cbranch_execnz .LBB101_12
; %bb.13:                               ;   in Loop: Header=BB101_11 Depth=1
	s_or_b64 exec, exec, s[0:1]
	v_add_u32_e32 v12, v16, v20
	v_cmp_lt_i32_e32 vcc, v12, v19
	v_mov_b32_e32 v28, s5
	v_mov_b32_e32 v13, v19
	s_waitcnt lgkmcnt(0)
	s_and_saveexec_b64 s[20:21], vcc
	s_cbranch_execz .LBB101_21
; %bb.14:                               ;   in Loop: Header=BB101_11 Depth=1
	v_ashrrev_i32_e32 v13, 31, v12
	v_mul_lo_u32 v29, v3, s7
	v_lshl_add_u64 v[14:15], v[12:13], 2, s[12:13]
	v_lshl_add_u64 v[16:17], v[12:13], 3, s[8:9]
	s_mov_b64 s[22:23], 0
	v_mov_b32_e32 v28, s5
	v_mov_b32_e32 v13, v19
	s_branch .LBB101_16
.LBB101_15:                             ;   in Loop: Header=BB101_16 Depth=2
	s_or_b64 exec, exec, s[0:1]
	v_add_u32_e32 v12, 2, v12
	v_cmp_ge_i32_e64 s[0:1], v12, v19
	s_xor_b64 s[30:31], vcc, -1
	s_or_b64 s[0:1], s[30:31], s[0:1]
	s_and_b64 s[0:1], exec, s[0:1]
	v_lshl_add_u64 v[14:15], v[14:15], 0, 8
	s_or_b64 s[22:23], s[0:1], s[22:23]
	v_lshl_add_u64 v[16:17], v[16:17], 0, 16
	s_andn2_b64 exec, exec, s[22:23]
	s_cbranch_execz .LBB101_20
.LBB101_16:                             ;   Parent Loop BB101_11 Depth=1
                                        ; =>  This Inner Loop Header: Depth=2
	global_load_dword v30, v[14:15], off
	s_waitcnt vmcnt(0)
	v_subrev_u32_e32 v30, s24, v30
	v_sub_u32_e32 v32, 0, v30
	v_max_i32_e32 v32, v30, v32
	v_mul_hi_u32 v33, v32, v25
	v_mul_lo_u32 v34, v33, s28
	v_sub_u32_e32 v32, v32, v34
	v_add_u32_e32 v35, 1, v33
	v_cmp_le_u32_e32 vcc, s28, v32
	v_subrev_u32_e32 v34, s28, v32
	v_ashrrev_i32_e32 v31, 31, v30
	v_cndmask_b32_e32 v33, v33, v35, vcc
	v_cndmask_b32_e32 v32, v32, v34, vcc
	v_add_u32_e32 v34, 1, v33
	v_cmp_le_u32_e32 vcc, s28, v32
	v_xor_b32_e32 v31, s4, v31
	s_nop 0
	v_cndmask_b32_e32 v32, v33, v34, vcc
	v_xor_b32_e32 v32, v32, v31
	v_sub_u32_e32 v32, v32, v31
	v_cmp_eq_u32_e32 vcc, v32, v3
	v_cmp_ne_u32_e64 s[0:1], v32, v3
	v_mov_b32_e32 v31, v13
	s_and_saveexec_b64 s[30:31], s[0:1]
	s_xor_b64 s[0:1], exec, s[30:31]
; %bb.17:                               ;   in Loop: Header=BB101_16 Depth=2
	v_min_i32_e32 v28, v32, v28
                                        ; implicit-def: $vgpr30
                                        ; implicit-def: $vgpr31
; %bb.18:                               ;   in Loop: Header=BB101_16 Depth=2
	s_or_saveexec_b64 s[0:1], s[0:1]
	v_mov_b32_e32 v13, v12
	s_xor_b64 exec, exec, s[0:1]
	s_cbranch_execz .LBB101_15
; %bb.19:                               ;   in Loop: Header=BB101_16 Depth=2
	global_load_dwordx2 v[32:33], v[16:17], off
	v_sub_u32_e32 v13, v30, v29
	v_add_lshl_u32 v13, v21, v13, 3
	ds_write_b8 v18, v27 offset:4096
	s_waitcnt vmcnt(0)
	ds_write_b64 v13, v[32:33]
	v_mov_b32_e32 v13, v31
	s_branch .LBB101_15
.LBB101_20:                             ;   in Loop: Header=BB101_11 Depth=1
	s_or_b64 exec, exec, s[22:23]
.LBB101_21:                             ;   in Loop: Header=BB101_11 Depth=1
	s_or_b64 exec, exec, s[20:21]
	s_waitcnt lgkmcnt(0)
	ds_read_u8 v12, v18 offset:4096
	v_mov_b32_dpp v14, v13 row_shr:1 row_mask:0xf bank_mask:0xf
	v_min_i32_e32 v13, v14, v13
	ds_bpermute_b32 v16, v22, v13
	v_mov_b32_e32 v17, 0
	s_waitcnt lgkmcnt(1)
	v_and_b32_e32 v12, 1, v12
	v_cmp_eq_u32_e32 vcc, 1, v12
	s_and_saveexec_b64 s[0:1], vcc
	s_cbranch_execz .LBB101_10
; %bb.22:                               ;   in Loop: Header=BB101_11 Depth=1
	v_add_u32_e32 v14, s25, v3
	v_ashrrev_i32_e32 v3, 31, v2
	v_lshl_add_u64 v[12:13], v[2:3], 2, s[10:11]
	global_store_dword v[12:13], v14, off
	v_mul_lo_u32 v14, s26, v2
	v_mul_lo_u32 v3, s27, v3
	v_mad_u64_u32 v[12:13], s[20:21], s27, v2, 0
	v_add3_u32 v13, v13, v3, v14
	v_lshlrev_b64 v[12:13], 3, v[12:13]
	v_lshl_add_u64 v[14:15], v[4:5], 0, v[12:13]
	v_lshl_add_u64 v[12:13], v[6:7], 0, v[12:13]
	s_and_saveexec_b64 s[20:21], s[16:17]
	s_cbranch_execz .LBB101_26
; %bb.23:                               ;   in Loop: Header=BB101_11 Depth=1
	s_and_b64 vcc, exec, s[14:15]
	s_cbranch_vccz .LBB101_29
; %bb.24:                               ;   in Loop: Header=BB101_11 Depth=1
	ds_read_b64 v[30:31], v24
	v_lshl_add_u64 v[32:33], v[0:1], 3, v[14:15]
	s_waitcnt lgkmcnt(0)
	global_store_dwordx2 v[32:33], v[30:31], off
	s_cbranch_execnz .LBB101_26
.LBB101_25:                             ;   in Loop: Header=BB101_11 Depth=1
	ds_read_b64 v[30:31], v24
	s_waitcnt lgkmcnt(0)
	global_store_dwordx2 v[12:13], v[30:31], off
.LBB101_26:                             ;   in Loop: Header=BB101_11 Depth=1
	s_or_b64 exec, exec, s[20:21]
	v_mov_b32_e32 v17, 1
	s_and_saveexec_b64 s[20:21], s[2:3]
	s_cbranch_execz .LBB101_9
; %bb.27:                               ;   in Loop: Header=BB101_11 Depth=1
	s_andn2_b64 vcc, exec, s[14:15]
	s_cbranch_vccnz .LBB101_30
; %bb.28:                               ;   in Loop: Header=BB101_11 Depth=1
	ds_read_b64 v[30:31], v24 offset:16
	v_lshl_add_u64 v[14:15], v[8:9], 3, v[14:15]
	s_mov_b32 s6, 1
	s_waitcnt lgkmcnt(0)
	global_store_dwordx2 v[14:15], v[30:31], off
	s_cbranch_execnz .LBB101_8
	s_branch .LBB101_31
.LBB101_29:                             ;   in Loop: Header=BB101_11 Depth=1
	s_branch .LBB101_25
.LBB101_30:                             ;   in Loop: Header=BB101_11 Depth=1
                                        ; implicit-def: $sgpr6
.LBB101_31:                             ;   in Loop: Header=BB101_11 Depth=1
	ds_read_b64 v[14:15], v24 offset:16
	s_mov_b32 s6, 1
	s_waitcnt lgkmcnt(0)
	global_store_dwordx2 v[12:13], v[14:15], off offset:16
	s_branch .LBB101_8
.LBB101_32:
	s_endpgm
	.section	.rodata,"a",@progbits
	.p2align	6, 0x0
	.amdhsa_kernel _ZN9rocsparseL44csr2gebsr_wavefront_per_row_multipass_kernelILi256ELi16ELi4ELi32EdEEv20rocsparse_direction_iiiiii21rocsparse_index_base_PKT3_PKiS7_S2_PS3_PiS9_
		.amdhsa_group_segment_fixed_size 4104
		.amdhsa_private_segment_fixed_size 0
		.amdhsa_kernarg_size 88
		.amdhsa_user_sgpr_count 2
		.amdhsa_user_sgpr_dispatch_ptr 0
		.amdhsa_user_sgpr_queue_ptr 0
		.amdhsa_user_sgpr_kernarg_segment_ptr 1
		.amdhsa_user_sgpr_dispatch_id 0
		.amdhsa_user_sgpr_kernarg_preload_length 0
		.amdhsa_user_sgpr_kernarg_preload_offset 0
		.amdhsa_user_sgpr_private_segment_size 0
		.amdhsa_uses_dynamic_stack 0
		.amdhsa_enable_private_segment 0
		.amdhsa_system_sgpr_workgroup_id_x 1
		.amdhsa_system_sgpr_workgroup_id_y 0
		.amdhsa_system_sgpr_workgroup_id_z 0
		.amdhsa_system_sgpr_workgroup_info 0
		.amdhsa_system_vgpr_workitem_id 0
		.amdhsa_next_free_vgpr 36
		.amdhsa_next_free_sgpr 32
		.amdhsa_accum_offset 36
		.amdhsa_reserve_vcc 1
		.amdhsa_float_round_mode_32 0
		.amdhsa_float_round_mode_16_64 0
		.amdhsa_float_denorm_mode_32 3
		.amdhsa_float_denorm_mode_16_64 3
		.amdhsa_dx10_clamp 1
		.amdhsa_ieee_mode 1
		.amdhsa_fp16_overflow 0
		.amdhsa_tg_split 0
		.amdhsa_exception_fp_ieee_invalid_op 0
		.amdhsa_exception_fp_denorm_src 0
		.amdhsa_exception_fp_ieee_div_zero 0
		.amdhsa_exception_fp_ieee_overflow 0
		.amdhsa_exception_fp_ieee_underflow 0
		.amdhsa_exception_fp_ieee_inexact 0
		.amdhsa_exception_int_div_zero 0
	.end_amdhsa_kernel
	.section	.text._ZN9rocsparseL44csr2gebsr_wavefront_per_row_multipass_kernelILi256ELi16ELi4ELi32EdEEv20rocsparse_direction_iiiiii21rocsparse_index_base_PKT3_PKiS7_S2_PS3_PiS9_,"axG",@progbits,_ZN9rocsparseL44csr2gebsr_wavefront_per_row_multipass_kernelILi256ELi16ELi4ELi32EdEEv20rocsparse_direction_iiiiii21rocsparse_index_base_PKT3_PKiS7_S2_PS3_PiS9_,comdat
.Lfunc_end101:
	.size	_ZN9rocsparseL44csr2gebsr_wavefront_per_row_multipass_kernelILi256ELi16ELi4ELi32EdEEv20rocsparse_direction_iiiiii21rocsparse_index_base_PKT3_PKiS7_S2_PS3_PiS9_, .Lfunc_end101-_ZN9rocsparseL44csr2gebsr_wavefront_per_row_multipass_kernelILi256ELi16ELi4ELi32EdEEv20rocsparse_direction_iiiiii21rocsparse_index_base_PKT3_PKiS7_S2_PS3_PiS9_
                                        ; -- End function
	.section	.AMDGPU.csdata,"",@progbits
; Kernel info:
; codeLenInByte = 1348
; NumSgprs: 38
; NumVgprs: 36
; NumAgprs: 0
; TotalNumVgprs: 36
; ScratchSize: 0
; MemoryBound: 0
; FloatMode: 240
; IeeeMode: 1
; LDSByteSize: 4104 bytes/workgroup (compile time only)
; SGPRBlocks: 4
; VGPRBlocks: 4
; NumSGPRsForWavesPerEU: 38
; NumVGPRsForWavesPerEU: 36
; AccumOffset: 36
; Occupancy: 8
; WaveLimiterHint : 0
; COMPUTE_PGM_RSRC2:SCRATCH_EN: 0
; COMPUTE_PGM_RSRC2:USER_SGPR: 2
; COMPUTE_PGM_RSRC2:TRAP_HANDLER: 0
; COMPUTE_PGM_RSRC2:TGID_X_EN: 1
; COMPUTE_PGM_RSRC2:TGID_Y_EN: 0
; COMPUTE_PGM_RSRC2:TGID_Z_EN: 0
; COMPUTE_PGM_RSRC2:TIDIG_COMP_CNT: 0
; COMPUTE_PGM_RSRC3_GFX90A:ACCUM_OFFSET: 8
; COMPUTE_PGM_RSRC3_GFX90A:TG_SPLIT: 0
	.section	.text._ZN9rocsparseL44csr2gebsr_wavefront_per_row_multipass_kernelILi256ELi16ELi8ELi64EdEEv20rocsparse_direction_iiiiii21rocsparse_index_base_PKT3_PKiS7_S2_PS3_PiS9_,"axG",@progbits,_ZN9rocsparseL44csr2gebsr_wavefront_per_row_multipass_kernelILi256ELi16ELi8ELi64EdEEv20rocsparse_direction_iiiiii21rocsparse_index_base_PKT3_PKiS7_S2_PS3_PiS9_,comdat
	.globl	_ZN9rocsparseL44csr2gebsr_wavefront_per_row_multipass_kernelILi256ELi16ELi8ELi64EdEEv20rocsparse_direction_iiiiii21rocsparse_index_base_PKT3_PKiS7_S2_PS3_PiS9_ ; -- Begin function _ZN9rocsparseL44csr2gebsr_wavefront_per_row_multipass_kernelILi256ELi16ELi8ELi64EdEEv20rocsparse_direction_iiiiii21rocsparse_index_base_PKT3_PKiS7_S2_PS3_PiS9_
	.p2align	8
	.type	_ZN9rocsparseL44csr2gebsr_wavefront_per_row_multipass_kernelILi256ELi16ELi8ELi64EdEEv20rocsparse_direction_iiiiii21rocsparse_index_base_PKT3_PKiS7_S2_PS3_PiS9_,@function
_ZN9rocsparseL44csr2gebsr_wavefront_per_row_multipass_kernelILi256ELi16ELi8ELi64EdEEv20rocsparse_direction_iiiiii21rocsparse_index_base_PKT3_PKiS7_S2_PS3_PiS9_: ; @_ZN9rocsparseL44csr2gebsr_wavefront_per_row_multipass_kernelILi256ELi16ELi8ELi64EdEEv20rocsparse_direction_iiiiii21rocsparse_index_base_PKT3_PKiS7_S2_PS3_PiS9_
; %bb.0:
	s_load_dwordx2 s[14:15], s[0:1], 0x0
	s_load_dwordx4 s[4:7], s[0:1], 0xc
	s_load_dword s24, s[0:1], 0x1c
	s_load_dwordx2 s[8:9], s[0:1], 0x28
	v_lshrrev_b32_e32 v18, 6, v0
	v_bfe_u32 v6, v0, 2, 4
	v_lshl_or_b32 v4, s2, 2, v18
	s_waitcnt lgkmcnt(0)
	v_mad_u64_u32 v[2:3], s[2:3], v4, s6, v[6:7]
	v_cmp_gt_i32_e64 s[2:3], s15, v2
	v_cmp_gt_i32_e32 vcc, s6, v6
	s_and_b64 s[2:3], vcc, s[2:3]
	v_mov_b32_e32 v19, 0
	v_mov_b32_e32 v16, 0
	s_and_saveexec_b64 s[10:11], s[2:3]
	s_cbranch_execz .LBB102_2
; %bb.1:
	v_ashrrev_i32_e32 v3, 31, v2
	v_lshl_add_u64 v[8:9], v[2:3], 2, s[8:9]
	global_load_dword v1, v[8:9], off
	s_waitcnt vmcnt(0)
	v_subrev_u32_e32 v16, s24, v1
.LBB102_2:
	s_or_b64 exec, exec, s[10:11]
	s_and_saveexec_b64 s[10:11], s[2:3]
	s_cbranch_execz .LBB102_4
; %bb.3:
	v_ashrrev_i32_e32 v3, 31, v2
	v_lshl_add_u64 v[2:3], v[2:3], 2, s[8:9]
	global_load_dword v1, v[2:3], off offset:4
	s_waitcnt vmcnt(0)
	v_subrev_u32_e32 v19, s24, v1
.LBB102_4:
	s_or_b64 exec, exec, s[10:11]
	s_load_dword s25, s[0:1], 0x38
	v_cmp_gt_i32_e64 s[2:3], s4, v4
	v_mov_b32_e32 v2, 0
	s_and_saveexec_b64 s[8:9], s[2:3]
	s_cbranch_execz .LBB102_6
; %bb.5:
	s_load_dwordx2 s[2:3], s[0:1], 0x48
	v_ashrrev_i32_e32 v5, 31, v4
	s_waitcnt lgkmcnt(0)
	v_lshl_add_u64 v[2:3], v[4:5], 2, s[2:3]
	global_load_dword v1, v[2:3], off
	s_waitcnt vmcnt(0)
	v_subrev_u32_e32 v2, s25, v1
.LBB102_6:
	s_or_b64 exec, exec, s[8:9]
	s_cmp_lt_i32 s5, 1
	s_cbranch_scc1 .LBB102_32
; %bb.7:
	v_mbcnt_lo_u32_b32 v3, -1, 0
	v_mbcnt_hi_u32_b32 v3, -1, v3
	s_cmp_lg_u32 s14, 0
	v_lshlrev_b32_e32 v3, 2, v3
	s_cselect_b64 s[14:15], -1, 0
	s_abs_i32 s28, s7
	v_or_b32_e32 v22, 12, v3
	v_or_b32_e32 v23, 0xfc, v3
	v_cvt_f32_u32_e32 v3, s28
	s_load_dwordx2 s[8:9], s[0:1], 0x20
	s_load_dwordx2 s[10:11], s[0:1], 0x50
	;; [unrolled: 1-line block ×4, first 2 shown]
	s_ashr_i32 s4, s7, 31
	v_and_b32_e32 v20, 3, v0
	v_rcp_iflag_f32_e32 v3, v3
	v_lshlrev_b32_e32 v0, 3, v6
	s_mul_hi_u32 s0, s7, s6
	s_mul_i32 s1, s4, s6
	v_mul_f32_e32 v3, 0x4f7ffffe, v3
	v_cvt_u32_f32_e32 v3, v3
	v_lshl_or_b32 v21, v18, 7, v0
	s_add_i32 s26, s0, s1
	v_mul_lo_u32 v6, v6, s7
	v_cmp_gt_u32_e64 s[0:1], s7, v20
	v_mov_b32_e32 v1, 0
	v_or_b32_e32 v8, v21, v20
	v_ashrrev_i32_e32 v7, 31, v6
	s_and_b64 s[16:17], s[0:1], vcc
	s_sub_i32 s0, 0, s28
	s_waitcnt lgkmcnt(0)
	v_lshl_add_u64 v[4:5], s[2:3], 0, v[0:1]
	v_lshl_add_u64 v[6:7], v[6:7], 3, s[2:3]
	v_lshlrev_b32_e32 v0, 3, v20
	v_lshlrev_b32_e32 v24, 3, v8
	v_or_b32_e32 v8, 4, v20
	v_mul_lo_u32 v10, s0, v3
	v_lshl_add_u64 v[6:7], v[6:7], 0, v[0:1]
	v_mul_lo_u32 v0, v20, s6
	v_cmp_gt_u32_e64 s[2:3], s7, v8
	v_mul_hi_u32 v10, v3, v10
	s_mul_i32 s27, s7, s6
	v_lshl_add_u32 v8, s6, 2, v0
	v_mov_b32_e32 v9, v1
	s_and_b64 s[2:3], vcc, s[2:3]
	v_add_u32_e32 v25, v3, v10
	v_or_b32_e32 v26, -4, v20
	s_mov_b64 s[18:19], 0
	v_mov_b32_e32 v10, v1
	v_mov_b32_e32 v11, v1
	v_mov_b32_e32 v27, 1
	v_mov_b32_e32 v3, v1
	s_branch .LBB102_11
.LBB102_8:                              ;   in Loop: Header=BB102_11 Depth=1
	v_mov_b32_e32 v17, s6
.LBB102_9:                              ;   in Loop: Header=BB102_11 Depth=1
	s_or_b64 exec, exec, s[20:21]
.LBB102_10:                             ;   in Loop: Header=BB102_11 Depth=1
	s_or_b64 exec, exec, s[0:1]
	v_mov_b32_dpp v3, v28 row_shr:1 row_mask:0xf bank_mask:0xf
	v_min_i32_e32 v3, v3, v28
	v_add_u32_e32 v2, v17, v2
	s_waitcnt lgkmcnt(0)
	v_mov_b32_dpp v12, v3 row_shr:2 row_mask:0xf bank_mask:0xf
	v_min_i32_e32 v3, v12, v3
	s_nop 1
	v_mov_b32_dpp v12, v3 row_shr:4 row_mask:0xf bank_mask:0xe
	v_min_i32_e32 v3, v12, v3
	s_nop 1
	;; [unrolled: 3-line block ×3, first 2 shown]
	v_mov_b32_dpp v12, v3 row_bcast:15 row_mask:0xa bank_mask:0xf
	v_min_i32_e32 v3, v12, v3
	s_nop 1
	v_mov_b32_dpp v12, v3 row_bcast:31 row_mask:0xc bank_mask:0xf
	v_min_i32_e32 v3, v12, v3
	ds_bpermute_b32 v3, v23, v3
	s_waitcnt lgkmcnt(0)
	v_cmp_le_i32_e32 vcc, s5, v3
	s_or_b64 s[18:19], vcc, s[18:19]
	s_andn2_b64 exec, exec, s[18:19]
	s_cbranch_execz .LBB102_32
.LBB102_11:                             ; =>This Loop Header: Depth=1
                                        ;     Child Loop BB102_12 Depth 2
                                        ;     Child Loop BB102_16 Depth 2
	s_mov_b64 s[0:1], 0
	v_mov_b32_e32 v12, v24
	v_mov_b32_e32 v13, v26
	ds_write_b8 v18, v1 offset:4096
.LBB102_12:                             ;   Parent Loop BB102_11 Depth=1
                                        ; =>  This Inner Loop Header: Depth=2
	v_add_co_u32_e32 v13, vcc, 4, v13
	s_xor_b64 s[20:21], vcc, -1
	s_and_b64 s[20:21], exec, s[20:21]
	ds_write_b64 v12, v[10:11]
	s_or_b64 s[0:1], s[20:21], s[0:1]
	v_add_u32_e32 v12, 32, v12
	s_andn2_b64 exec, exec, s[0:1]
	s_cbranch_execnz .LBB102_12
; %bb.13:                               ;   in Loop: Header=BB102_11 Depth=1
	s_or_b64 exec, exec, s[0:1]
	v_add_u32_e32 v12, v16, v20
	v_cmp_lt_i32_e32 vcc, v12, v19
	v_mov_b32_e32 v28, s5
	v_mov_b32_e32 v13, v19
	s_waitcnt lgkmcnt(0)
	s_and_saveexec_b64 s[20:21], vcc
	s_cbranch_execz .LBB102_21
; %bb.14:                               ;   in Loop: Header=BB102_11 Depth=1
	v_ashrrev_i32_e32 v13, 31, v12
	v_mul_lo_u32 v29, v3, s7
	v_lshl_add_u64 v[14:15], v[12:13], 2, s[12:13]
	v_lshl_add_u64 v[16:17], v[12:13], 3, s[8:9]
	s_mov_b64 s[22:23], 0
	v_mov_b32_e32 v28, s5
	v_mov_b32_e32 v13, v19
	s_branch .LBB102_16
.LBB102_15:                             ;   in Loop: Header=BB102_16 Depth=2
	s_or_b64 exec, exec, s[0:1]
	v_add_u32_e32 v12, 4, v12
	v_cmp_ge_i32_e64 s[0:1], v12, v19
	s_xor_b64 s[30:31], vcc, -1
	s_or_b64 s[0:1], s[30:31], s[0:1]
	s_and_b64 s[0:1], exec, s[0:1]
	v_lshl_add_u64 v[14:15], v[14:15], 0, 16
	s_or_b64 s[22:23], s[0:1], s[22:23]
	v_lshl_add_u64 v[16:17], v[16:17], 0, 32
	s_andn2_b64 exec, exec, s[22:23]
	s_cbranch_execz .LBB102_20
.LBB102_16:                             ;   Parent Loop BB102_11 Depth=1
                                        ; =>  This Inner Loop Header: Depth=2
	global_load_dword v30, v[14:15], off
	s_waitcnt vmcnt(0)
	v_subrev_u32_e32 v30, s24, v30
	v_sub_u32_e32 v32, 0, v30
	v_max_i32_e32 v32, v30, v32
	v_mul_hi_u32 v33, v32, v25
	v_mul_lo_u32 v34, v33, s28
	v_sub_u32_e32 v32, v32, v34
	v_add_u32_e32 v35, 1, v33
	v_cmp_le_u32_e32 vcc, s28, v32
	v_subrev_u32_e32 v34, s28, v32
	v_ashrrev_i32_e32 v31, 31, v30
	v_cndmask_b32_e32 v33, v33, v35, vcc
	v_cndmask_b32_e32 v32, v32, v34, vcc
	v_add_u32_e32 v34, 1, v33
	v_cmp_le_u32_e32 vcc, s28, v32
	v_xor_b32_e32 v31, s4, v31
	s_nop 0
	v_cndmask_b32_e32 v32, v33, v34, vcc
	v_xor_b32_e32 v32, v32, v31
	v_sub_u32_e32 v32, v32, v31
	v_cmp_eq_u32_e32 vcc, v32, v3
	v_cmp_ne_u32_e64 s[0:1], v32, v3
	v_mov_b32_e32 v31, v13
	s_and_saveexec_b64 s[30:31], s[0:1]
	s_xor_b64 s[0:1], exec, s[30:31]
; %bb.17:                               ;   in Loop: Header=BB102_16 Depth=2
	v_min_i32_e32 v28, v32, v28
                                        ; implicit-def: $vgpr30
                                        ; implicit-def: $vgpr31
; %bb.18:                               ;   in Loop: Header=BB102_16 Depth=2
	s_or_saveexec_b64 s[0:1], s[0:1]
	v_mov_b32_e32 v13, v12
	s_xor_b64 exec, exec, s[0:1]
	s_cbranch_execz .LBB102_15
; %bb.19:                               ;   in Loop: Header=BB102_16 Depth=2
	global_load_dwordx2 v[32:33], v[16:17], off
	v_sub_u32_e32 v13, v30, v29
	v_add_lshl_u32 v13, v21, v13, 3
	ds_write_b8 v18, v27 offset:4096
	s_waitcnt vmcnt(0)
	ds_write_b64 v13, v[32:33]
	v_mov_b32_e32 v13, v31
	s_branch .LBB102_15
.LBB102_20:                             ;   in Loop: Header=BB102_11 Depth=1
	s_or_b64 exec, exec, s[22:23]
.LBB102_21:                             ;   in Loop: Header=BB102_11 Depth=1
	s_or_b64 exec, exec, s[20:21]
	v_mov_b32_dpp v12, v13 row_shr:1 row_mask:0xf bank_mask:0xf
	v_min_i32_e32 v12, v12, v13
	s_waitcnt lgkmcnt(0)
	ds_read_u8 v13, v18 offset:4096
	v_mov_b32_dpp v14, v12 row_shr:2 row_mask:0xf bank_mask:0xf
	v_min_i32_e32 v12, v14, v12
	ds_bpermute_b32 v16, v22, v12
	v_mov_b32_e32 v17, 0
	s_waitcnt lgkmcnt(1)
	v_and_b32_e32 v12, 1, v13
	v_cmp_eq_u32_e32 vcc, 1, v12
	s_and_saveexec_b64 s[0:1], vcc
	s_cbranch_execz .LBB102_10
; %bb.22:                               ;   in Loop: Header=BB102_11 Depth=1
	v_add_u32_e32 v14, s25, v3
	v_ashrrev_i32_e32 v3, 31, v2
	v_lshl_add_u64 v[12:13], v[2:3], 2, s[10:11]
	global_store_dword v[12:13], v14, off
	v_mul_lo_u32 v14, s26, v2
	v_mul_lo_u32 v3, s27, v3
	v_mad_u64_u32 v[12:13], s[20:21], s27, v2, 0
	v_add3_u32 v13, v13, v3, v14
	v_lshlrev_b64 v[12:13], 3, v[12:13]
	v_lshl_add_u64 v[14:15], v[4:5], 0, v[12:13]
	v_lshl_add_u64 v[12:13], v[6:7], 0, v[12:13]
	s_and_saveexec_b64 s[20:21], s[16:17]
	s_cbranch_execz .LBB102_26
; %bb.23:                               ;   in Loop: Header=BB102_11 Depth=1
	s_and_b64 vcc, exec, s[14:15]
	s_cbranch_vccz .LBB102_29
; %bb.24:                               ;   in Loop: Header=BB102_11 Depth=1
	ds_read_b64 v[30:31], v24
	v_lshl_add_u64 v[32:33], v[0:1], 3, v[14:15]
	s_waitcnt lgkmcnt(0)
	global_store_dwordx2 v[32:33], v[30:31], off
	s_cbranch_execnz .LBB102_26
.LBB102_25:                             ;   in Loop: Header=BB102_11 Depth=1
	ds_read_b64 v[30:31], v24
	s_waitcnt lgkmcnt(0)
	global_store_dwordx2 v[12:13], v[30:31], off
.LBB102_26:                             ;   in Loop: Header=BB102_11 Depth=1
	s_or_b64 exec, exec, s[20:21]
	v_mov_b32_e32 v17, 1
	s_and_saveexec_b64 s[20:21], s[2:3]
	s_cbranch_execz .LBB102_9
; %bb.27:                               ;   in Loop: Header=BB102_11 Depth=1
	s_andn2_b64 vcc, exec, s[14:15]
	s_cbranch_vccnz .LBB102_30
; %bb.28:                               ;   in Loop: Header=BB102_11 Depth=1
	ds_read_b64 v[30:31], v24 offset:32
	v_lshl_add_u64 v[14:15], v[8:9], 3, v[14:15]
	s_mov_b32 s6, 1
	s_waitcnt lgkmcnt(0)
	global_store_dwordx2 v[14:15], v[30:31], off
	s_cbranch_execnz .LBB102_8
	s_branch .LBB102_31
.LBB102_29:                             ;   in Loop: Header=BB102_11 Depth=1
	s_branch .LBB102_25
.LBB102_30:                             ;   in Loop: Header=BB102_11 Depth=1
                                        ; implicit-def: $sgpr6
.LBB102_31:                             ;   in Loop: Header=BB102_11 Depth=1
	ds_read_b64 v[14:15], v24 offset:32
	s_mov_b32 s6, 1
	s_waitcnt lgkmcnt(0)
	global_store_dwordx2 v[12:13], v[14:15], off offset:32
	s_branch .LBB102_8
.LBB102_32:
	s_endpgm
	.section	.rodata,"a",@progbits
	.p2align	6, 0x0
	.amdhsa_kernel _ZN9rocsparseL44csr2gebsr_wavefront_per_row_multipass_kernelILi256ELi16ELi8ELi64EdEEv20rocsparse_direction_iiiiii21rocsparse_index_base_PKT3_PKiS7_S2_PS3_PiS9_
		.amdhsa_group_segment_fixed_size 4104
		.amdhsa_private_segment_fixed_size 0
		.amdhsa_kernarg_size 88
		.amdhsa_user_sgpr_count 2
		.amdhsa_user_sgpr_dispatch_ptr 0
		.amdhsa_user_sgpr_queue_ptr 0
		.amdhsa_user_sgpr_kernarg_segment_ptr 1
		.amdhsa_user_sgpr_dispatch_id 0
		.amdhsa_user_sgpr_kernarg_preload_length 0
		.amdhsa_user_sgpr_kernarg_preload_offset 0
		.amdhsa_user_sgpr_private_segment_size 0
		.amdhsa_uses_dynamic_stack 0
		.amdhsa_enable_private_segment 0
		.amdhsa_system_sgpr_workgroup_id_x 1
		.amdhsa_system_sgpr_workgroup_id_y 0
		.amdhsa_system_sgpr_workgroup_id_z 0
		.amdhsa_system_sgpr_workgroup_info 0
		.amdhsa_system_vgpr_workitem_id 0
		.amdhsa_next_free_vgpr 36
		.amdhsa_next_free_sgpr 32
		.amdhsa_accum_offset 36
		.amdhsa_reserve_vcc 1
		.amdhsa_float_round_mode_32 0
		.amdhsa_float_round_mode_16_64 0
		.amdhsa_float_denorm_mode_32 3
		.amdhsa_float_denorm_mode_16_64 3
		.amdhsa_dx10_clamp 1
		.amdhsa_ieee_mode 1
		.amdhsa_fp16_overflow 0
		.amdhsa_tg_split 0
		.amdhsa_exception_fp_ieee_invalid_op 0
		.amdhsa_exception_fp_denorm_src 0
		.amdhsa_exception_fp_ieee_div_zero 0
		.amdhsa_exception_fp_ieee_overflow 0
		.amdhsa_exception_fp_ieee_underflow 0
		.amdhsa_exception_fp_ieee_inexact 0
		.amdhsa_exception_int_div_zero 0
	.end_amdhsa_kernel
	.section	.text._ZN9rocsparseL44csr2gebsr_wavefront_per_row_multipass_kernelILi256ELi16ELi8ELi64EdEEv20rocsparse_direction_iiiiii21rocsparse_index_base_PKT3_PKiS7_S2_PS3_PiS9_,"axG",@progbits,_ZN9rocsparseL44csr2gebsr_wavefront_per_row_multipass_kernelILi256ELi16ELi8ELi64EdEEv20rocsparse_direction_iiiiii21rocsparse_index_base_PKT3_PKiS7_S2_PS3_PiS9_,comdat
.Lfunc_end102:
	.size	_ZN9rocsparseL44csr2gebsr_wavefront_per_row_multipass_kernelILi256ELi16ELi8ELi64EdEEv20rocsparse_direction_iiiiii21rocsparse_index_base_PKT3_PKiS7_S2_PS3_PiS9_, .Lfunc_end102-_ZN9rocsparseL44csr2gebsr_wavefront_per_row_multipass_kernelILi256ELi16ELi8ELi64EdEEv20rocsparse_direction_iiiiii21rocsparse_index_base_PKT3_PKiS7_S2_PS3_PiS9_
                                        ; -- End function
	.section	.AMDGPU.csdata,"",@progbits
; Kernel info:
; codeLenInByte = 1372
; NumSgprs: 38
; NumVgprs: 36
; NumAgprs: 0
; TotalNumVgprs: 36
; ScratchSize: 0
; MemoryBound: 0
; FloatMode: 240
; IeeeMode: 1
; LDSByteSize: 4104 bytes/workgroup (compile time only)
; SGPRBlocks: 4
; VGPRBlocks: 4
; NumSGPRsForWavesPerEU: 38
; NumVGPRsForWavesPerEU: 36
; AccumOffset: 36
; Occupancy: 8
; WaveLimiterHint : 0
; COMPUTE_PGM_RSRC2:SCRATCH_EN: 0
; COMPUTE_PGM_RSRC2:USER_SGPR: 2
; COMPUTE_PGM_RSRC2:TRAP_HANDLER: 0
; COMPUTE_PGM_RSRC2:TGID_X_EN: 1
; COMPUTE_PGM_RSRC2:TGID_Y_EN: 0
; COMPUTE_PGM_RSRC2:TGID_Z_EN: 0
; COMPUTE_PGM_RSRC2:TIDIG_COMP_CNT: 0
; COMPUTE_PGM_RSRC3_GFX90A:ACCUM_OFFSET: 8
; COMPUTE_PGM_RSRC3_GFX90A:TG_SPLIT: 0
	.section	.text._ZN9rocsparseL44csr2gebsr_wavefront_per_row_multipass_kernelILi256ELi16ELi8ELi32EdEEv20rocsparse_direction_iiiiii21rocsparse_index_base_PKT3_PKiS7_S2_PS3_PiS9_,"axG",@progbits,_ZN9rocsparseL44csr2gebsr_wavefront_per_row_multipass_kernelILi256ELi16ELi8ELi32EdEEv20rocsparse_direction_iiiiii21rocsparse_index_base_PKT3_PKiS7_S2_PS3_PiS9_,comdat
	.globl	_ZN9rocsparseL44csr2gebsr_wavefront_per_row_multipass_kernelILi256ELi16ELi8ELi32EdEEv20rocsparse_direction_iiiiii21rocsparse_index_base_PKT3_PKiS7_S2_PS3_PiS9_ ; -- Begin function _ZN9rocsparseL44csr2gebsr_wavefront_per_row_multipass_kernelILi256ELi16ELi8ELi32EdEEv20rocsparse_direction_iiiiii21rocsparse_index_base_PKT3_PKiS7_S2_PS3_PiS9_
	.p2align	8
	.type	_ZN9rocsparseL44csr2gebsr_wavefront_per_row_multipass_kernelILi256ELi16ELi8ELi32EdEEv20rocsparse_direction_iiiiii21rocsparse_index_base_PKT3_PKiS7_S2_PS3_PiS9_,@function
_ZN9rocsparseL44csr2gebsr_wavefront_per_row_multipass_kernelILi256ELi16ELi8ELi32EdEEv20rocsparse_direction_iiiiii21rocsparse_index_base_PKT3_PKiS7_S2_PS3_PiS9_: ; @_ZN9rocsparseL44csr2gebsr_wavefront_per_row_multipass_kernelILi256ELi16ELi8ELi32EdEEv20rocsparse_direction_iiiiii21rocsparse_index_base_PKT3_PKiS7_S2_PS3_PiS9_
; %bb.0:
	s_load_dwordx2 s[4:5], s[0:1], 0x0
	s_load_dwordx4 s[8:11], s[0:1], 0xc
	s_load_dword s30, s[0:1], 0x1c
	s_load_dwordx2 s[6:7], s[0:1], 0x28
	v_lshrrev_b32_e32 v22, 5, v0
	v_bfe_u32 v6, v0, 1, 4
	v_lshl_or_b32 v4, s2, 3, v22
	s_waitcnt lgkmcnt(0)
	v_mad_u64_u32 v[2:3], s[2:3], v4, s10, v[6:7]
	v_cmp_gt_i32_e64 s[2:3], s5, v2
	v_cmp_gt_i32_e32 vcc, s10, v6
	s_and_b64 s[2:3], vcc, s[2:3]
	v_mov_b32_e32 v23, 0
	v_mov_b32_e32 v20, 0
	s_and_saveexec_b64 s[12:13], s[2:3]
	s_cbranch_execz .LBB103_2
; %bb.1:
	v_ashrrev_i32_e32 v3, 31, v2
	v_lshl_add_u64 v[8:9], v[2:3], 2, s[6:7]
	global_load_dword v1, v[8:9], off
	s_waitcnt vmcnt(0)
	v_subrev_u32_e32 v20, s30, v1
.LBB103_2:
	s_or_b64 exec, exec, s[12:13]
	s_and_saveexec_b64 s[12:13], s[2:3]
	s_cbranch_execz .LBB103_4
; %bb.3:
	v_ashrrev_i32_e32 v3, 31, v2
	v_lshl_add_u64 v[2:3], v[2:3], 2, s[6:7]
	global_load_dword v1, v[2:3], off offset:4
	s_waitcnt vmcnt(0)
	v_subrev_u32_e32 v23, s30, v1
.LBB103_4:
	s_or_b64 exec, exec, s[12:13]
	s_load_dword s31, s[0:1], 0x38
	v_cmp_gt_i32_e64 s[2:3], s8, v4
	v_mov_b32_e32 v2, 0
	s_and_saveexec_b64 s[6:7], s[2:3]
	s_cbranch_execz .LBB103_6
; %bb.5:
	s_load_dwordx2 s[2:3], s[0:1], 0x48
	v_ashrrev_i32_e32 v5, 31, v4
	s_waitcnt lgkmcnt(0)
	v_lshl_add_u64 v[2:3], v[4:5], 2, s[2:3]
	global_load_dword v1, v[2:3], off
	s_waitcnt vmcnt(0)
	v_subrev_u32_e32 v2, s31, v1
.LBB103_6:
	s_or_b64 exec, exec, s[6:7]
	s_cmp_lt_i32 s9, 1
	s_cbranch_scc1 .LBB103_42
; %bb.7:
	s_load_dwordx2 s[12:13], s[0:1], 0x20
	s_load_dwordx2 s[14:15], s[0:1], 0x50
	;; [unrolled: 1-line block ×4, first 2 shown]
	v_mbcnt_lo_u32_b32 v3, -1, 0
	v_and_b32_e32 v24, 1, v0
	v_lshlrev_b32_e32 v0, 3, v6
	v_mbcnt_hi_u32_b32 v3, -1, v3
	v_mul_lo_u32 v6, v6, s11
	v_mov_b32_e32 v1, 0
	v_lshlrev_b32_e32 v3, 2, v3
	s_cmp_lg_u32 s4, 0
	v_ashrrev_i32_e32 v7, 31, v6
	v_lshl_or_b32 v25, v22, 7, v0
	v_or_b32_e32 v26, 4, v3
	s_cselect_b64 s[18:19], -1, 0
	s_ashr_i32 s8, s11, 31
	s_waitcnt lgkmcnt(0)
	v_lshl_add_u64 v[4:5], s[2:3], 0, v[0:1]
	v_lshl_add_u64 v[6:7], v[6:7], 3, s[2:3]
	v_lshlrev_b32_e32 v0, 3, v24
	v_or_b32_e32 v27, 0x7c, v3
	v_or_b32_e32 v3, 2, v24
	s_mul_hi_u32 s0, s11, s10
	s_mul_i32 s1, s8, s10
	s_mul_i32 s34, s11, s10
	v_lshl_add_u64 v[6:7], v[6:7], 0, v[0:1]
	v_mul_lo_u32 v0, v24, s10
	v_cmp_gt_u32_e64 s[2:3], s11, v3
	s_lshl_b32 s20, s10, 1
	v_or_b32_e32 v3, 4, v24
	s_abs_i32 s10, s11
	v_cmp_gt_u32_e64 s[4:5], s11, v3
	v_cvt_f32_u32_e32 v3, s10
	v_or_b32_e32 v8, v25, v24
	v_lshlrev_b32_e32 v28, 3, v8
	v_add_u32_e32 v8, s20, v0
	v_rcp_iflag_f32_e32 v3, v3
	s_add_i32 s33, s0, s1
	v_cmp_gt_u32_e64 s[0:1], s11, v24
	v_add_u32_e32 v10, s20, v8
	v_mul_f32_e32 v3, 0x4f7ffffe, v3
	v_cvt_u32_f32_e32 v3, v3
	v_or_b32_e32 v12, 6, v24
	v_cmp_gt_u32_e64 s[6:7], s11, v12
	v_add_u32_e32 v12, s20, v10
	s_and_b64 s[20:21], s[0:1], vcc
	s_sub_i32 s0, 0, s10
	v_mul_lo_u32 v14, s0, v3
	v_mul_hi_u32 v14, v3, v14
	v_mov_b32_e32 v9, v1
	v_mov_b32_e32 v11, v1
	;; [unrolled: 1-line block ×3, first 2 shown]
	s_and_b64 s[2:3], vcc, s[2:3]
	s_and_b64 s[4:5], vcc, s[4:5]
	;; [unrolled: 1-line block ×3, first 2 shown]
	v_add_u32_e32 v29, v3, v14
	v_or_b32_e32 v30, -2, v24
	s_mov_b64 s[22:23], 0
	v_mov_b32_e32 v14, v1
	v_mov_b32_e32 v15, v1
	;; [unrolled: 1-line block ×4, first 2 shown]
	s_branch .LBB103_11
.LBB103_8:                              ;   in Loop: Header=BB103_11 Depth=1
	v_mov_b32_e32 v21, s28
.LBB103_9:                              ;   in Loop: Header=BB103_11 Depth=1
	s_or_b64 exec, exec, s[26:27]
.LBB103_10:                             ;   in Loop: Header=BB103_11 Depth=1
	s_or_b64 exec, exec, s[24:25]
	v_mov_b32_dpp v3, v32 row_shr:1 row_mask:0xf bank_mask:0xf
	v_min_i32_e32 v3, v3, v32
	v_add_u32_e32 v2, v21, v2
	s_waitcnt lgkmcnt(0)
	v_mov_b32_dpp v16, v3 row_shr:2 row_mask:0xf bank_mask:0xf
	v_min_i32_e32 v3, v16, v3
	s_nop 1
	v_mov_b32_dpp v16, v3 row_shr:4 row_mask:0xf bank_mask:0xe
	v_min_i32_e32 v3, v16, v3
	s_nop 1
	v_mov_b32_dpp v16, v3 row_shr:8 row_mask:0xf bank_mask:0xc
	v_min_i32_e32 v3, v16, v3
	s_nop 1
	v_mov_b32_dpp v16, v3 row_bcast:15 row_mask:0xa bank_mask:0xf
	v_min_i32_e32 v3, v16, v3
	ds_bpermute_b32 v3, v27, v3
	s_waitcnt lgkmcnt(0)
	v_cmp_le_i32_e32 vcc, s9, v3
	s_or_b64 s[22:23], vcc, s[22:23]
	s_andn2_b64 exec, exec, s[22:23]
	s_cbranch_execz .LBB103_42
.LBB103_11:                             ; =>This Loop Header: Depth=1
                                        ;     Child Loop BB103_12 Depth 2
                                        ;     Child Loop BB103_16 Depth 2
	s_mov_b64 s[0:1], 0
	v_mov_b32_e32 v16, v28
	v_mov_b32_e32 v17, v30
	ds_write_b8 v22, v1 offset:8192
.LBB103_12:                             ;   Parent Loop BB103_11 Depth=1
                                        ; =>  This Inner Loop Header: Depth=2
	v_add_u32_e32 v17, 2, v17
	v_cmp_lt_u32_e32 vcc, 5, v17
	ds_write_b64 v16, v[14:15]
	s_or_b64 s[0:1], vcc, s[0:1]
	v_add_u32_e32 v16, 16, v16
	s_andn2_b64 exec, exec, s[0:1]
	s_cbranch_execnz .LBB103_12
; %bb.13:                               ;   in Loop: Header=BB103_11 Depth=1
	s_or_b64 exec, exec, s[0:1]
	v_add_u32_e32 v16, v20, v24
	v_cmp_lt_i32_e32 vcc, v16, v23
	v_mov_b32_e32 v32, s9
	v_mov_b32_e32 v17, v23
	s_waitcnt lgkmcnt(0)
	s_and_saveexec_b64 s[24:25], vcc
	s_cbranch_execz .LBB103_21
; %bb.14:                               ;   in Loop: Header=BB103_11 Depth=1
	v_ashrrev_i32_e32 v17, 31, v16
	v_mul_lo_u32 v33, v3, s11
	v_lshl_add_u64 v[18:19], v[16:17], 2, s[16:17]
	v_lshl_add_u64 v[20:21], v[16:17], 3, s[12:13]
	s_mov_b64 s[26:27], 0
	v_mov_b32_e32 v32, s9
	v_mov_b32_e32 v17, v23
	s_branch .LBB103_16
.LBB103_15:                             ;   in Loop: Header=BB103_16 Depth=2
	s_or_b64 exec, exec, s[0:1]
	v_add_u32_e32 v16, 2, v16
	v_cmp_ge_i32_e64 s[0:1], v16, v23
	s_xor_b64 s[28:29], vcc, -1
	s_or_b64 s[0:1], s[28:29], s[0:1]
	s_and_b64 s[0:1], exec, s[0:1]
	v_lshl_add_u64 v[18:19], v[18:19], 0, 8
	s_or_b64 s[26:27], s[0:1], s[26:27]
	v_lshl_add_u64 v[20:21], v[20:21], 0, 16
	s_andn2_b64 exec, exec, s[26:27]
	s_cbranch_execz .LBB103_20
.LBB103_16:                             ;   Parent Loop BB103_11 Depth=1
                                        ; =>  This Inner Loop Header: Depth=2
	global_load_dword v34, v[18:19], off
	s_waitcnt vmcnt(0)
	v_subrev_u32_e32 v34, s30, v34
	v_sub_u32_e32 v36, 0, v34
	v_max_i32_e32 v36, v34, v36
	v_mul_hi_u32 v37, v36, v29
	v_mul_lo_u32 v38, v37, s10
	v_sub_u32_e32 v36, v36, v38
	v_add_u32_e32 v39, 1, v37
	v_cmp_le_u32_e32 vcc, s10, v36
	v_subrev_u32_e32 v38, s10, v36
	v_ashrrev_i32_e32 v35, 31, v34
	v_cndmask_b32_e32 v37, v37, v39, vcc
	v_cndmask_b32_e32 v36, v36, v38, vcc
	v_add_u32_e32 v38, 1, v37
	v_cmp_le_u32_e32 vcc, s10, v36
	v_xor_b32_e32 v35, s8, v35
	s_nop 0
	v_cndmask_b32_e32 v36, v37, v38, vcc
	v_xor_b32_e32 v36, v36, v35
	v_sub_u32_e32 v36, v36, v35
	v_cmp_eq_u32_e32 vcc, v36, v3
	v_cmp_ne_u32_e64 s[0:1], v36, v3
	v_mov_b32_e32 v35, v17
	s_and_saveexec_b64 s[28:29], s[0:1]
	s_xor_b64 s[0:1], exec, s[28:29]
; %bb.17:                               ;   in Loop: Header=BB103_16 Depth=2
	v_min_i32_e32 v32, v36, v32
                                        ; implicit-def: $vgpr34
                                        ; implicit-def: $vgpr35
; %bb.18:                               ;   in Loop: Header=BB103_16 Depth=2
	s_or_saveexec_b64 s[0:1], s[0:1]
	v_mov_b32_e32 v17, v16
	s_xor_b64 exec, exec, s[0:1]
	s_cbranch_execz .LBB103_15
; %bb.19:                               ;   in Loop: Header=BB103_16 Depth=2
	global_load_dwordx2 v[36:37], v[20:21], off
	v_sub_u32_e32 v17, v34, v33
	v_add_lshl_u32 v17, v25, v17, 3
	ds_write_b8 v22, v31 offset:8192
	s_waitcnt vmcnt(0)
	ds_write_b64 v17, v[36:37]
	v_mov_b32_e32 v17, v35
	s_branch .LBB103_15
.LBB103_20:                             ;   in Loop: Header=BB103_11 Depth=1
	s_or_b64 exec, exec, s[26:27]
.LBB103_21:                             ;   in Loop: Header=BB103_11 Depth=1
	s_or_b64 exec, exec, s[24:25]
	s_waitcnt lgkmcnt(0)
	ds_read_u8 v16, v22 offset:8192
	v_mov_b32_dpp v18, v17 row_shr:1 row_mask:0xf bank_mask:0xf
	v_min_i32_e32 v17, v18, v17
	ds_bpermute_b32 v20, v26, v17
	v_mov_b32_e32 v21, 0
	s_waitcnt lgkmcnt(1)
	v_and_b32_e32 v16, 1, v16
	v_cmp_eq_u32_e32 vcc, 1, v16
	s_and_saveexec_b64 s[24:25], vcc
	s_cbranch_execz .LBB103_10
; %bb.22:                               ;   in Loop: Header=BB103_11 Depth=1
	v_add_u32_e32 v18, s31, v3
	v_ashrrev_i32_e32 v3, 31, v2
	v_lshl_add_u64 v[16:17], v[2:3], 2, s[14:15]
	global_store_dword v[16:17], v18, off
	v_mul_lo_u32 v18, s33, v2
	v_mul_lo_u32 v3, s34, v3
	v_mad_u64_u32 v[16:17], s[0:1], s34, v2, 0
	v_add3_u32 v17, v17, v3, v18
	v_lshlrev_b64 v[16:17], 3, v[16:17]
	v_lshl_add_u64 v[18:19], v[4:5], 0, v[16:17]
	v_lshl_add_u64 v[16:17], v[6:7], 0, v[16:17]
	s_and_saveexec_b64 s[0:1], s[20:21]
	s_cbranch_execz .LBB103_26
; %bb.23:                               ;   in Loop: Header=BB103_11 Depth=1
	s_and_b64 vcc, exec, s[18:19]
	s_cbranch_vccz .LBB103_37
; %bb.24:                               ;   in Loop: Header=BB103_11 Depth=1
	ds_read_b64 v[34:35], v28
	v_lshl_add_u64 v[36:37], v[0:1], 3, v[18:19]
	s_waitcnt lgkmcnt(0)
	global_store_dwordx2 v[36:37], v[34:35], off
	s_cbranch_execnz .LBB103_26
.LBB103_25:                             ;   in Loop: Header=BB103_11 Depth=1
	ds_read_b64 v[34:35], v28
	s_waitcnt lgkmcnt(0)
	global_store_dwordx2 v[16:17], v[34:35], off
.LBB103_26:                             ;   in Loop: Header=BB103_11 Depth=1
	s_or_b64 exec, exec, s[0:1]
	v_cndmask_b32_e64 v3, 0, 1, s[18:19]
	v_cmp_ne_u32_e64 s[0:1], 1, v3
	s_and_saveexec_b64 s[26:27], s[2:3]
	s_cbranch_execz .LBB103_30
; %bb.27:                               ;   in Loop: Header=BB103_11 Depth=1
	s_and_b64 vcc, exec, s[0:1]
	s_cbranch_vccnz .LBB103_38
; %bb.28:                               ;   in Loop: Header=BB103_11 Depth=1
	ds_read_b64 v[34:35], v28 offset:16
	v_lshl_add_u64 v[36:37], v[8:9], 3, v[18:19]
	s_waitcnt lgkmcnt(0)
	global_store_dwordx2 v[36:37], v[34:35], off
	s_cbranch_execnz .LBB103_30
.LBB103_29:                             ;   in Loop: Header=BB103_11 Depth=1
	ds_read_b64 v[34:35], v28 offset:16
	s_waitcnt lgkmcnt(0)
	global_store_dwordx2 v[16:17], v[34:35], off offset:16
.LBB103_30:                             ;   in Loop: Header=BB103_11 Depth=1
	s_or_b64 exec, exec, s[26:27]
	s_and_saveexec_b64 s[26:27], s[4:5]
	s_cbranch_execz .LBB103_34
; %bb.31:                               ;   in Loop: Header=BB103_11 Depth=1
	s_and_b64 vcc, exec, s[0:1]
	s_cbranch_vccnz .LBB103_39
; %bb.32:                               ;   in Loop: Header=BB103_11 Depth=1
	ds_read_b64 v[34:35], v28 offset:32
	v_lshl_add_u64 v[36:37], v[10:11], 3, v[18:19]
	s_waitcnt lgkmcnt(0)
	global_store_dwordx2 v[36:37], v[34:35], off
	s_cbranch_execnz .LBB103_34
.LBB103_33:                             ;   in Loop: Header=BB103_11 Depth=1
	ds_read_b64 v[34:35], v28 offset:32
	s_waitcnt lgkmcnt(0)
	global_store_dwordx2 v[16:17], v[34:35], off offset:32
.LBB103_34:                             ;   in Loop: Header=BB103_11 Depth=1
	s_or_b64 exec, exec, s[26:27]
	v_mov_b32_e32 v21, 1
	s_and_saveexec_b64 s[26:27], s[6:7]
	s_cbranch_execz .LBB103_9
; %bb.35:                               ;   in Loop: Header=BB103_11 Depth=1
	s_and_b64 vcc, exec, s[0:1]
	s_cbranch_vccnz .LBB103_40
; %bb.36:                               ;   in Loop: Header=BB103_11 Depth=1
	ds_read_b64 v[34:35], v28 offset:48
	v_lshl_add_u64 v[18:19], v[12:13], 3, v[18:19]
	s_mov_b32 s28, 1
	s_waitcnt lgkmcnt(0)
	global_store_dwordx2 v[18:19], v[34:35], off
	s_cbranch_execnz .LBB103_8
	s_branch .LBB103_41
.LBB103_37:                             ;   in Loop: Header=BB103_11 Depth=1
	s_branch .LBB103_25
.LBB103_38:                             ;   in Loop: Header=BB103_11 Depth=1
	s_branch .LBB103_29
.LBB103_39:                             ;   in Loop: Header=BB103_11 Depth=1
	s_branch .LBB103_33
.LBB103_40:                             ;   in Loop: Header=BB103_11 Depth=1
                                        ; implicit-def: $sgpr28
.LBB103_41:                             ;   in Loop: Header=BB103_11 Depth=1
	ds_read_b64 v[18:19], v28 offset:48
	s_mov_b32 s28, 1
	s_waitcnt lgkmcnt(0)
	global_store_dwordx2 v[16:17], v[18:19], off offset:48
	s_branch .LBB103_8
.LBB103_42:
	s_endpgm
	.section	.rodata,"a",@progbits
	.p2align	6, 0x0
	.amdhsa_kernel _ZN9rocsparseL44csr2gebsr_wavefront_per_row_multipass_kernelILi256ELi16ELi8ELi32EdEEv20rocsparse_direction_iiiiii21rocsparse_index_base_PKT3_PKiS7_S2_PS3_PiS9_
		.amdhsa_group_segment_fixed_size 8200
		.amdhsa_private_segment_fixed_size 0
		.amdhsa_kernarg_size 88
		.amdhsa_user_sgpr_count 2
		.amdhsa_user_sgpr_dispatch_ptr 0
		.amdhsa_user_sgpr_queue_ptr 0
		.amdhsa_user_sgpr_kernarg_segment_ptr 1
		.amdhsa_user_sgpr_dispatch_id 0
		.amdhsa_user_sgpr_kernarg_preload_length 0
		.amdhsa_user_sgpr_kernarg_preload_offset 0
		.amdhsa_user_sgpr_private_segment_size 0
		.amdhsa_uses_dynamic_stack 0
		.amdhsa_enable_private_segment 0
		.amdhsa_system_sgpr_workgroup_id_x 1
		.amdhsa_system_sgpr_workgroup_id_y 0
		.amdhsa_system_sgpr_workgroup_id_z 0
		.amdhsa_system_sgpr_workgroup_info 0
		.amdhsa_system_vgpr_workitem_id 0
		.amdhsa_next_free_vgpr 40
		.amdhsa_next_free_sgpr 35
		.amdhsa_accum_offset 40
		.amdhsa_reserve_vcc 1
		.amdhsa_float_round_mode_32 0
		.amdhsa_float_round_mode_16_64 0
		.amdhsa_float_denorm_mode_32 3
		.amdhsa_float_denorm_mode_16_64 3
		.amdhsa_dx10_clamp 1
		.amdhsa_ieee_mode 1
		.amdhsa_fp16_overflow 0
		.amdhsa_tg_split 0
		.amdhsa_exception_fp_ieee_invalid_op 0
		.amdhsa_exception_fp_denorm_src 0
		.amdhsa_exception_fp_ieee_div_zero 0
		.amdhsa_exception_fp_ieee_overflow 0
		.amdhsa_exception_fp_ieee_underflow 0
		.amdhsa_exception_fp_ieee_inexact 0
		.amdhsa_exception_int_div_zero 0
	.end_amdhsa_kernel
	.section	.text._ZN9rocsparseL44csr2gebsr_wavefront_per_row_multipass_kernelILi256ELi16ELi8ELi32EdEEv20rocsparse_direction_iiiiii21rocsparse_index_base_PKT3_PKiS7_S2_PS3_PiS9_,"axG",@progbits,_ZN9rocsparseL44csr2gebsr_wavefront_per_row_multipass_kernelILi256ELi16ELi8ELi32EdEEv20rocsparse_direction_iiiiii21rocsparse_index_base_PKT3_PKiS7_S2_PS3_PiS9_,comdat
.Lfunc_end103:
	.size	_ZN9rocsparseL44csr2gebsr_wavefront_per_row_multipass_kernelILi256ELi16ELi8ELi32EdEEv20rocsparse_direction_iiiiii21rocsparse_index_base_PKT3_PKiS7_S2_PS3_PiS9_, .Lfunc_end103-_ZN9rocsparseL44csr2gebsr_wavefront_per_row_multipass_kernelILi256ELi16ELi8ELi32EdEEv20rocsparse_direction_iiiiii21rocsparse_index_base_PKT3_PKiS7_S2_PS3_PiS9_
                                        ; -- End function
	.section	.AMDGPU.csdata,"",@progbits
; Kernel info:
; codeLenInByte = 1556
; NumSgprs: 41
; NumVgprs: 40
; NumAgprs: 0
; TotalNumVgprs: 40
; ScratchSize: 0
; MemoryBound: 0
; FloatMode: 240
; IeeeMode: 1
; LDSByteSize: 8200 bytes/workgroup (compile time only)
; SGPRBlocks: 5
; VGPRBlocks: 4
; NumSGPRsForWavesPerEU: 41
; NumVGPRsForWavesPerEU: 40
; AccumOffset: 40
; Occupancy: 7
; WaveLimiterHint : 0
; COMPUTE_PGM_RSRC2:SCRATCH_EN: 0
; COMPUTE_PGM_RSRC2:USER_SGPR: 2
; COMPUTE_PGM_RSRC2:TRAP_HANDLER: 0
; COMPUTE_PGM_RSRC2:TGID_X_EN: 1
; COMPUTE_PGM_RSRC2:TGID_Y_EN: 0
; COMPUTE_PGM_RSRC2:TGID_Z_EN: 0
; COMPUTE_PGM_RSRC2:TIDIG_COMP_CNT: 0
; COMPUTE_PGM_RSRC3_GFX90A:ACCUM_OFFSET: 9
; COMPUTE_PGM_RSRC3_GFX90A:TG_SPLIT: 0
	.section	.text._ZN9rocsparseL44csr2gebsr_wavefront_per_row_multipass_kernelILi256ELi16ELi16ELi64EdEEv20rocsparse_direction_iiiiii21rocsparse_index_base_PKT3_PKiS7_S2_PS3_PiS9_,"axG",@progbits,_ZN9rocsparseL44csr2gebsr_wavefront_per_row_multipass_kernelILi256ELi16ELi16ELi64EdEEv20rocsparse_direction_iiiiii21rocsparse_index_base_PKT3_PKiS7_S2_PS3_PiS9_,comdat
	.globl	_ZN9rocsparseL44csr2gebsr_wavefront_per_row_multipass_kernelILi256ELi16ELi16ELi64EdEEv20rocsparse_direction_iiiiii21rocsparse_index_base_PKT3_PKiS7_S2_PS3_PiS9_ ; -- Begin function _ZN9rocsparseL44csr2gebsr_wavefront_per_row_multipass_kernelILi256ELi16ELi16ELi64EdEEv20rocsparse_direction_iiiiii21rocsparse_index_base_PKT3_PKiS7_S2_PS3_PiS9_
	.p2align	8
	.type	_ZN9rocsparseL44csr2gebsr_wavefront_per_row_multipass_kernelILi256ELi16ELi16ELi64EdEEv20rocsparse_direction_iiiiii21rocsparse_index_base_PKT3_PKiS7_S2_PS3_PiS9_,@function
_ZN9rocsparseL44csr2gebsr_wavefront_per_row_multipass_kernelILi256ELi16ELi16ELi64EdEEv20rocsparse_direction_iiiiii21rocsparse_index_base_PKT3_PKiS7_S2_PS3_PiS9_: ; @_ZN9rocsparseL44csr2gebsr_wavefront_per_row_multipass_kernelILi256ELi16ELi16ELi64EdEEv20rocsparse_direction_iiiiii21rocsparse_index_base_PKT3_PKiS7_S2_PS3_PiS9_
; %bb.0:
	s_load_dwordx2 s[4:5], s[0:1], 0x0
	s_load_dwordx4 s[8:11], s[0:1], 0xc
	s_load_dword s30, s[0:1], 0x1c
	s_load_dwordx2 s[6:7], s[0:1], 0x28
	v_lshrrev_b32_e32 v22, 6, v0
	v_bfe_u32 v6, v0, 2, 4
	v_lshl_or_b32 v4, s2, 2, v22
	s_waitcnt lgkmcnt(0)
	v_mad_u64_u32 v[2:3], s[2:3], v4, s10, v[6:7]
	v_cmp_gt_i32_e64 s[2:3], s5, v2
	v_cmp_gt_i32_e32 vcc, s10, v6
	s_and_b64 s[2:3], vcc, s[2:3]
	v_mov_b32_e32 v23, 0
	v_mov_b32_e32 v20, 0
	s_and_saveexec_b64 s[12:13], s[2:3]
	s_cbranch_execz .LBB104_2
; %bb.1:
	v_ashrrev_i32_e32 v3, 31, v2
	v_lshl_add_u64 v[8:9], v[2:3], 2, s[6:7]
	global_load_dword v1, v[8:9], off
	s_waitcnt vmcnt(0)
	v_subrev_u32_e32 v20, s30, v1
.LBB104_2:
	s_or_b64 exec, exec, s[12:13]
	s_and_saveexec_b64 s[12:13], s[2:3]
	s_cbranch_execz .LBB104_4
; %bb.3:
	v_ashrrev_i32_e32 v3, 31, v2
	v_lshl_add_u64 v[2:3], v[2:3], 2, s[6:7]
	global_load_dword v1, v[2:3], off offset:4
	s_waitcnt vmcnt(0)
	v_subrev_u32_e32 v23, s30, v1
.LBB104_4:
	s_or_b64 exec, exec, s[12:13]
	s_load_dword s31, s[0:1], 0x38
	v_cmp_gt_i32_e64 s[2:3], s8, v4
	v_mov_b32_e32 v2, 0
	s_and_saveexec_b64 s[6:7], s[2:3]
	s_cbranch_execz .LBB104_6
; %bb.5:
	s_load_dwordx2 s[2:3], s[0:1], 0x48
	v_ashrrev_i32_e32 v5, 31, v4
	s_waitcnt lgkmcnt(0)
	v_lshl_add_u64 v[2:3], v[4:5], 2, s[2:3]
	global_load_dword v1, v[2:3], off
	s_waitcnt vmcnt(0)
	v_subrev_u32_e32 v2, s31, v1
.LBB104_6:
	s_or_b64 exec, exec, s[6:7]
	s_cmp_lt_i32 s9, 1
	s_cbranch_scc1 .LBB104_42
; %bb.7:
	v_and_b32_e32 v24, 3, v0
	v_lshlrev_b32_e32 v0, 8, v22
	s_load_dwordx2 s[12:13], s[0:1], 0x20
	s_load_dwordx2 s[14:15], s[0:1], 0x50
	;; [unrolled: 1-line block ×4, first 2 shown]
	v_lshl_or_b32 v25, v6, 4, v0
	v_mbcnt_lo_u32_b32 v0, -1, 0
	v_mbcnt_hi_u32_b32 v0, -1, v0
	v_lshlrev_b32_e32 v3, 2, v0
	v_lshlrev_b32_e32 v0, 3, v6
	v_mul_lo_u32 v6, v6, s11
	v_mov_b32_e32 v1, 0
	s_cmp_lg_u32 s4, 0
	v_ashrrev_i32_e32 v7, 31, v6
	v_or_b32_e32 v26, 12, v3
	s_cselect_b64 s[18:19], -1, 0
	s_ashr_i32 s8, s11, 31
	s_waitcnt lgkmcnt(0)
	v_lshl_add_u64 v[4:5], s[2:3], 0, v[0:1]
	v_lshl_add_u64 v[6:7], v[6:7], 3, s[2:3]
	v_lshlrev_b32_e32 v0, 3, v24
	v_or_b32_e32 v27, 0xfc, v3
	v_or_b32_e32 v3, 4, v24
	s_mul_hi_u32 s0, s11, s10
	s_mul_i32 s1, s8, s10
	s_mul_i32 s34, s11, s10
	v_lshl_add_u64 v[6:7], v[6:7], 0, v[0:1]
	v_mul_lo_u32 v0, v24, s10
	v_cmp_gt_u32_e64 s[2:3], s11, v3
	s_lshl_b32 s20, s10, 2
	v_or_b32_e32 v3, 8, v24
	s_abs_i32 s10, s11
	v_cmp_gt_u32_e64 s[4:5], s11, v3
	v_cvt_f32_u32_e32 v3, s10
	v_or_b32_e32 v8, v25, v24
	v_lshlrev_b32_e32 v28, 3, v8
	v_add_u32_e32 v8, s20, v0
	v_rcp_iflag_f32_e32 v3, v3
	s_add_i32 s33, s0, s1
	v_cmp_gt_u32_e64 s[0:1], s11, v24
	v_add_u32_e32 v10, s20, v8
	v_mul_f32_e32 v3, 0x4f7ffffe, v3
	v_cvt_u32_f32_e32 v3, v3
	v_or_b32_e32 v12, 12, v24
	v_cmp_gt_u32_e64 s[6:7], s11, v12
	v_add_u32_e32 v12, s20, v10
	s_and_b64 s[20:21], s[0:1], vcc
	s_sub_i32 s0, 0, s10
	v_mul_lo_u32 v14, s0, v3
	v_mul_hi_u32 v14, v3, v14
	v_mov_b32_e32 v9, v1
	v_mov_b32_e32 v11, v1
	;; [unrolled: 1-line block ×3, first 2 shown]
	s_and_b64 s[2:3], vcc, s[2:3]
	s_and_b64 s[4:5], vcc, s[4:5]
	;; [unrolled: 1-line block ×3, first 2 shown]
	v_add_u32_e32 v29, v3, v14
	v_or_b32_e32 v30, -4, v24
	s_mov_b64 s[22:23], 0
	v_mov_b32_e32 v14, v1
	v_mov_b32_e32 v15, v1
	;; [unrolled: 1-line block ×4, first 2 shown]
	s_branch .LBB104_11
.LBB104_8:                              ;   in Loop: Header=BB104_11 Depth=1
	v_mov_b32_e32 v21, s28
.LBB104_9:                              ;   in Loop: Header=BB104_11 Depth=1
	s_or_b64 exec, exec, s[26:27]
.LBB104_10:                             ;   in Loop: Header=BB104_11 Depth=1
	s_or_b64 exec, exec, s[24:25]
	v_mov_b32_dpp v3, v32 row_shr:1 row_mask:0xf bank_mask:0xf
	v_min_i32_e32 v3, v3, v32
	v_add_u32_e32 v2, v21, v2
	s_waitcnt lgkmcnt(0)
	v_mov_b32_dpp v16, v3 row_shr:2 row_mask:0xf bank_mask:0xf
	v_min_i32_e32 v3, v16, v3
	s_nop 1
	v_mov_b32_dpp v16, v3 row_shr:4 row_mask:0xf bank_mask:0xe
	v_min_i32_e32 v3, v16, v3
	s_nop 1
	;; [unrolled: 3-line block ×3, first 2 shown]
	v_mov_b32_dpp v16, v3 row_bcast:15 row_mask:0xa bank_mask:0xf
	v_min_i32_e32 v3, v16, v3
	s_nop 1
	v_mov_b32_dpp v16, v3 row_bcast:31 row_mask:0xc bank_mask:0xf
	v_min_i32_e32 v3, v16, v3
	ds_bpermute_b32 v3, v27, v3
	s_waitcnt lgkmcnt(0)
	v_cmp_le_i32_e32 vcc, s9, v3
	s_or_b64 s[22:23], vcc, s[22:23]
	s_andn2_b64 exec, exec, s[22:23]
	s_cbranch_execz .LBB104_42
.LBB104_11:                             ; =>This Loop Header: Depth=1
                                        ;     Child Loop BB104_12 Depth 2
                                        ;     Child Loop BB104_16 Depth 2
	s_mov_b64 s[0:1], 0
	v_mov_b32_e32 v16, v28
	v_mov_b32_e32 v17, v30
	ds_write_b8 v22, v1 offset:8192
.LBB104_12:                             ;   Parent Loop BB104_11 Depth=1
                                        ; =>  This Inner Loop Header: Depth=2
	v_add_u32_e32 v17, 4, v17
	v_cmp_lt_u32_e32 vcc, 11, v17
	ds_write_b64 v16, v[14:15]
	s_or_b64 s[0:1], vcc, s[0:1]
	v_add_u32_e32 v16, 32, v16
	s_andn2_b64 exec, exec, s[0:1]
	s_cbranch_execnz .LBB104_12
; %bb.13:                               ;   in Loop: Header=BB104_11 Depth=1
	s_or_b64 exec, exec, s[0:1]
	v_add_u32_e32 v16, v20, v24
	v_cmp_lt_i32_e32 vcc, v16, v23
	v_mov_b32_e32 v32, s9
	v_mov_b32_e32 v17, v23
	s_waitcnt lgkmcnt(0)
	s_and_saveexec_b64 s[24:25], vcc
	s_cbranch_execz .LBB104_21
; %bb.14:                               ;   in Loop: Header=BB104_11 Depth=1
	v_ashrrev_i32_e32 v17, 31, v16
	v_mul_lo_u32 v33, v3, s11
	v_lshl_add_u64 v[18:19], v[16:17], 2, s[16:17]
	v_lshl_add_u64 v[20:21], v[16:17], 3, s[12:13]
	s_mov_b64 s[26:27], 0
	v_mov_b32_e32 v32, s9
	v_mov_b32_e32 v17, v23
	s_branch .LBB104_16
.LBB104_15:                             ;   in Loop: Header=BB104_16 Depth=2
	s_or_b64 exec, exec, s[0:1]
	v_add_u32_e32 v16, 4, v16
	v_cmp_ge_i32_e64 s[0:1], v16, v23
	s_xor_b64 s[28:29], vcc, -1
	s_or_b64 s[0:1], s[28:29], s[0:1]
	s_and_b64 s[0:1], exec, s[0:1]
	v_lshl_add_u64 v[18:19], v[18:19], 0, 16
	s_or_b64 s[26:27], s[0:1], s[26:27]
	v_lshl_add_u64 v[20:21], v[20:21], 0, 32
	s_andn2_b64 exec, exec, s[26:27]
	s_cbranch_execz .LBB104_20
.LBB104_16:                             ;   Parent Loop BB104_11 Depth=1
                                        ; =>  This Inner Loop Header: Depth=2
	global_load_dword v34, v[18:19], off
	s_waitcnt vmcnt(0)
	v_subrev_u32_e32 v34, s30, v34
	v_sub_u32_e32 v36, 0, v34
	v_max_i32_e32 v36, v34, v36
	v_mul_hi_u32 v37, v36, v29
	v_mul_lo_u32 v38, v37, s10
	v_sub_u32_e32 v36, v36, v38
	v_add_u32_e32 v39, 1, v37
	v_cmp_le_u32_e32 vcc, s10, v36
	v_subrev_u32_e32 v38, s10, v36
	v_ashrrev_i32_e32 v35, 31, v34
	v_cndmask_b32_e32 v37, v37, v39, vcc
	v_cndmask_b32_e32 v36, v36, v38, vcc
	v_add_u32_e32 v38, 1, v37
	v_cmp_le_u32_e32 vcc, s10, v36
	v_xor_b32_e32 v35, s8, v35
	s_nop 0
	v_cndmask_b32_e32 v36, v37, v38, vcc
	v_xor_b32_e32 v36, v36, v35
	v_sub_u32_e32 v36, v36, v35
	v_cmp_eq_u32_e32 vcc, v36, v3
	v_cmp_ne_u32_e64 s[0:1], v36, v3
	v_mov_b32_e32 v35, v17
	s_and_saveexec_b64 s[28:29], s[0:1]
	s_xor_b64 s[0:1], exec, s[28:29]
; %bb.17:                               ;   in Loop: Header=BB104_16 Depth=2
	v_min_i32_e32 v32, v36, v32
                                        ; implicit-def: $vgpr34
                                        ; implicit-def: $vgpr35
; %bb.18:                               ;   in Loop: Header=BB104_16 Depth=2
	s_or_saveexec_b64 s[0:1], s[0:1]
	v_mov_b32_e32 v17, v16
	s_xor_b64 exec, exec, s[0:1]
	s_cbranch_execz .LBB104_15
; %bb.19:                               ;   in Loop: Header=BB104_16 Depth=2
	global_load_dwordx2 v[36:37], v[20:21], off
	v_sub_u32_e32 v17, v34, v33
	v_add_lshl_u32 v17, v25, v17, 3
	ds_write_b8 v22, v31 offset:8192
	s_waitcnt vmcnt(0)
	ds_write_b64 v17, v[36:37]
	v_mov_b32_e32 v17, v35
	s_branch .LBB104_15
.LBB104_20:                             ;   in Loop: Header=BB104_11 Depth=1
	s_or_b64 exec, exec, s[26:27]
.LBB104_21:                             ;   in Loop: Header=BB104_11 Depth=1
	s_or_b64 exec, exec, s[24:25]
	v_mov_b32_dpp v16, v17 row_shr:1 row_mask:0xf bank_mask:0xf
	v_min_i32_e32 v16, v16, v17
	s_waitcnt lgkmcnt(0)
	ds_read_u8 v17, v22 offset:8192
	v_mov_b32_dpp v18, v16 row_shr:2 row_mask:0xf bank_mask:0xf
	v_min_i32_e32 v16, v18, v16
	ds_bpermute_b32 v20, v26, v16
	v_mov_b32_e32 v21, 0
	s_waitcnt lgkmcnt(1)
	v_and_b32_e32 v16, 1, v17
	v_cmp_eq_u32_e32 vcc, 1, v16
	s_and_saveexec_b64 s[24:25], vcc
	s_cbranch_execz .LBB104_10
; %bb.22:                               ;   in Loop: Header=BB104_11 Depth=1
	v_add_u32_e32 v18, s31, v3
	v_ashrrev_i32_e32 v3, 31, v2
	v_lshl_add_u64 v[16:17], v[2:3], 2, s[14:15]
	global_store_dword v[16:17], v18, off
	v_mul_lo_u32 v18, s33, v2
	v_mul_lo_u32 v3, s34, v3
	v_mad_u64_u32 v[16:17], s[0:1], s34, v2, 0
	v_add3_u32 v17, v17, v3, v18
	v_lshlrev_b64 v[16:17], 3, v[16:17]
	v_lshl_add_u64 v[18:19], v[4:5], 0, v[16:17]
	v_lshl_add_u64 v[16:17], v[6:7], 0, v[16:17]
	s_and_saveexec_b64 s[0:1], s[20:21]
	s_cbranch_execz .LBB104_26
; %bb.23:                               ;   in Loop: Header=BB104_11 Depth=1
	s_and_b64 vcc, exec, s[18:19]
	s_cbranch_vccz .LBB104_37
; %bb.24:                               ;   in Loop: Header=BB104_11 Depth=1
	ds_read_b64 v[34:35], v28
	v_lshl_add_u64 v[36:37], v[0:1], 3, v[18:19]
	s_waitcnt lgkmcnt(0)
	global_store_dwordx2 v[36:37], v[34:35], off
	s_cbranch_execnz .LBB104_26
.LBB104_25:                             ;   in Loop: Header=BB104_11 Depth=1
	ds_read_b64 v[34:35], v28
	s_waitcnt lgkmcnt(0)
	global_store_dwordx2 v[16:17], v[34:35], off
.LBB104_26:                             ;   in Loop: Header=BB104_11 Depth=1
	s_or_b64 exec, exec, s[0:1]
	v_cndmask_b32_e64 v3, 0, 1, s[18:19]
	v_cmp_ne_u32_e64 s[0:1], 1, v3
	s_and_saveexec_b64 s[26:27], s[2:3]
	s_cbranch_execz .LBB104_30
; %bb.27:                               ;   in Loop: Header=BB104_11 Depth=1
	s_and_b64 vcc, exec, s[0:1]
	s_cbranch_vccnz .LBB104_38
; %bb.28:                               ;   in Loop: Header=BB104_11 Depth=1
	ds_read_b64 v[34:35], v28 offset:32
	v_lshl_add_u64 v[36:37], v[8:9], 3, v[18:19]
	s_waitcnt lgkmcnt(0)
	global_store_dwordx2 v[36:37], v[34:35], off
	s_cbranch_execnz .LBB104_30
.LBB104_29:                             ;   in Loop: Header=BB104_11 Depth=1
	ds_read_b64 v[34:35], v28 offset:32
	s_waitcnt lgkmcnt(0)
	global_store_dwordx2 v[16:17], v[34:35], off offset:32
.LBB104_30:                             ;   in Loop: Header=BB104_11 Depth=1
	s_or_b64 exec, exec, s[26:27]
	s_and_saveexec_b64 s[26:27], s[4:5]
	s_cbranch_execz .LBB104_34
; %bb.31:                               ;   in Loop: Header=BB104_11 Depth=1
	s_and_b64 vcc, exec, s[0:1]
	s_cbranch_vccnz .LBB104_39
; %bb.32:                               ;   in Loop: Header=BB104_11 Depth=1
	ds_read_b64 v[34:35], v28 offset:64
	v_lshl_add_u64 v[36:37], v[10:11], 3, v[18:19]
	s_waitcnt lgkmcnt(0)
	global_store_dwordx2 v[36:37], v[34:35], off
	s_cbranch_execnz .LBB104_34
.LBB104_33:                             ;   in Loop: Header=BB104_11 Depth=1
	ds_read_b64 v[34:35], v28 offset:64
	s_waitcnt lgkmcnt(0)
	global_store_dwordx2 v[16:17], v[34:35], off offset:64
.LBB104_34:                             ;   in Loop: Header=BB104_11 Depth=1
	s_or_b64 exec, exec, s[26:27]
	v_mov_b32_e32 v21, 1
	s_and_saveexec_b64 s[26:27], s[6:7]
	s_cbranch_execz .LBB104_9
; %bb.35:                               ;   in Loop: Header=BB104_11 Depth=1
	s_and_b64 vcc, exec, s[0:1]
	s_cbranch_vccnz .LBB104_40
; %bb.36:                               ;   in Loop: Header=BB104_11 Depth=1
	ds_read_b64 v[34:35], v28 offset:96
	v_lshl_add_u64 v[18:19], v[12:13], 3, v[18:19]
	s_mov_b32 s28, 1
	s_waitcnt lgkmcnt(0)
	global_store_dwordx2 v[18:19], v[34:35], off
	s_cbranch_execnz .LBB104_8
	s_branch .LBB104_41
.LBB104_37:                             ;   in Loop: Header=BB104_11 Depth=1
	s_branch .LBB104_25
.LBB104_38:                             ;   in Loop: Header=BB104_11 Depth=1
	s_branch .LBB104_29
.LBB104_39:                             ;   in Loop: Header=BB104_11 Depth=1
	s_branch .LBB104_33
.LBB104_40:                             ;   in Loop: Header=BB104_11 Depth=1
                                        ; implicit-def: $sgpr28
.LBB104_41:                             ;   in Loop: Header=BB104_11 Depth=1
	ds_read_b64 v[18:19], v28 offset:96
	s_mov_b32 s28, 1
	s_waitcnt lgkmcnt(0)
	global_store_dwordx2 v[16:17], v[18:19], off offset:96
	s_branch .LBB104_8
.LBB104_42:
	s_endpgm
	.section	.rodata,"a",@progbits
	.p2align	6, 0x0
	.amdhsa_kernel _ZN9rocsparseL44csr2gebsr_wavefront_per_row_multipass_kernelILi256ELi16ELi16ELi64EdEEv20rocsparse_direction_iiiiii21rocsparse_index_base_PKT3_PKiS7_S2_PS3_PiS9_
		.amdhsa_group_segment_fixed_size 8200
		.amdhsa_private_segment_fixed_size 0
		.amdhsa_kernarg_size 88
		.amdhsa_user_sgpr_count 2
		.amdhsa_user_sgpr_dispatch_ptr 0
		.amdhsa_user_sgpr_queue_ptr 0
		.amdhsa_user_sgpr_kernarg_segment_ptr 1
		.amdhsa_user_sgpr_dispatch_id 0
		.amdhsa_user_sgpr_kernarg_preload_length 0
		.amdhsa_user_sgpr_kernarg_preload_offset 0
		.amdhsa_user_sgpr_private_segment_size 0
		.amdhsa_uses_dynamic_stack 0
		.amdhsa_enable_private_segment 0
		.amdhsa_system_sgpr_workgroup_id_x 1
		.amdhsa_system_sgpr_workgroup_id_y 0
		.amdhsa_system_sgpr_workgroup_id_z 0
		.amdhsa_system_sgpr_workgroup_info 0
		.amdhsa_system_vgpr_workitem_id 0
		.amdhsa_next_free_vgpr 40
		.amdhsa_next_free_sgpr 35
		.amdhsa_accum_offset 40
		.amdhsa_reserve_vcc 1
		.amdhsa_float_round_mode_32 0
		.amdhsa_float_round_mode_16_64 0
		.amdhsa_float_denorm_mode_32 3
		.amdhsa_float_denorm_mode_16_64 3
		.amdhsa_dx10_clamp 1
		.amdhsa_ieee_mode 1
		.amdhsa_fp16_overflow 0
		.amdhsa_tg_split 0
		.amdhsa_exception_fp_ieee_invalid_op 0
		.amdhsa_exception_fp_denorm_src 0
		.amdhsa_exception_fp_ieee_div_zero 0
		.amdhsa_exception_fp_ieee_overflow 0
		.amdhsa_exception_fp_ieee_underflow 0
		.amdhsa_exception_fp_ieee_inexact 0
		.amdhsa_exception_int_div_zero 0
	.end_amdhsa_kernel
	.section	.text._ZN9rocsparseL44csr2gebsr_wavefront_per_row_multipass_kernelILi256ELi16ELi16ELi64EdEEv20rocsparse_direction_iiiiii21rocsparse_index_base_PKT3_PKiS7_S2_PS3_PiS9_,"axG",@progbits,_ZN9rocsparseL44csr2gebsr_wavefront_per_row_multipass_kernelILi256ELi16ELi16ELi64EdEEv20rocsparse_direction_iiiiii21rocsparse_index_base_PKT3_PKiS7_S2_PS3_PiS9_,comdat
.Lfunc_end104:
	.size	_ZN9rocsparseL44csr2gebsr_wavefront_per_row_multipass_kernelILi256ELi16ELi16ELi64EdEEv20rocsparse_direction_iiiiii21rocsparse_index_base_PKT3_PKiS7_S2_PS3_PiS9_, .Lfunc_end104-_ZN9rocsparseL44csr2gebsr_wavefront_per_row_multipass_kernelILi256ELi16ELi16ELi64EdEEv20rocsparse_direction_iiiiii21rocsparse_index_base_PKT3_PKiS7_S2_PS3_PiS9_
                                        ; -- End function
	.section	.AMDGPU.csdata,"",@progbits
; Kernel info:
; codeLenInByte = 1588
; NumSgprs: 41
; NumVgprs: 40
; NumAgprs: 0
; TotalNumVgprs: 40
; ScratchSize: 0
; MemoryBound: 0
; FloatMode: 240
; IeeeMode: 1
; LDSByteSize: 8200 bytes/workgroup (compile time only)
; SGPRBlocks: 5
; VGPRBlocks: 4
; NumSGPRsForWavesPerEU: 41
; NumVGPRsForWavesPerEU: 40
; AccumOffset: 40
; Occupancy: 7
; WaveLimiterHint : 0
; COMPUTE_PGM_RSRC2:SCRATCH_EN: 0
; COMPUTE_PGM_RSRC2:USER_SGPR: 2
; COMPUTE_PGM_RSRC2:TRAP_HANDLER: 0
; COMPUTE_PGM_RSRC2:TGID_X_EN: 1
; COMPUTE_PGM_RSRC2:TGID_Y_EN: 0
; COMPUTE_PGM_RSRC2:TGID_Z_EN: 0
; COMPUTE_PGM_RSRC2:TIDIG_COMP_CNT: 0
; COMPUTE_PGM_RSRC3_GFX90A:ACCUM_OFFSET: 9
; COMPUTE_PGM_RSRC3_GFX90A:TG_SPLIT: 0
	.section	.text._ZN9rocsparseL44csr2gebsr_wavefront_per_row_multipass_kernelILi256ELi16ELi16ELi32EdEEv20rocsparse_direction_iiiiii21rocsparse_index_base_PKT3_PKiS7_S2_PS3_PiS9_,"axG",@progbits,_ZN9rocsparseL44csr2gebsr_wavefront_per_row_multipass_kernelILi256ELi16ELi16ELi32EdEEv20rocsparse_direction_iiiiii21rocsparse_index_base_PKT3_PKiS7_S2_PS3_PiS9_,comdat
	.globl	_ZN9rocsparseL44csr2gebsr_wavefront_per_row_multipass_kernelILi256ELi16ELi16ELi32EdEEv20rocsparse_direction_iiiiii21rocsparse_index_base_PKT3_PKiS7_S2_PS3_PiS9_ ; -- Begin function _ZN9rocsparseL44csr2gebsr_wavefront_per_row_multipass_kernelILi256ELi16ELi16ELi32EdEEv20rocsparse_direction_iiiiii21rocsparse_index_base_PKT3_PKiS7_S2_PS3_PiS9_
	.p2align	8
	.type	_ZN9rocsparseL44csr2gebsr_wavefront_per_row_multipass_kernelILi256ELi16ELi16ELi32EdEEv20rocsparse_direction_iiiiii21rocsparse_index_base_PKT3_PKiS7_S2_PS3_PiS9_,@function
_ZN9rocsparseL44csr2gebsr_wavefront_per_row_multipass_kernelILi256ELi16ELi16ELi32EdEEv20rocsparse_direction_iiiiii21rocsparse_index_base_PKT3_PKiS7_S2_PS3_PiS9_: ; @_ZN9rocsparseL44csr2gebsr_wavefront_per_row_multipass_kernelILi256ELi16ELi16ELi32EdEEv20rocsparse_direction_iiiiii21rocsparse_index_base_PKT3_PKiS7_S2_PS3_PiS9_
; %bb.0:
	s_load_dwordx2 s[4:5], s[0:1], 0x0
	s_load_dwordx4 s[16:19], s[0:1], 0xc
	s_load_dword s33, s[0:1], 0x1c
	s_load_dwordx2 s[6:7], s[0:1], 0x28
	v_lshrrev_b32_e32 v32, 5, v0
	v_bfe_u32 v8, v0, 1, 4
	v_lshl_or_b32 v4, s2, 3, v32
	s_waitcnt lgkmcnt(0)
	v_mad_u64_u32 v[2:3], s[2:3], v4, s18, v[8:9]
	v_cmp_gt_i32_e64 s[2:3], s5, v2
	v_cmp_gt_i32_e32 vcc, s18, v8
	s_and_b64 s[2:3], vcc, s[2:3]
	v_mov_b32_e32 v33, 0
	v_mov_b32_e32 v20, 0
	s_and_saveexec_b64 s[8:9], s[2:3]
	s_cbranch_execz .LBB105_2
; %bb.1:
	v_ashrrev_i32_e32 v3, 31, v2
	v_lshl_add_u64 v[6:7], v[2:3], 2, s[6:7]
	global_load_dword v1, v[6:7], off
	s_waitcnt vmcnt(0)
	v_subrev_u32_e32 v20, s33, v1
.LBB105_2:
	s_or_b64 exec, exec, s[8:9]
	s_and_saveexec_b64 s[8:9], s[2:3]
	s_cbranch_execz .LBB105_4
; %bb.3:
	v_ashrrev_i32_e32 v3, 31, v2
	v_lshl_add_u64 v[2:3], v[2:3], 2, s[6:7]
	global_load_dword v1, v[2:3], off offset:4
	s_waitcnt vmcnt(0)
	v_subrev_u32_e32 v33, s33, v1
.LBB105_4:
	s_or_b64 exec, exec, s[8:9]
	s_load_dword s40, s[0:1], 0x38
	v_cmp_gt_i32_e64 s[2:3], s16, v4
	v_mov_b32_e32 v2, 0
	s_and_saveexec_b64 s[6:7], s[2:3]
	s_cbranch_execz .LBB105_6
; %bb.5:
	s_load_dwordx2 s[2:3], s[0:1], 0x48
	v_ashrrev_i32_e32 v5, 31, v4
	s_waitcnt lgkmcnt(0)
	v_lshl_add_u64 v[2:3], v[4:5], 2, s[2:3]
	global_load_dword v1, v[2:3], off
	s_waitcnt vmcnt(0)
	v_subrev_u32_e32 v2, s40, v1
.LBB105_6:
	s_or_b64 exec, exec, s[6:7]
	s_cmp_lt_i32 s17, 1
	s_cbranch_scc1 .LBB105_60
; %bb.7:
	s_load_dwordx2 s[20:21], s[0:1], 0x20
	s_load_dwordx2 s[22:23], s[0:1], 0x50
	;; [unrolled: 1-line block ×4, first 2 shown]
	v_lshlrev_b32_e32 v1, 8, v32
	v_lshl_or_b32 v34, v8, 4, v1
	v_lshlrev_b32_e32 v4, 3, v8
	v_mul_lo_u32 v8, v8, s19
	v_and_b32_e32 v0, 1, v0
	v_mbcnt_lo_u32_b32 v1, -1, 0
	s_cmp_lg_u32 s4, 0
	v_mov_b32_e32 v5, 0
	v_ashrrev_i32_e32 v9, 31, v8
	v_mbcnt_hi_u32_b32 v1, -1, v1
	s_cselect_b64 s[26:27], -1, 0
	s_ashr_i32 s16, s19, 31
	s_waitcnt lgkmcnt(0)
	v_lshl_add_u64 v[6:7], s[2:3], 0, v[4:5]
	v_lshl_add_u64 v[8:9], v[8:9], 3, s[2:3]
	v_lshlrev_b32_e32 v4, 3, v0
	v_lshlrev_b32_e32 v3, 2, v1
	v_or_b32_e32 v10, v34, v0
	s_mul_hi_u32 s0, s19, s18
	s_mul_i32 s1, s16, s18
	s_mul_i32 s42, s19, s18
	v_lshl_add_u64 v[8:9], v[8:9], 0, v[4:5]
	v_mul_lo_u32 v4, v0, s18
	s_lshl_b32 s18, s18, 1
	v_or_b32_e32 v36, 4, v3
	v_or_b32_e32 v37, 0x7c, v3
	v_lshlrev_b32_e32 v38, 3, v10
	v_or_b32_e32 v3, 2, v0
	v_add_u32_e32 v10, s18, v4
	v_cmp_gt_u32_e64 s[2:3], s19, v3
	v_or_b32_e32 v3, 4, v0
	v_add_u32_e32 v12, s18, v10
	v_cmp_gt_u32_e64 s[4:5], s19, v3
	;; [unrolled: 3-line block ×6, first 2 shown]
	v_or_b32_e32 v3, 14, v0
	v_add_u32_e32 v24, s18, v22
	s_abs_i32 s18, s19
	v_cmp_gt_u32_e64 s[14:15], s19, v3
	v_cvt_f32_u32_e32 v3, s18
	s_add_i32 s41, s0, s1
	v_cmp_gt_u32_e64 s[0:1], s19, v0
	s_and_b64 s[28:29], s[0:1], vcc
	v_rcp_iflag_f32_e32 v3, v3
	s_sub_i32 s0, 0, s18
	s_mov_b32 s36, 0
	s_mov_b32 s37, s36
	v_mul_f32_e32 v3, 0x4f7ffffe, v3
	v_cvt_u32_f32_e32 v3, v3
	v_mov_b32_e32 v35, 0
	v_mov_b32_e32 v1, v5
	v_mov_b32_e32 v11, v5
	v_mul_lo_u32 v21, s0, v3
	v_mul_hi_u32 v21, v3, v21
	v_add_u32_e32 v39, v3, v21
	v_cndmask_b32_e64 v3, 0, 1, s[26:27]
	v_mov_b32_e32 v13, v5
	v_mov_b32_e32 v15, v5
	;; [unrolled: 1-line block ×6, first 2 shown]
	s_and_b64 s[30:31], vcc, s[2:3]
	s_and_b64 s[4:5], vcc, s[4:5]
	;; [unrolled: 1-line block ×7, first 2 shown]
	s_mov_b64 s[34:35], 0
	v_mov_b64_e32 v[26:27], s[36:37]
	v_cmp_ne_u32_e64 s[0:1], 1, v3
	v_mov_b32_e32 v40, 1
	v_mov_b32_e32 v3, 0
	s_branch .LBB105_11
.LBB105_8:                              ;   in Loop: Header=BB105_11 Depth=1
	v_mov_b32_e32 v21, s43
.LBB105_9:                              ;   in Loop: Header=BB105_11 Depth=1
	s_or_b64 exec, exec, s[36:37]
.LBB105_10:                             ;   in Loop: Header=BB105_11 Depth=1
	s_or_b64 exec, exec, s[2:3]
	v_mov_b32_dpp v3, v41 row_shr:1 row_mask:0xf bank_mask:0xf
	v_min_i32_e32 v3, v3, v41
	v_add_u32_e32 v2, v21, v2
	s_waitcnt lgkmcnt(0)
	v_mov_b32_dpp v28, v3 row_shr:2 row_mask:0xf bank_mask:0xf
	v_min_i32_e32 v3, v28, v3
	s_nop 1
	v_mov_b32_dpp v28, v3 row_shr:4 row_mask:0xf bank_mask:0xe
	v_min_i32_e32 v3, v28, v3
	s_nop 1
	;; [unrolled: 3-line block ×3, first 2 shown]
	v_mov_b32_dpp v28, v3 row_bcast:15 row_mask:0xa bank_mask:0xf
	v_min_i32_e32 v3, v28, v3
	ds_bpermute_b32 v3, v37, v3
	s_waitcnt lgkmcnt(0)
	v_cmp_le_i32_e32 vcc, s17, v3
	s_or_b64 s[34:35], vcc, s[34:35]
	s_andn2_b64 exec, exec, s[34:35]
	s_cbranch_execz .LBB105_60
.LBB105_11:                             ; =>This Loop Header: Depth=1
                                        ;     Child Loop BB105_14 Depth 2
	v_add_u32_e32 v30, v20, v0
	v_cmp_lt_i32_e32 vcc, v30, v33
	v_mov_b32_e32 v41, s17
	v_mov_b32_e32 v42, v33
	ds_write_b8 v32, v35 offset:16384
	ds_write2_b64 v38, v[26:27], v[26:27] offset1:2
	ds_write2_b64 v38, v[26:27], v[26:27] offset0:4 offset1:6
	ds_write2_b64 v38, v[26:27], v[26:27] offset0:8 offset1:10
	;; [unrolled: 1-line block ×3, first 2 shown]
	s_waitcnt lgkmcnt(0)
	s_and_saveexec_b64 s[36:37], vcc
	s_cbranch_execz .LBB105_19
; %bb.12:                               ;   in Loop: Header=BB105_11 Depth=1
	v_ashrrev_i32_e32 v21, 31, v20
	v_lshl_add_u64 v[28:29], v[0:1], 0, v[20:21]
	v_mul_lo_u32 v31, v3, s19
	v_lshl_add_u64 v[20:21], v[28:29], 2, s[24:25]
	v_lshl_add_u64 v[28:29], v[28:29], 3, s[20:21]
	s_mov_b64 s[38:39], 0
	v_mov_b32_e32 v41, s17
	v_mov_b32_e32 v42, v33
	s_branch .LBB105_14
.LBB105_13:                             ;   in Loop: Header=BB105_14 Depth=2
	s_or_b64 exec, exec, s[2:3]
	v_add_u32_e32 v30, 2, v30
	v_cmp_ge_i32_e64 s[2:3], v30, v33
	s_xor_b64 s[44:45], vcc, -1
	s_or_b64 s[2:3], s[44:45], s[2:3]
	s_and_b64 s[2:3], exec, s[2:3]
	v_lshl_add_u64 v[20:21], v[20:21], 0, 8
	s_or_b64 s[38:39], s[2:3], s[38:39]
	v_lshl_add_u64 v[28:29], v[28:29], 0, 16
	s_andn2_b64 exec, exec, s[38:39]
	s_cbranch_execz .LBB105_18
.LBB105_14:                             ;   Parent Loop BB105_11 Depth=1
                                        ; =>  This Inner Loop Header: Depth=2
	global_load_dword v43, v[20:21], off
	s_waitcnt vmcnt(0)
	v_subrev_u32_e32 v43, s33, v43
	v_sub_u32_e32 v45, 0, v43
	v_max_i32_e32 v45, v43, v45
	v_mul_hi_u32 v46, v45, v39
	v_mul_lo_u32 v47, v46, s18
	v_sub_u32_e32 v45, v45, v47
	v_add_u32_e32 v48, 1, v46
	v_cmp_le_u32_e32 vcc, s18, v45
	v_subrev_u32_e32 v47, s18, v45
	v_ashrrev_i32_e32 v44, 31, v43
	v_cndmask_b32_e32 v46, v46, v48, vcc
	v_cndmask_b32_e32 v45, v45, v47, vcc
	v_add_u32_e32 v47, 1, v46
	v_cmp_le_u32_e32 vcc, s18, v45
	v_xor_b32_e32 v44, s16, v44
	s_nop 0
	v_cndmask_b32_e32 v45, v46, v47, vcc
	v_xor_b32_e32 v45, v45, v44
	v_sub_u32_e32 v45, v45, v44
	v_cmp_eq_u32_e32 vcc, v45, v3
	v_cmp_ne_u32_e64 s[2:3], v45, v3
	v_mov_b32_e32 v44, v42
	s_and_saveexec_b64 s[44:45], s[2:3]
	s_xor_b64 s[2:3], exec, s[44:45]
; %bb.15:                               ;   in Loop: Header=BB105_14 Depth=2
	v_min_i32_e32 v41, v45, v41
                                        ; implicit-def: $vgpr43
                                        ; implicit-def: $vgpr44
; %bb.16:                               ;   in Loop: Header=BB105_14 Depth=2
	s_or_saveexec_b64 s[2:3], s[2:3]
	v_mov_b32_e32 v42, v30
	s_xor_b64 exec, exec, s[2:3]
	s_cbranch_execz .LBB105_13
; %bb.17:                               ;   in Loop: Header=BB105_14 Depth=2
	global_load_dwordx2 v[46:47], v[28:29], off
	v_sub_u32_e32 v42, v43, v31
	v_add_lshl_u32 v42, v34, v42, 3
	ds_write_b8 v32, v40 offset:16384
	s_waitcnt vmcnt(0)
	ds_write_b64 v42, v[46:47]
	v_mov_b32_e32 v42, v44
	s_branch .LBB105_13
.LBB105_18:                             ;   in Loop: Header=BB105_11 Depth=1
	s_or_b64 exec, exec, s[38:39]
.LBB105_19:                             ;   in Loop: Header=BB105_11 Depth=1
	s_or_b64 exec, exec, s[36:37]
	s_waitcnt lgkmcnt(0)
	ds_read_u8 v21, v32 offset:16384
	v_mov_b32_dpp v20, v42 row_shr:1 row_mask:0xf bank_mask:0xf
	v_min_i32_e32 v20, v20, v42
	ds_bpermute_b32 v20, v36, v20
	s_waitcnt lgkmcnt(1)
	v_and_b32_e32 v21, 1, v21
	v_cmp_eq_u32_e32 vcc, 1, v21
	v_mov_b32_e32 v21, 0
	s_and_saveexec_b64 s[2:3], vcc
	s_cbranch_execz .LBB105_10
; %bb.20:                               ;   in Loop: Header=BB105_11 Depth=1
	v_add_u32_e32 v21, s40, v3
	v_ashrrev_i32_e32 v3, 31, v2
	v_lshl_add_u64 v[28:29], v[2:3], 2, s[22:23]
	global_store_dword v[28:29], v21, off
	v_mul_lo_u32 v21, s41, v2
	v_mul_lo_u32 v3, s42, v3
	v_mad_u64_u32 v[28:29], s[36:37], s42, v2, 0
	v_add3_u32 v29, v29, v3, v21
	v_lshlrev_b64 v[28:29], 3, v[28:29]
	v_lshl_add_u64 v[30:31], v[6:7], 0, v[28:29]
	v_lshl_add_u64 v[28:29], v[8:9], 0, v[28:29]
	s_and_saveexec_b64 s[36:37], s[28:29]
	s_cbranch_execz .LBB105_24
; %bb.21:                               ;   in Loop: Header=BB105_11 Depth=1
	s_and_b64 vcc, exec, s[26:27]
	s_cbranch_vccz .LBB105_51
; %bb.22:                               ;   in Loop: Header=BB105_11 Depth=1
	ds_read_b64 v[42:43], v38
	v_lshl_add_u64 v[44:45], v[4:5], 3, v[30:31]
	s_waitcnt lgkmcnt(0)
	global_store_dwordx2 v[44:45], v[42:43], off
	s_cbranch_execnz .LBB105_24
.LBB105_23:                             ;   in Loop: Header=BB105_11 Depth=1
	ds_read_b64 v[42:43], v38
	s_waitcnt lgkmcnt(0)
	global_store_dwordx2 v[28:29], v[42:43], off
.LBB105_24:                             ;   in Loop: Header=BB105_11 Depth=1
	s_or_b64 exec, exec, s[36:37]
	s_and_saveexec_b64 s[36:37], s[30:31]
	s_cbranch_execz .LBB105_28
; %bb.25:                               ;   in Loop: Header=BB105_11 Depth=1
	s_and_b64 vcc, exec, s[0:1]
	s_cbranch_vccnz .LBB105_52
; %bb.26:                               ;   in Loop: Header=BB105_11 Depth=1
	ds_read_b64 v[42:43], v38 offset:16
	v_lshl_add_u64 v[44:45], v[10:11], 3, v[30:31]
	s_waitcnt lgkmcnt(0)
	global_store_dwordx2 v[44:45], v[42:43], off
	s_cbranch_execnz .LBB105_28
.LBB105_27:                             ;   in Loop: Header=BB105_11 Depth=1
	ds_read_b64 v[42:43], v38 offset:16
	s_waitcnt lgkmcnt(0)
	global_store_dwordx2 v[28:29], v[42:43], off offset:16
.LBB105_28:                             ;   in Loop: Header=BB105_11 Depth=1
	s_or_b64 exec, exec, s[36:37]
	s_and_saveexec_b64 s[36:37], s[4:5]
	s_cbranch_execz .LBB105_32
; %bb.29:                               ;   in Loop: Header=BB105_11 Depth=1
	s_and_b64 vcc, exec, s[0:1]
	s_cbranch_vccnz .LBB105_53
; %bb.30:                               ;   in Loop: Header=BB105_11 Depth=1
	ds_read_b64 v[42:43], v38 offset:32
	v_lshl_add_u64 v[44:45], v[12:13], 3, v[30:31]
	s_waitcnt lgkmcnt(0)
	global_store_dwordx2 v[44:45], v[42:43], off
	s_cbranch_execnz .LBB105_32
.LBB105_31:                             ;   in Loop: Header=BB105_11 Depth=1
	ds_read_b64 v[42:43], v38 offset:32
	s_waitcnt lgkmcnt(0)
	global_store_dwordx2 v[28:29], v[42:43], off offset:32
.LBB105_32:                             ;   in Loop: Header=BB105_11 Depth=1
	s_or_b64 exec, exec, s[36:37]
	s_and_saveexec_b64 s[36:37], s[6:7]
	s_cbranch_execz .LBB105_36
; %bb.33:                               ;   in Loop: Header=BB105_11 Depth=1
	s_and_b64 vcc, exec, s[0:1]
	s_cbranch_vccnz .LBB105_54
; %bb.34:                               ;   in Loop: Header=BB105_11 Depth=1
	ds_read_b64 v[42:43], v38 offset:48
	v_lshl_add_u64 v[44:45], v[14:15], 3, v[30:31]
	s_waitcnt lgkmcnt(0)
	global_store_dwordx2 v[44:45], v[42:43], off
	s_cbranch_execnz .LBB105_36
.LBB105_35:                             ;   in Loop: Header=BB105_11 Depth=1
	ds_read_b64 v[42:43], v38 offset:48
	s_waitcnt lgkmcnt(0)
	global_store_dwordx2 v[28:29], v[42:43], off offset:48
.LBB105_36:                             ;   in Loop: Header=BB105_11 Depth=1
	s_or_b64 exec, exec, s[36:37]
	s_and_saveexec_b64 s[36:37], s[8:9]
	s_cbranch_execz .LBB105_40
; %bb.37:                               ;   in Loop: Header=BB105_11 Depth=1
	s_and_b64 vcc, exec, s[0:1]
	s_cbranch_vccnz .LBB105_55
; %bb.38:                               ;   in Loop: Header=BB105_11 Depth=1
	ds_read_b64 v[42:43], v38 offset:64
	v_lshl_add_u64 v[44:45], v[16:17], 3, v[30:31]
	s_waitcnt lgkmcnt(0)
	global_store_dwordx2 v[44:45], v[42:43], off
	s_cbranch_execnz .LBB105_40
.LBB105_39:                             ;   in Loop: Header=BB105_11 Depth=1
	ds_read_b64 v[42:43], v38 offset:64
	s_waitcnt lgkmcnt(0)
	global_store_dwordx2 v[28:29], v[42:43], off offset:64
.LBB105_40:                             ;   in Loop: Header=BB105_11 Depth=1
	s_or_b64 exec, exec, s[36:37]
	s_and_saveexec_b64 s[36:37], s[10:11]
	s_cbranch_execz .LBB105_44
; %bb.41:                               ;   in Loop: Header=BB105_11 Depth=1
	s_and_b64 vcc, exec, s[0:1]
	s_cbranch_vccnz .LBB105_56
; %bb.42:                               ;   in Loop: Header=BB105_11 Depth=1
	ds_read_b64 v[42:43], v38 offset:80
	v_lshl_add_u64 v[44:45], v[18:19], 3, v[30:31]
	s_waitcnt lgkmcnt(0)
	global_store_dwordx2 v[44:45], v[42:43], off
	s_cbranch_execnz .LBB105_44
.LBB105_43:                             ;   in Loop: Header=BB105_11 Depth=1
	ds_read_b64 v[42:43], v38 offset:80
	s_waitcnt lgkmcnt(0)
	global_store_dwordx2 v[28:29], v[42:43], off offset:80
.LBB105_44:                             ;   in Loop: Header=BB105_11 Depth=1
	s_or_b64 exec, exec, s[36:37]
	s_and_saveexec_b64 s[36:37], s[12:13]
	s_cbranch_execz .LBB105_48
; %bb.45:                               ;   in Loop: Header=BB105_11 Depth=1
	s_and_b64 vcc, exec, s[0:1]
	s_cbranch_vccnz .LBB105_57
; %bb.46:                               ;   in Loop: Header=BB105_11 Depth=1
	ds_read_b64 v[42:43], v38 offset:96
	v_lshl_add_u64 v[44:45], v[22:23], 3, v[30:31]
	s_waitcnt lgkmcnt(0)
	global_store_dwordx2 v[44:45], v[42:43], off
	s_cbranch_execnz .LBB105_48
.LBB105_47:                             ;   in Loop: Header=BB105_11 Depth=1
	ds_read_b64 v[42:43], v38 offset:96
	s_waitcnt lgkmcnt(0)
	global_store_dwordx2 v[28:29], v[42:43], off offset:96
.LBB105_48:                             ;   in Loop: Header=BB105_11 Depth=1
	s_or_b64 exec, exec, s[36:37]
	v_mov_b32_e32 v21, 1
	s_and_saveexec_b64 s[36:37], s[14:15]
	s_cbranch_execz .LBB105_9
; %bb.49:                               ;   in Loop: Header=BB105_11 Depth=1
	s_and_b64 vcc, exec, s[0:1]
	s_cbranch_vccnz .LBB105_58
; %bb.50:                               ;   in Loop: Header=BB105_11 Depth=1
	ds_read_b64 v[42:43], v38 offset:112
	v_lshl_add_u64 v[30:31], v[24:25], 3, v[30:31]
	s_mov_b32 s43, 1
	s_waitcnt lgkmcnt(0)
	global_store_dwordx2 v[30:31], v[42:43], off
	s_cbranch_execnz .LBB105_8
	s_branch .LBB105_59
.LBB105_51:                             ;   in Loop: Header=BB105_11 Depth=1
	s_branch .LBB105_23
.LBB105_52:                             ;   in Loop: Header=BB105_11 Depth=1
	s_branch .LBB105_27
.LBB105_53:                             ;   in Loop: Header=BB105_11 Depth=1
	s_branch .LBB105_31
.LBB105_54:                             ;   in Loop: Header=BB105_11 Depth=1
	s_branch .LBB105_35
.LBB105_55:                             ;   in Loop: Header=BB105_11 Depth=1
	s_branch .LBB105_39
.LBB105_56:                             ;   in Loop: Header=BB105_11 Depth=1
	s_branch .LBB105_43
.LBB105_57:                             ;   in Loop: Header=BB105_11 Depth=1
	s_branch .LBB105_47
.LBB105_58:                             ;   in Loop: Header=BB105_11 Depth=1
                                        ; implicit-def: $sgpr43
.LBB105_59:                             ;   in Loop: Header=BB105_11 Depth=1
	ds_read_b64 v[30:31], v38 offset:112
	s_mov_b32 s43, 1
	s_waitcnt lgkmcnt(0)
	global_store_dwordx2 v[28:29], v[30:31], off offset:112
	s_branch .LBB105_8
.LBB105_60:
	s_endpgm
	.section	.rodata,"a",@progbits
	.p2align	6, 0x0
	.amdhsa_kernel _ZN9rocsparseL44csr2gebsr_wavefront_per_row_multipass_kernelILi256ELi16ELi16ELi32EdEEv20rocsparse_direction_iiiiii21rocsparse_index_base_PKT3_PKiS7_S2_PS3_PiS9_
		.amdhsa_group_segment_fixed_size 16392
		.amdhsa_private_segment_fixed_size 0
		.amdhsa_kernarg_size 88
		.amdhsa_user_sgpr_count 2
		.amdhsa_user_sgpr_dispatch_ptr 0
		.amdhsa_user_sgpr_queue_ptr 0
		.amdhsa_user_sgpr_kernarg_segment_ptr 1
		.amdhsa_user_sgpr_dispatch_id 0
		.amdhsa_user_sgpr_kernarg_preload_length 0
		.amdhsa_user_sgpr_kernarg_preload_offset 0
		.amdhsa_user_sgpr_private_segment_size 0
		.amdhsa_uses_dynamic_stack 0
		.amdhsa_enable_private_segment 0
		.amdhsa_system_sgpr_workgroup_id_x 1
		.amdhsa_system_sgpr_workgroup_id_y 0
		.amdhsa_system_sgpr_workgroup_id_z 0
		.amdhsa_system_sgpr_workgroup_info 0
		.amdhsa_system_vgpr_workitem_id 0
		.amdhsa_next_free_vgpr 49
		.amdhsa_next_free_sgpr 46
		.amdhsa_accum_offset 52
		.amdhsa_reserve_vcc 1
		.amdhsa_float_round_mode_32 0
		.amdhsa_float_round_mode_16_64 0
		.amdhsa_float_denorm_mode_32 3
		.amdhsa_float_denorm_mode_16_64 3
		.amdhsa_dx10_clamp 1
		.amdhsa_ieee_mode 1
		.amdhsa_fp16_overflow 0
		.amdhsa_tg_split 0
		.amdhsa_exception_fp_ieee_invalid_op 0
		.amdhsa_exception_fp_denorm_src 0
		.amdhsa_exception_fp_ieee_div_zero 0
		.amdhsa_exception_fp_ieee_overflow 0
		.amdhsa_exception_fp_ieee_underflow 0
		.amdhsa_exception_fp_ieee_inexact 0
		.amdhsa_exception_int_div_zero 0
	.end_amdhsa_kernel
	.section	.text._ZN9rocsparseL44csr2gebsr_wavefront_per_row_multipass_kernelILi256ELi16ELi16ELi32EdEEv20rocsparse_direction_iiiiii21rocsparse_index_base_PKT3_PKiS7_S2_PS3_PiS9_,"axG",@progbits,_ZN9rocsparseL44csr2gebsr_wavefront_per_row_multipass_kernelILi256ELi16ELi16ELi32EdEEv20rocsparse_direction_iiiiii21rocsparse_index_base_PKT3_PKiS7_S2_PS3_PiS9_,comdat
.Lfunc_end105:
	.size	_ZN9rocsparseL44csr2gebsr_wavefront_per_row_multipass_kernelILi256ELi16ELi16ELi32EdEEv20rocsparse_direction_iiiiii21rocsparse_index_base_PKT3_PKiS7_S2_PS3_PiS9_, .Lfunc_end105-_ZN9rocsparseL44csr2gebsr_wavefront_per_row_multipass_kernelILi256ELi16ELi16ELi32EdEEv20rocsparse_direction_iiiiii21rocsparse_index_base_PKT3_PKiS7_S2_PS3_PiS9_
                                        ; -- End function
	.section	.AMDGPU.csdata,"",@progbits
; Kernel info:
; codeLenInByte = 1960
; NumSgprs: 52
; NumVgprs: 49
; NumAgprs: 0
; TotalNumVgprs: 49
; ScratchSize: 0
; MemoryBound: 0
; FloatMode: 240
; IeeeMode: 1
; LDSByteSize: 16392 bytes/workgroup (compile time only)
; SGPRBlocks: 6
; VGPRBlocks: 6
; NumSGPRsForWavesPerEU: 52
; NumVGPRsForWavesPerEU: 49
; AccumOffset: 52
; Occupancy: 3
; WaveLimiterHint : 0
; COMPUTE_PGM_RSRC2:SCRATCH_EN: 0
; COMPUTE_PGM_RSRC2:USER_SGPR: 2
; COMPUTE_PGM_RSRC2:TRAP_HANDLER: 0
; COMPUTE_PGM_RSRC2:TGID_X_EN: 1
; COMPUTE_PGM_RSRC2:TGID_Y_EN: 0
; COMPUTE_PGM_RSRC2:TGID_Z_EN: 0
; COMPUTE_PGM_RSRC2:TIDIG_COMP_CNT: 0
; COMPUTE_PGM_RSRC3_GFX90A:ACCUM_OFFSET: 12
; COMPUTE_PGM_RSRC3_GFX90A:TG_SPLIT: 0
	.section	.text._ZN9rocsparseL40csr2gebsr_block_per_row_multipass_kernelILj128ELj16ELj32EdEEv20rocsparse_direction_iiiiii21rocsparse_index_base_PKT2_PKiS7_S2_PS3_PiS9_,"axG",@progbits,_ZN9rocsparseL40csr2gebsr_block_per_row_multipass_kernelILj128ELj16ELj32EdEEv20rocsparse_direction_iiiiii21rocsparse_index_base_PKT2_PKiS7_S2_PS3_PiS9_,comdat
	.globl	_ZN9rocsparseL40csr2gebsr_block_per_row_multipass_kernelILj128ELj16ELj32EdEEv20rocsparse_direction_iiiiii21rocsparse_index_base_PKT2_PKiS7_S2_PS3_PiS9_ ; -- Begin function _ZN9rocsparseL40csr2gebsr_block_per_row_multipass_kernelILj128ELj16ELj32EdEEv20rocsparse_direction_iiiiii21rocsparse_index_base_PKT2_PKiS7_S2_PS3_PiS9_
	.p2align	8
	.type	_ZN9rocsparseL40csr2gebsr_block_per_row_multipass_kernelILj128ELj16ELj32EdEEv20rocsparse_direction_iiiiii21rocsparse_index_base_PKT2_PKiS7_S2_PS3_PiS9_,@function
_ZN9rocsparseL40csr2gebsr_block_per_row_multipass_kernelILj128ELj16ELj32EdEEv20rocsparse_direction_iiiiii21rocsparse_index_base_PKT2_PKiS7_S2_PS3_PiS9_: ; @_ZN9rocsparseL40csr2gebsr_block_per_row_multipass_kernelILj128ELj16ELj32EdEEv20rocsparse_direction_iiiiii21rocsparse_index_base_PKT2_PKiS7_S2_PS3_PiS9_
; %bb.0:
	s_load_dwordx4 s[20:23], s[0:1], 0x10
	s_load_dwordx2 s[6:7], s[0:1], 0x0
	s_load_dwordx2 s[8:9], s[0:1], 0x28
	v_lshrrev_b32_e32 v1, 3, v0
	v_mov_b32_e32 v18, 0
	s_waitcnt lgkmcnt(0)
	s_mul_i32 s3, s2, s21
	v_add_u32_e32 v2, s3, v1
	v_cmp_gt_i32_e64 s[4:5], s7, v2
	v_cmp_gt_i32_e32 vcc, s21, v1
	s_and_b64 s[4:5], vcc, s[4:5]
	v_mov_b32_e32 v27, 0
	s_and_saveexec_b64 s[10:11], s[4:5]
	s_cbranch_execnz .LBB106_3
; %bb.1:
	s_or_b64 exec, exec, s[10:11]
	s_and_saveexec_b64 s[10:11], s[4:5]
	s_cbranch_execnz .LBB106_4
.LBB106_2:
	s_or_b64 exec, exec, s[10:11]
	s_cmp_lt_i32 s20, 1
	s_cbranch_scc0 .LBB106_5
	s_branch .LBB106_39
.LBB106_3:
	v_ashrrev_i32_e32 v3, 31, v2
	v_lshl_add_u64 v[4:5], v[2:3], 2, s[8:9]
	global_load_dword v3, v[4:5], off
	s_waitcnt vmcnt(0)
	v_subrev_u32_e32 v27, s23, v3
	s_or_b64 exec, exec, s[10:11]
	s_and_saveexec_b64 s[10:11], s[4:5]
	s_cbranch_execz .LBB106_2
.LBB106_4:
	v_ashrrev_i32_e32 v3, 31, v2
	v_lshl_add_u64 v[2:3], v[2:3], 2, s[8:9]
	global_load_dword v2, v[2:3], off offset:4
	s_waitcnt vmcnt(0)
	v_subrev_u32_e32 v18, s23, v2
	s_or_b64 exec, exec, s[10:11]
	s_cmp_lt_i32 s20, 1
	s_cbranch_scc1 .LBB106_39
.LBB106_5:
	s_load_dwordx4 s[8:11], s[0:1], 0x40
	s_load_dwordx2 s[18:19], s[0:1], 0x50
	s_load_dword s33, s[0:1], 0x38
	s_ashr_i32 s3, s2, 31
	s_lshl_b64 s[2:3], s[2:3], 2
	s_waitcnt lgkmcnt(0)
	s_add_u32 s2, s10, s2
	s_addc_u32 s3, s11, s3
	s_load_dword s4, s[2:3], 0x0
	s_load_dwordx2 s[24:25], s[0:1], 0x20
	s_load_dwordx2 s[26:27], s[0:1], 0x30
	v_mbcnt_lo_u32_b32 v2, -1, 0
	v_mbcnt_hi_u32_b32 v2, -1, v2
	s_waitcnt lgkmcnt(0)
	s_sub_i32 s28, s4, s33
	v_mul_lo_u32 v6, v1, s22
	v_and_b32_e32 v19, 7, v0
	v_lshl_or_b32 v22, v2, 2, 28
	s_cmp_eq_u32 s6, 0
	v_lshlrev_b32_e32 v2, 3, v1
	v_mov_b32_e32 v3, 0
	v_ashrrev_i32_e32 v7, 31, v6
	s_cselect_b64 s[0:1], -1, 0
	s_ashr_i32 s48, s22, 31
	v_lshl_add_u64 v[4:5], s[8:9], 0, v[2:3]
	v_lshl_add_u64 v[6:7], v[6:7], 3, s[8:9]
	v_lshlrev_b32_e32 v2, 3, v19
	s_mul_hi_u32 s2, s22, s21
	s_mul_i32 s3, s48, s21
	s_mul_i32 s50, s22, s21
	v_lshl_add_u64 v[6:7], v[6:7], 0, v[2:3]
	v_mul_lo_u32 v2, v19, s21
	s_lshl_b32 s29, s21, 3
	s_abs_i32 s21, s22
	v_cvt_f32_u32_e32 v10, s21
	v_lshlrev_b32_e32 v20, 5, v1
	s_add_i32 s49, s2, s3
	v_lshlrev_b32_e32 v23, 2, v0
	v_rcp_iflag_f32_e32 v10, v10
	v_cmp_gt_u32_e64 s[2:3], 64, v0
	v_cmp_gt_u32_e64 s[4:5], 32, v0
	;; [unrolled: 1-line block ×6, first 2 shown]
	v_cmp_eq_u32_e64 s[14:15], 0, v0
	v_or_b32_e32 v0, v20, v19
	v_lshlrev_b32_e32 v24, 3, v0
	v_cmp_gt_u32_e64 s[16:17], s22, v19
	v_or_b32_e32 v0, 8, v19
	v_mul_f32_e32 v10, 0x4f7ffffe, v10
	s_and_b64 s[30:31], vcc, s[16:17]
	v_cmp_gt_u32_e64 s[16:17], s22, v0
	v_or_b32_e32 v8, 16, v19
	v_cvt_u32_f32_e32 v12, v10
	s_and_b64 s[34:35], vcc, s[16:17]
	v_cmp_gt_u32_e64 s[16:17], s22, v8
	v_or_b32_e32 v11, 24, v19
	s_and_b64 s[36:37], vcc, s[16:17]
	v_cmp_gt_u32_e64 s[16:17], s22, v11
	s_and_b64 s[38:39], vcc, s[16:17]
	s_sub_i32 s16, 0, s21
	s_mov_b32 s40, 0
	v_add_u32_e32 v0, s29, v2
	v_mul_lo_u32 v13, s16, v12
	v_add_u32_e32 v8, s29, v0
	v_mul_hi_u32 v13, v12, v13
	s_mov_b32 s41, s40
	v_mov_b32_e32 v21, 0
	v_mov_b32_e32 v1, v3
	;; [unrolled: 1-line block ×3, first 2 shown]
	v_add_u32_e32 v10, s29, v8
	v_mov_b32_e32 v11, v3
	v_add_u32_e32 v25, v12, v13
	v_mov_b64_e32 v[12:13], s[40:41]
	s_mov_b64 s[40:41], 0x80
	s_mov_b64 s[42:43], 0xc0
	v_mov_b32_e32 v26, 1
	v_mov_b32_e32 v16, 0
	s_branch .LBB106_7
.LBB106_6:                              ;   in Loop: Header=BB106_7 Depth=1
	s_or_b64 exec, exec, s[16:17]
	s_waitcnt lgkmcnt(0)
	s_barrier
	ds_read_b32 v16, v3
	s_add_i32 s28, s29, s28
	s_waitcnt lgkmcnt(0)
	s_barrier
	v_cmp_gt_i32_e32 vcc, s20, v16
	s_cbranch_vccz .LBB106_39
.LBB106_7:                              ; =>This Loop Header: Depth=1
                                        ;     Child Loop BB106_10 Depth 2
	v_add_u32_e32 v14, v27, v19
	v_cmp_lt_i32_e32 vcc, v14, v18
	v_mov_b32_e32 v28, s20
	v_mov_b32_e32 v27, v18
	ds_write_b8 v3, v21 offset:4096
	ds_write2_b64 v24, v[12:13], v[12:13] offset1:8
	ds_write2_b64 v24, v[12:13], v[12:13] offset0:16 offset1:24
	s_waitcnt lgkmcnt(0)
	s_barrier
	s_and_saveexec_b64 s[44:45], vcc
	s_cbranch_execz .LBB106_15
; %bb.8:                                ;   in Loop: Header=BB106_7 Depth=1
	v_mul_lo_u32 v17, v16, s22
	s_mov_b64 s[46:47], 0
	v_mov_b32_e32 v28, s20
	v_mov_b32_e32 v27, v18
	s_branch .LBB106_10
.LBB106_9:                              ;   in Loop: Header=BB106_10 Depth=2
	s_or_b64 exec, exec, s[16:17]
	v_add_u32_e32 v14, 8, v14
	v_cmp_ge_i32_e64 s[16:17], v14, v18
	s_xor_b64 s[52:53], vcc, -1
	s_or_b64 s[16:17], s[52:53], s[16:17]
	s_and_b64 s[16:17], exec, s[16:17]
	s_or_b64 s[46:47], s[16:17], s[46:47]
	s_andn2_b64 exec, exec, s[46:47]
	s_cbranch_execz .LBB106_14
.LBB106_10:                             ;   Parent Loop BB106_7 Depth=1
                                        ; =>  This Inner Loop Header: Depth=2
	v_ashrrev_i32_e32 v15, 31, v14
	v_lshl_add_u64 v[30:31], v[14:15], 2, s[26:27]
	global_load_dword v29, v[30:31], off
	s_waitcnt vmcnt(0)
	v_subrev_u32_e32 v29, s23, v29
	v_sub_u32_e32 v31, 0, v29
	v_max_i32_e32 v31, v29, v31
	v_mul_hi_u32 v32, v31, v25
	v_mul_lo_u32 v33, v32, s21
	v_sub_u32_e32 v31, v31, v33
	v_add_u32_e32 v34, 1, v32
	v_cmp_le_u32_e32 vcc, s21, v31
	v_subrev_u32_e32 v33, s21, v31
	v_ashrrev_i32_e32 v30, 31, v29
	v_cndmask_b32_e32 v32, v32, v34, vcc
	v_cndmask_b32_e32 v31, v31, v33, vcc
	v_add_u32_e32 v33, 1, v32
	v_cmp_le_u32_e32 vcc, s21, v31
	v_xor_b32_e32 v30, s48, v30
	s_nop 0
	v_cndmask_b32_e32 v31, v32, v33, vcc
	v_xor_b32_e32 v31, v31, v30
	v_sub_u32_e32 v31, v31, v30
	v_cmp_eq_u32_e32 vcc, v31, v16
	v_cmp_ne_u32_e64 s[16:17], v31, v16
	v_mov_b32_e32 v30, v27
	s_and_saveexec_b64 s[52:53], s[16:17]
	s_xor_b64 s[16:17], exec, s[52:53]
; %bb.11:                               ;   in Loop: Header=BB106_10 Depth=2
	v_min_i32_e32 v28, v31, v28
                                        ; implicit-def: $vgpr29
                                        ; implicit-def: $vgpr30
; %bb.12:                               ;   in Loop: Header=BB106_10 Depth=2
	s_or_saveexec_b64 s[16:17], s[16:17]
	v_mov_b32_e32 v27, v14
	s_xor_b64 exec, exec, s[16:17]
	s_cbranch_execz .LBB106_9
; %bb.13:                               ;   in Loop: Header=BB106_10 Depth=2
	v_lshl_add_u64 v[32:33], v[14:15], 3, s[24:25]
	global_load_dwordx2 v[32:33], v[32:33], off
	v_sub_u32_e32 v15, v29, v17
	v_add_lshl_u32 v15, v15, v20, 3
	v_mov_b32_e32 v27, v30
	ds_write_b8 v3, v26 offset:4096
	s_waitcnt vmcnt(0)
	ds_write_b64 v15, v[32:33]
	s_branch .LBB106_9
.LBB106_14:                             ;   in Loop: Header=BB106_7 Depth=1
	s_or_b64 exec, exec, s[46:47]
.LBB106_15:                             ;   in Loop: Header=BB106_7 Depth=1
	s_or_b64 exec, exec, s[44:45]
	v_mov_b32_dpp v14, v27 row_shr:1 row_mask:0xf bank_mask:0xf
	v_min_i32_e32 v14, v14, v27
	s_waitcnt lgkmcnt(0)
	s_barrier
	v_mov_b32_dpp v15, v14 row_shr:2 row_mask:0xf bank_mask:0xf
	v_min_i32_e32 v14, v15, v14
	ds_read_u8 v15, v3 offset:4096
	s_nop 0
	v_mov_b32_dpp v17, v14 row_shr:4 row_mask:0xf bank_mask:0xe
	v_min_i32_e32 v14, v17, v14
	ds_bpermute_b32 v27, v22, v14
	s_mov_b32 s29, 0
	s_waitcnt lgkmcnt(1)
	v_cmp_eq_u32_e32 vcc, 0, v15
	s_cbranch_vccnz .LBB106_22
; %bb.16:                               ;   in Loop: Header=BB106_7 Depth=1
	s_ashr_i32 s29, s28, 31
	s_lshl_b64 s[16:17], s[28:29], 2
	s_add_u32 s16, s18, s16
	v_add_u32_e32 v14, s33, v16
	s_addc_u32 s17, s19, s17
	global_store_dword v3, v14, s[16:17]
	s_mul_hi_u32 s16, s50, s28
	s_mul_i32 s17, s50, s29
	s_add_i32 s16, s16, s17
	s_mul_i32 s17, s49, s28
	s_add_i32 s17, s16, s17
	s_mul_i32 s16, s50, s28
	s_lshl_b64 s[16:17], s[16:17], 3
	v_lshl_add_u64 v[14:15], v[4:5], 0, s[16:17]
	v_lshl_add_u64 v[16:17], v[6:7], 0, s[16:17]
	s_and_saveexec_b64 s[16:17], s[30:31]
	s_cbranch_execnz .LBB106_36
; %bb.17:                               ;   in Loop: Header=BB106_7 Depth=1
	s_or_b64 exec, exec, s[16:17]
	s_and_saveexec_b64 s[16:17], s[34:35]
	s_cbranch_execnz .LBB106_37
.LBB106_18:                             ;   in Loop: Header=BB106_7 Depth=1
	s_or_b64 exec, exec, s[16:17]
	s_and_saveexec_b64 s[16:17], s[36:37]
	s_cbranch_execnz .LBB106_38
.LBB106_19:                             ;   in Loop: Header=BB106_7 Depth=1
	s_or_b64 exec, exec, s[16:17]
	s_and_saveexec_b64 s[16:17], s[38:39]
	s_cbranch_execz .LBB106_21
.LBB106_20:                             ;   in Loop: Header=BB106_7 Depth=1
	ds_read_b64 v[30:31], v24 offset:192
	v_lshl_add_u64 v[16:17], v[16:17], 0, s[42:43]
	v_lshl_add_u64 v[14:15], v[10:11], 3, v[14:15]
	v_cndmask_b32_e64 v15, v15, v17, s[0:1]
	v_cndmask_b32_e64 v14, v14, v16, s[0:1]
	s_waitcnt lgkmcnt(0)
	global_store_dwordx2 v[14:15], v[30:31], off
.LBB106_21:                             ;   in Loop: Header=BB106_7 Depth=1
	s_or_b64 exec, exec, s[16:17]
	s_mov_b32 s29, 1
.LBB106_22:                             ;   in Loop: Header=BB106_7 Depth=1
	s_waitcnt lgkmcnt(0)
	s_barrier
	ds_write_b32 v23, v28
	s_waitcnt lgkmcnt(0)
	s_barrier
	s_and_saveexec_b64 s[16:17], s[2:3]
	s_cbranch_execz .LBB106_24
; %bb.23:                               ;   in Loop: Header=BB106_7 Depth=1
	ds_read2st64_b32 v[14:15], v23 offset1:1
	s_waitcnt lgkmcnt(0)
	v_min_i32_e32 v14, v15, v14
	ds_write_b32 v23, v14
.LBB106_24:                             ;   in Loop: Header=BB106_7 Depth=1
	s_or_b64 exec, exec, s[16:17]
	s_waitcnt lgkmcnt(0)
	s_barrier
	s_and_saveexec_b64 s[16:17], s[4:5]
	s_cbranch_execz .LBB106_26
; %bb.25:                               ;   in Loop: Header=BB106_7 Depth=1
	ds_read2_b32 v[14:15], v23 offset1:32
	s_waitcnt lgkmcnt(0)
	v_min_i32_e32 v14, v15, v14
	ds_write_b32 v23, v14
.LBB106_26:                             ;   in Loop: Header=BB106_7 Depth=1
	s_or_b64 exec, exec, s[16:17]
	s_waitcnt lgkmcnt(0)
	s_barrier
	s_and_saveexec_b64 s[16:17], s[6:7]
	s_cbranch_execz .LBB106_28
; %bb.27:                               ;   in Loop: Header=BB106_7 Depth=1
	ds_read2_b32 v[14:15], v23 offset1:16
	s_waitcnt lgkmcnt(0)
	v_min_i32_e32 v14, v15, v14
	ds_write_b32 v23, v14
.LBB106_28:                             ;   in Loop: Header=BB106_7 Depth=1
	;; [unrolled: 11-line block ×5, first 2 shown]
	s_or_b64 exec, exec, s[16:17]
	s_waitcnt lgkmcnt(0)
	s_barrier
	s_and_saveexec_b64 s[16:17], s[14:15]
	s_cbranch_execz .LBB106_6
; %bb.35:                               ;   in Loop: Header=BB106_7 Depth=1
	ds_read_b64 v[14:15], v3
	s_waitcnt lgkmcnt(0)
	v_min_i32_e32 v14, v15, v14
	ds_write_b32 v3, v14
	s_branch .LBB106_6
.LBB106_36:                             ;   in Loop: Header=BB106_7 Depth=1
	ds_read_b64 v[30:31], v24
	v_lshl_add_u64 v[32:33], v[2:3], 3, v[14:15]
	v_cndmask_b32_e64 v33, v33, v17, s[0:1]
	v_cndmask_b32_e64 v32, v32, v16, s[0:1]
	s_waitcnt lgkmcnt(0)
	global_store_dwordx2 v[32:33], v[30:31], off
	s_or_b64 exec, exec, s[16:17]
	s_and_saveexec_b64 s[16:17], s[34:35]
	s_cbranch_execz .LBB106_18
.LBB106_37:                             ;   in Loop: Header=BB106_7 Depth=1
	ds_read_b64 v[30:31], v24 offset:64
	v_lshl_add_u64 v[32:33], v[16:17], 0, 64
	v_lshl_add_u64 v[34:35], v[0:1], 3, v[14:15]
	v_cndmask_b32_e64 v33, v35, v33, s[0:1]
	v_cndmask_b32_e64 v32, v34, v32, s[0:1]
	s_waitcnt lgkmcnt(0)
	global_store_dwordx2 v[32:33], v[30:31], off
	s_or_b64 exec, exec, s[16:17]
	s_and_saveexec_b64 s[16:17], s[36:37]
	s_cbranch_execz .LBB106_19
.LBB106_38:                             ;   in Loop: Header=BB106_7 Depth=1
	ds_read_b64 v[30:31], v24 offset:128
	v_lshl_add_u64 v[32:33], v[16:17], 0, s[40:41]
	v_lshl_add_u64 v[34:35], v[8:9], 3, v[14:15]
	v_cndmask_b32_e64 v33, v35, v33, s[0:1]
	v_cndmask_b32_e64 v32, v34, v32, s[0:1]
	s_waitcnt lgkmcnt(0)
	global_store_dwordx2 v[32:33], v[30:31], off
	s_or_b64 exec, exec, s[16:17]
	s_and_saveexec_b64 s[16:17], s[38:39]
	s_cbranch_execnz .LBB106_20
	s_branch .LBB106_21
.LBB106_39:
	s_endpgm
	.section	.rodata,"a",@progbits
	.p2align	6, 0x0
	.amdhsa_kernel _ZN9rocsparseL40csr2gebsr_block_per_row_multipass_kernelILj128ELj16ELj32EdEEv20rocsparse_direction_iiiiii21rocsparse_index_base_PKT2_PKiS7_S2_PS3_PiS9_
		.amdhsa_group_segment_fixed_size 4104
		.amdhsa_private_segment_fixed_size 0
		.amdhsa_kernarg_size 88
		.amdhsa_user_sgpr_count 2
		.amdhsa_user_sgpr_dispatch_ptr 0
		.amdhsa_user_sgpr_queue_ptr 0
		.amdhsa_user_sgpr_kernarg_segment_ptr 1
		.amdhsa_user_sgpr_dispatch_id 0
		.amdhsa_user_sgpr_kernarg_preload_length 0
		.amdhsa_user_sgpr_kernarg_preload_offset 0
		.amdhsa_user_sgpr_private_segment_size 0
		.amdhsa_uses_dynamic_stack 0
		.amdhsa_enable_private_segment 0
		.amdhsa_system_sgpr_workgroup_id_x 1
		.amdhsa_system_sgpr_workgroup_id_y 0
		.amdhsa_system_sgpr_workgroup_id_z 0
		.amdhsa_system_sgpr_workgroup_info 0
		.amdhsa_system_vgpr_workitem_id 0
		.amdhsa_next_free_vgpr 36
		.amdhsa_next_free_sgpr 54
		.amdhsa_accum_offset 36
		.amdhsa_reserve_vcc 1
		.amdhsa_float_round_mode_32 0
		.amdhsa_float_round_mode_16_64 0
		.amdhsa_float_denorm_mode_32 3
		.amdhsa_float_denorm_mode_16_64 3
		.amdhsa_dx10_clamp 1
		.amdhsa_ieee_mode 1
		.amdhsa_fp16_overflow 0
		.amdhsa_tg_split 0
		.amdhsa_exception_fp_ieee_invalid_op 0
		.amdhsa_exception_fp_denorm_src 0
		.amdhsa_exception_fp_ieee_div_zero 0
		.amdhsa_exception_fp_ieee_overflow 0
		.amdhsa_exception_fp_ieee_underflow 0
		.amdhsa_exception_fp_ieee_inexact 0
		.amdhsa_exception_int_div_zero 0
	.end_amdhsa_kernel
	.section	.text._ZN9rocsparseL40csr2gebsr_block_per_row_multipass_kernelILj128ELj16ELj32EdEEv20rocsparse_direction_iiiiii21rocsparse_index_base_PKT2_PKiS7_S2_PS3_PiS9_,"axG",@progbits,_ZN9rocsparseL40csr2gebsr_block_per_row_multipass_kernelILj128ELj16ELj32EdEEv20rocsparse_direction_iiiiii21rocsparse_index_base_PKT2_PKiS7_S2_PS3_PiS9_,comdat
.Lfunc_end106:
	.size	_ZN9rocsparseL40csr2gebsr_block_per_row_multipass_kernelILj128ELj16ELj32EdEEv20rocsparse_direction_iiiiii21rocsparse_index_base_PKT2_PKiS7_S2_PS3_PiS9_, .Lfunc_end106-_ZN9rocsparseL40csr2gebsr_block_per_row_multipass_kernelILj128ELj16ELj32EdEEv20rocsparse_direction_iiiiii21rocsparse_index_base_PKT2_PKiS7_S2_PS3_PiS9_
                                        ; -- End function
	.section	.AMDGPU.csdata,"",@progbits
; Kernel info:
; codeLenInByte = 1768
; NumSgprs: 60
; NumVgprs: 36
; NumAgprs: 0
; TotalNumVgprs: 36
; ScratchSize: 0
; MemoryBound: 0
; FloatMode: 240
; IeeeMode: 1
; LDSByteSize: 4104 bytes/workgroup (compile time only)
; SGPRBlocks: 7
; VGPRBlocks: 4
; NumSGPRsForWavesPerEU: 60
; NumVGPRsForWavesPerEU: 36
; AccumOffset: 36
; Occupancy: 8
; WaveLimiterHint : 0
; COMPUTE_PGM_RSRC2:SCRATCH_EN: 0
; COMPUTE_PGM_RSRC2:USER_SGPR: 2
; COMPUTE_PGM_RSRC2:TRAP_HANDLER: 0
; COMPUTE_PGM_RSRC2:TGID_X_EN: 1
; COMPUTE_PGM_RSRC2:TGID_Y_EN: 0
; COMPUTE_PGM_RSRC2:TGID_Z_EN: 0
; COMPUTE_PGM_RSRC2:TIDIG_COMP_CNT: 0
; COMPUTE_PGM_RSRC3_GFX90A:ACCUM_OFFSET: 8
; COMPUTE_PGM_RSRC3_GFX90A:TG_SPLIT: 0
	.section	.text._ZN9rocsparseL40csr2gebsr_block_per_row_multipass_kernelILj128ELj16ELj64EdEEv20rocsparse_direction_iiiiii21rocsparse_index_base_PKT2_PKiS7_S2_PS3_PiS9_,"axG",@progbits,_ZN9rocsparseL40csr2gebsr_block_per_row_multipass_kernelILj128ELj16ELj64EdEEv20rocsparse_direction_iiiiii21rocsparse_index_base_PKT2_PKiS7_S2_PS3_PiS9_,comdat
	.globl	_ZN9rocsparseL40csr2gebsr_block_per_row_multipass_kernelILj128ELj16ELj64EdEEv20rocsparse_direction_iiiiii21rocsparse_index_base_PKT2_PKiS7_S2_PS3_PiS9_ ; -- Begin function _ZN9rocsparseL40csr2gebsr_block_per_row_multipass_kernelILj128ELj16ELj64EdEEv20rocsparse_direction_iiiiii21rocsparse_index_base_PKT2_PKiS7_S2_PS3_PiS9_
	.p2align	8
	.type	_ZN9rocsparseL40csr2gebsr_block_per_row_multipass_kernelILj128ELj16ELj64EdEEv20rocsparse_direction_iiiiii21rocsparse_index_base_PKT2_PKiS7_S2_PS3_PiS9_,@function
_ZN9rocsparseL40csr2gebsr_block_per_row_multipass_kernelILj128ELj16ELj64EdEEv20rocsparse_direction_iiiiii21rocsparse_index_base_PKT2_PKiS7_S2_PS3_PiS9_: ; @_ZN9rocsparseL40csr2gebsr_block_per_row_multipass_kernelILj128ELj16ELj64EdEEv20rocsparse_direction_iiiiii21rocsparse_index_base_PKT2_PKiS7_S2_PS3_PiS9_
; %bb.0:
	s_load_dwordx4 s[20:23], s[0:1], 0x10
	s_load_dwordx2 s[6:7], s[0:1], 0x0
	s_load_dwordx2 s[8:9], s[0:1], 0x28
	v_lshrrev_b32_e32 v1, 3, v0
	v_mov_b32_e32 v26, 0
	s_waitcnt lgkmcnt(0)
	s_mul_i32 s3, s2, s21
	v_add_u32_e32 v2, s3, v1
	v_cmp_gt_i32_e64 s[4:5], s7, v2
	v_cmp_gt_i32_e32 vcc, s21, v1
	s_and_b64 s[4:5], vcc, s[4:5]
	v_mov_b32_e32 v33, 0
	s_and_saveexec_b64 s[10:11], s[4:5]
	s_cbranch_execnz .LBB107_3
; %bb.1:
	s_or_b64 exec, exec, s[10:11]
	s_and_saveexec_b64 s[10:11], s[4:5]
	s_cbranch_execnz .LBB107_4
.LBB107_2:
	s_or_b64 exec, exec, s[10:11]
	s_cmp_lt_i32 s20, 1
	s_cbranch_scc0 .LBB107_5
	s_branch .LBB107_47
.LBB107_3:
	v_ashrrev_i32_e32 v3, 31, v2
	v_lshl_add_u64 v[4:5], v[2:3], 2, s[8:9]
	global_load_dword v3, v[4:5], off
	s_waitcnt vmcnt(0)
	v_subrev_u32_e32 v33, s23, v3
	s_or_b64 exec, exec, s[10:11]
	s_and_saveexec_b64 s[10:11], s[4:5]
	s_cbranch_execz .LBB107_2
.LBB107_4:
	v_ashrrev_i32_e32 v3, 31, v2
	v_lshl_add_u64 v[2:3], v[2:3], 2, s[8:9]
	global_load_dword v2, v[2:3], off offset:4
	s_waitcnt vmcnt(0)
	v_subrev_u32_e32 v26, s23, v2
	s_or_b64 exec, exec, s[10:11]
	s_cmp_lt_i32 s20, 1
	s_cbranch_scc1 .LBB107_47
.LBB107_5:
	s_load_dwordx4 s[8:11], s[0:1], 0x40
	s_load_dwordx2 s[18:19], s[0:1], 0x50
	s_load_dword s33, s[0:1], 0x38
	s_ashr_i32 s3, s2, 31
	s_lshl_b64 s[2:3], s[2:3], 2
	s_waitcnt lgkmcnt(0)
	s_add_u32 s2, s10, s2
	s_addc_u32 s3, s11, s3
	s_load_dword s4, s[2:3], 0x0
	s_load_dwordx2 s[24:25], s[0:1], 0x20
	s_load_dwordx2 s[26:27], s[0:1], 0x30
	v_mbcnt_lo_u32_b32 v2, -1, 0
	v_mbcnt_hi_u32_b32 v2, -1, v2
	s_waitcnt lgkmcnt(0)
	s_sub_i32 s28, s4, s33
	v_mul_lo_u32 v6, v1, s22
	v_and_b32_e32 v27, 7, v0
	v_lshl_or_b32 v30, v2, 2, 28
	s_cmp_eq_u32 s6, 0
	v_lshlrev_b32_e32 v2, 3, v1
	v_mov_b32_e32 v3, 0
	v_ashrrev_i32_e32 v7, 31, v6
	s_cselect_b64 s[0:1], -1, 0
	s_ashr_i32 s64, s22, 31
	v_lshl_add_u64 v[4:5], s[8:9], 0, v[2:3]
	v_lshl_add_u64 v[6:7], v[6:7], 3, s[8:9]
	v_lshlrev_b32_e32 v2, 3, v27
	s_mul_hi_u32 s2, s22, s21
	s_mul_i32 s3, s64, s21
	s_mul_i32 s66, s22, s21
	v_lshl_add_u64 v[6:7], v[6:7], 0, v[2:3]
	v_mul_lo_u32 v2, v27, s21
	s_lshl_b32 s29, s21, 3
	s_abs_i32 s21, s22
	v_cvt_f32_u32_e32 v18, s21
	v_lshlrev_b32_e32 v28, 6, v1
	s_add_i32 s65, s2, s3
	v_lshlrev_b32_e32 v31, 2, v0
	v_cmp_gt_u32_e64 s[2:3], 64, v0
	v_cmp_gt_u32_e64 s[4:5], 32, v0
	;; [unrolled: 1-line block ×6, first 2 shown]
	v_cmp_eq_u32_e64 s[14:15], 0, v0
	v_or_b32_e32 v0, v28, v27
	v_lshlrev_b32_e32 v32, 3, v0
	v_cmp_gt_u32_e64 s[16:17], s22, v27
	v_or_b32_e32 v0, 8, v27
	v_rcp_iflag_f32_e32 v18, v18
	s_and_b64 s[30:31], vcc, s[16:17]
	v_cmp_gt_u32_e64 s[16:17], s22, v0
	v_or_b32_e32 v8, 16, v27
	s_and_b64 s[34:35], vcc, s[16:17]
	v_cmp_gt_u32_e64 s[16:17], s22, v8
	v_or_b32_e32 v10, 24, v27
	;; [unrolled: 3-line block ×4, first 2 shown]
	v_mul_f32_e32 v18, 0x4f7ffffe, v18
	v_add_u32_e32 v0, s29, v2
	s_and_b64 s[40:41], vcc, s[16:17]
	v_cmp_gt_u32_e64 s[16:17], s22, v14
	v_or_b32_e32 v16, 48, v27
	v_cvt_u32_f32_e32 v20, v18
	v_add_u32_e32 v8, s29, v0
	s_and_b64 s[42:43], vcc, s[16:17]
	v_cmp_gt_u32_e64 s[16:17], s22, v16
	v_or_b32_e32 v19, 56, v27
	v_add_u32_e32 v10, s29, v8
	s_and_b64 s[44:45], vcc, s[16:17]
	v_cmp_gt_u32_e64 s[16:17], s22, v19
	v_add_u32_e32 v12, s29, v10
	s_and_b64 s[46:47], vcc, s[16:17]
	s_sub_i32 s16, 0, s21
	s_mov_b32 s48, 0
	v_add_u32_e32 v14, s29, v12
	v_mul_lo_u32 v21, s16, v20
	v_add_u32_e32 v16, s29, v14
	v_mul_hi_u32 v21, v20, v21
	s_mov_b32 s49, s48
	v_mov_b32_e32 v29, 0
	v_mov_b32_e32 v1, v3
	;; [unrolled: 1-line block ×7, first 2 shown]
	v_add_u32_e32 v18, s29, v16
	v_mov_b32_e32 v19, v3
	v_add_u32_e32 v34, v20, v21
	v_mov_b64_e32 v[20:21], s[48:49]
	s_mov_b64 s[48:49], 0x80
	s_mov_b64 s[50:51], 0xc0
	s_mov_b64 s[52:53], 0x100
	s_mov_b64 s[54:55], 0x140
	s_mov_b64 s[56:57], 0x180
	s_mov_b64 s[58:59], 0x1c0
	v_mov_b32_e32 v35, 1
	v_mov_b32_e32 v24, 0
	s_branch .LBB107_7
.LBB107_6:                              ;   in Loop: Header=BB107_7 Depth=1
	s_or_b64 exec, exec, s[16:17]
	s_waitcnt lgkmcnt(0)
	s_barrier
	ds_read_b32 v24, v3
	s_add_i32 s28, s29, s28
	s_waitcnt lgkmcnt(0)
	s_barrier
	v_cmp_gt_i32_e32 vcc, s20, v24
	s_cbranch_vccz .LBB107_47
.LBB107_7:                              ; =>This Loop Header: Depth=1
                                        ;     Child Loop BB107_10 Depth 2
	v_add_u32_e32 v22, v33, v27
	v_cmp_lt_i32_e32 vcc, v22, v26
	v_mov_b32_e32 v36, s20
	v_mov_b32_e32 v33, v26
	ds_write_b8 v3, v29 offset:8192
	ds_write2_b64 v32, v[20:21], v[20:21] offset1:8
	ds_write2_b64 v32, v[20:21], v[20:21] offset0:16 offset1:24
	ds_write2_b64 v32, v[20:21], v[20:21] offset0:32 offset1:40
	;; [unrolled: 1-line block ×3, first 2 shown]
	s_waitcnt lgkmcnt(0)
	s_barrier
	s_and_saveexec_b64 s[60:61], vcc
	s_cbranch_execz .LBB107_15
; %bb.8:                                ;   in Loop: Header=BB107_7 Depth=1
	v_mul_lo_u32 v25, v24, s22
	s_mov_b64 s[62:63], 0
	v_mov_b32_e32 v36, s20
	v_mov_b32_e32 v33, v26
	s_branch .LBB107_10
.LBB107_9:                              ;   in Loop: Header=BB107_10 Depth=2
	s_or_b64 exec, exec, s[16:17]
	v_add_u32_e32 v22, 8, v22
	v_cmp_ge_i32_e64 s[16:17], v22, v26
	s_xor_b64 s[68:69], vcc, -1
	s_or_b64 s[16:17], s[68:69], s[16:17]
	s_and_b64 s[16:17], exec, s[16:17]
	s_or_b64 s[62:63], s[16:17], s[62:63]
	s_andn2_b64 exec, exec, s[62:63]
	s_cbranch_execz .LBB107_14
.LBB107_10:                             ;   Parent Loop BB107_7 Depth=1
                                        ; =>  This Inner Loop Header: Depth=2
	v_ashrrev_i32_e32 v23, 31, v22
	v_lshl_add_u64 v[38:39], v[22:23], 2, s[26:27]
	global_load_dword v37, v[38:39], off
	s_waitcnt vmcnt(0)
	v_subrev_u32_e32 v37, s23, v37
	v_sub_u32_e32 v39, 0, v37
	v_max_i32_e32 v39, v37, v39
	v_mul_hi_u32 v40, v39, v34
	v_mul_lo_u32 v41, v40, s21
	v_sub_u32_e32 v39, v39, v41
	v_add_u32_e32 v42, 1, v40
	v_cmp_le_u32_e32 vcc, s21, v39
	v_subrev_u32_e32 v41, s21, v39
	v_ashrrev_i32_e32 v38, 31, v37
	v_cndmask_b32_e32 v40, v40, v42, vcc
	v_cndmask_b32_e32 v39, v39, v41, vcc
	v_add_u32_e32 v41, 1, v40
	v_cmp_le_u32_e32 vcc, s21, v39
	v_xor_b32_e32 v38, s64, v38
	s_nop 0
	v_cndmask_b32_e32 v39, v40, v41, vcc
	v_xor_b32_e32 v39, v39, v38
	v_sub_u32_e32 v39, v39, v38
	v_cmp_eq_u32_e32 vcc, v39, v24
	v_cmp_ne_u32_e64 s[16:17], v39, v24
	v_mov_b32_e32 v38, v33
	s_and_saveexec_b64 s[68:69], s[16:17]
	s_xor_b64 s[16:17], exec, s[68:69]
; %bb.11:                               ;   in Loop: Header=BB107_10 Depth=2
	v_min_i32_e32 v36, v39, v36
                                        ; implicit-def: $vgpr37
                                        ; implicit-def: $vgpr38
; %bb.12:                               ;   in Loop: Header=BB107_10 Depth=2
	s_or_saveexec_b64 s[16:17], s[16:17]
	v_mov_b32_e32 v33, v22
	s_xor_b64 exec, exec, s[16:17]
	s_cbranch_execz .LBB107_9
; %bb.13:                               ;   in Loop: Header=BB107_10 Depth=2
	v_lshl_add_u64 v[40:41], v[22:23], 3, s[24:25]
	global_load_dwordx2 v[40:41], v[40:41], off
	v_sub_u32_e32 v23, v37, v25
	v_add_lshl_u32 v23, v23, v28, 3
	v_mov_b32_e32 v33, v38
	ds_write_b8 v3, v35 offset:8192
	s_waitcnt vmcnt(0)
	ds_write_b64 v23, v[40:41]
	s_branch .LBB107_9
.LBB107_14:                             ;   in Loop: Header=BB107_7 Depth=1
	s_or_b64 exec, exec, s[62:63]
.LBB107_15:                             ;   in Loop: Header=BB107_7 Depth=1
	s_or_b64 exec, exec, s[60:61]
	v_mov_b32_dpp v22, v33 row_shr:1 row_mask:0xf bank_mask:0xf
	v_min_i32_e32 v22, v22, v33
	s_waitcnt lgkmcnt(0)
	s_barrier
	v_mov_b32_dpp v23, v22 row_shr:2 row_mask:0xf bank_mask:0xf
	v_min_i32_e32 v22, v23, v22
	ds_read_u8 v23, v3 offset:8192
	s_nop 0
	v_mov_b32_dpp v25, v22 row_shr:4 row_mask:0xf bank_mask:0xe
	v_min_i32_e32 v22, v25, v22
	ds_bpermute_b32 v33, v30, v22
	s_mov_b32 s29, 0
	s_waitcnt lgkmcnt(1)
	v_cmp_eq_u32_e32 vcc, 0, v23
	s_cbranch_vccnz .LBB107_26
; %bb.16:                               ;   in Loop: Header=BB107_7 Depth=1
	s_ashr_i32 s29, s28, 31
	s_lshl_b64 s[16:17], s[28:29], 2
	s_add_u32 s16, s18, s16
	v_add_u32_e32 v22, s33, v24
	s_addc_u32 s17, s19, s17
	global_store_dword v3, v22, s[16:17]
	s_mul_hi_u32 s16, s66, s28
	s_mul_i32 s17, s66, s29
	s_add_i32 s16, s16, s17
	s_mul_i32 s17, s65, s28
	s_add_i32 s17, s16, s17
	s_mul_i32 s16, s66, s28
	s_lshl_b64 s[16:17], s[16:17], 3
	v_lshl_add_u64 v[22:23], v[4:5], 0, s[16:17]
	v_lshl_add_u64 v[24:25], v[6:7], 0, s[16:17]
	s_and_saveexec_b64 s[16:17], s[30:31]
	s_cbranch_execnz .LBB107_40
; %bb.17:                               ;   in Loop: Header=BB107_7 Depth=1
	s_or_b64 exec, exec, s[16:17]
	s_and_saveexec_b64 s[16:17], s[34:35]
	s_cbranch_execnz .LBB107_41
.LBB107_18:                             ;   in Loop: Header=BB107_7 Depth=1
	s_or_b64 exec, exec, s[16:17]
	s_and_saveexec_b64 s[16:17], s[36:37]
	s_cbranch_execnz .LBB107_42
.LBB107_19:                             ;   in Loop: Header=BB107_7 Depth=1
	s_or_b64 exec, exec, s[16:17]
	s_and_saveexec_b64 s[16:17], s[38:39]
	s_cbranch_execnz .LBB107_43
.LBB107_20:                             ;   in Loop: Header=BB107_7 Depth=1
	s_or_b64 exec, exec, s[16:17]
	s_and_saveexec_b64 s[16:17], s[40:41]
	s_cbranch_execnz .LBB107_44
.LBB107_21:                             ;   in Loop: Header=BB107_7 Depth=1
	s_or_b64 exec, exec, s[16:17]
	s_and_saveexec_b64 s[16:17], s[42:43]
	s_cbranch_execnz .LBB107_45
.LBB107_22:                             ;   in Loop: Header=BB107_7 Depth=1
	s_or_b64 exec, exec, s[16:17]
	s_and_saveexec_b64 s[16:17], s[44:45]
	s_cbranch_execnz .LBB107_46
.LBB107_23:                             ;   in Loop: Header=BB107_7 Depth=1
	s_or_b64 exec, exec, s[16:17]
	s_and_saveexec_b64 s[16:17], s[46:47]
	s_cbranch_execz .LBB107_25
.LBB107_24:                             ;   in Loop: Header=BB107_7 Depth=1
	ds_read_b64 v[38:39], v32 offset:448
	v_lshl_add_u64 v[24:25], v[24:25], 0, s[58:59]
	v_lshl_add_u64 v[22:23], v[18:19], 3, v[22:23]
	v_cndmask_b32_e64 v23, v23, v25, s[0:1]
	v_cndmask_b32_e64 v22, v22, v24, s[0:1]
	s_waitcnt lgkmcnt(0)
	global_store_dwordx2 v[22:23], v[38:39], off
.LBB107_25:                             ;   in Loop: Header=BB107_7 Depth=1
	s_or_b64 exec, exec, s[16:17]
	s_mov_b32 s29, 1
.LBB107_26:                             ;   in Loop: Header=BB107_7 Depth=1
	s_waitcnt lgkmcnt(0)
	s_barrier
	ds_write_b32 v31, v36
	s_waitcnt lgkmcnt(0)
	s_barrier
	s_and_saveexec_b64 s[16:17], s[2:3]
	s_cbranch_execz .LBB107_28
; %bb.27:                               ;   in Loop: Header=BB107_7 Depth=1
	ds_read2st64_b32 v[22:23], v31 offset1:1
	s_waitcnt lgkmcnt(0)
	v_min_i32_e32 v22, v23, v22
	ds_write_b32 v31, v22
.LBB107_28:                             ;   in Loop: Header=BB107_7 Depth=1
	s_or_b64 exec, exec, s[16:17]
	s_waitcnt lgkmcnt(0)
	s_barrier
	s_and_saveexec_b64 s[16:17], s[4:5]
	s_cbranch_execz .LBB107_30
; %bb.29:                               ;   in Loop: Header=BB107_7 Depth=1
	ds_read2_b32 v[22:23], v31 offset1:32
	s_waitcnt lgkmcnt(0)
	v_min_i32_e32 v22, v23, v22
	ds_write_b32 v31, v22
.LBB107_30:                             ;   in Loop: Header=BB107_7 Depth=1
	s_or_b64 exec, exec, s[16:17]
	s_waitcnt lgkmcnt(0)
	s_barrier
	s_and_saveexec_b64 s[16:17], s[6:7]
	s_cbranch_execz .LBB107_32
; %bb.31:                               ;   in Loop: Header=BB107_7 Depth=1
	ds_read2_b32 v[22:23], v31 offset1:16
	s_waitcnt lgkmcnt(0)
	v_min_i32_e32 v22, v23, v22
	ds_write_b32 v31, v22
.LBB107_32:                             ;   in Loop: Header=BB107_7 Depth=1
	;; [unrolled: 11-line block ×5, first 2 shown]
	s_or_b64 exec, exec, s[16:17]
	s_waitcnt lgkmcnt(0)
	s_barrier
	s_and_saveexec_b64 s[16:17], s[14:15]
	s_cbranch_execz .LBB107_6
; %bb.39:                               ;   in Loop: Header=BB107_7 Depth=1
	ds_read_b64 v[22:23], v3
	s_waitcnt lgkmcnt(0)
	v_min_i32_e32 v22, v23, v22
	ds_write_b32 v3, v22
	s_branch .LBB107_6
.LBB107_40:                             ;   in Loop: Header=BB107_7 Depth=1
	ds_read_b64 v[38:39], v32
	v_lshl_add_u64 v[40:41], v[2:3], 3, v[22:23]
	v_cndmask_b32_e64 v41, v41, v25, s[0:1]
	v_cndmask_b32_e64 v40, v40, v24, s[0:1]
	s_waitcnt lgkmcnt(0)
	global_store_dwordx2 v[40:41], v[38:39], off
	s_or_b64 exec, exec, s[16:17]
	s_and_saveexec_b64 s[16:17], s[34:35]
	s_cbranch_execz .LBB107_18
.LBB107_41:                             ;   in Loop: Header=BB107_7 Depth=1
	ds_read_b64 v[38:39], v32 offset:64
	v_lshl_add_u64 v[40:41], v[24:25], 0, 64
	v_lshl_add_u64 v[42:43], v[0:1], 3, v[22:23]
	v_cndmask_b32_e64 v41, v43, v41, s[0:1]
	v_cndmask_b32_e64 v40, v42, v40, s[0:1]
	s_waitcnt lgkmcnt(0)
	global_store_dwordx2 v[40:41], v[38:39], off
	s_or_b64 exec, exec, s[16:17]
	s_and_saveexec_b64 s[16:17], s[36:37]
	s_cbranch_execz .LBB107_19
.LBB107_42:                             ;   in Loop: Header=BB107_7 Depth=1
	ds_read_b64 v[38:39], v32 offset:128
	v_lshl_add_u64 v[40:41], v[24:25], 0, s[48:49]
	v_lshl_add_u64 v[42:43], v[8:9], 3, v[22:23]
	v_cndmask_b32_e64 v41, v43, v41, s[0:1]
	v_cndmask_b32_e64 v40, v42, v40, s[0:1]
	s_waitcnt lgkmcnt(0)
	global_store_dwordx2 v[40:41], v[38:39], off
	s_or_b64 exec, exec, s[16:17]
	s_and_saveexec_b64 s[16:17], s[38:39]
	s_cbranch_execz .LBB107_20
.LBB107_43:                             ;   in Loop: Header=BB107_7 Depth=1
	ds_read_b64 v[38:39], v32 offset:192
	v_lshl_add_u64 v[40:41], v[24:25], 0, s[50:51]
	v_lshl_add_u64 v[42:43], v[10:11], 3, v[22:23]
	v_cndmask_b32_e64 v41, v43, v41, s[0:1]
	v_cndmask_b32_e64 v40, v42, v40, s[0:1]
	s_waitcnt lgkmcnt(0)
	global_store_dwordx2 v[40:41], v[38:39], off
	s_or_b64 exec, exec, s[16:17]
	s_and_saveexec_b64 s[16:17], s[40:41]
	s_cbranch_execz .LBB107_21
.LBB107_44:                             ;   in Loop: Header=BB107_7 Depth=1
	ds_read_b64 v[38:39], v32 offset:256
	v_lshl_add_u64 v[40:41], v[24:25], 0, s[52:53]
	v_lshl_add_u64 v[42:43], v[12:13], 3, v[22:23]
	v_cndmask_b32_e64 v41, v43, v41, s[0:1]
	v_cndmask_b32_e64 v40, v42, v40, s[0:1]
	s_waitcnt lgkmcnt(0)
	global_store_dwordx2 v[40:41], v[38:39], off
	s_or_b64 exec, exec, s[16:17]
	s_and_saveexec_b64 s[16:17], s[42:43]
	s_cbranch_execz .LBB107_22
.LBB107_45:                             ;   in Loop: Header=BB107_7 Depth=1
	ds_read_b64 v[38:39], v32 offset:320
	v_lshl_add_u64 v[40:41], v[24:25], 0, s[54:55]
	v_lshl_add_u64 v[42:43], v[14:15], 3, v[22:23]
	v_cndmask_b32_e64 v41, v43, v41, s[0:1]
	v_cndmask_b32_e64 v40, v42, v40, s[0:1]
	s_waitcnt lgkmcnt(0)
	global_store_dwordx2 v[40:41], v[38:39], off
	s_or_b64 exec, exec, s[16:17]
	s_and_saveexec_b64 s[16:17], s[44:45]
	s_cbranch_execz .LBB107_23
.LBB107_46:                             ;   in Loop: Header=BB107_7 Depth=1
	ds_read_b64 v[38:39], v32 offset:384
	v_lshl_add_u64 v[40:41], v[24:25], 0, s[56:57]
	v_lshl_add_u64 v[42:43], v[16:17], 3, v[22:23]
	v_cndmask_b32_e64 v41, v43, v41, s[0:1]
	v_cndmask_b32_e64 v40, v42, v40, s[0:1]
	s_waitcnt lgkmcnt(0)
	global_store_dwordx2 v[40:41], v[38:39], off
	s_or_b64 exec, exec, s[16:17]
	s_and_saveexec_b64 s[16:17], s[46:47]
	s_cbranch_execnz .LBB107_24
	s_branch .LBB107_25
.LBB107_47:
	s_endpgm
	.section	.rodata,"a",@progbits
	.p2align	6, 0x0
	.amdhsa_kernel _ZN9rocsparseL40csr2gebsr_block_per_row_multipass_kernelILj128ELj16ELj64EdEEv20rocsparse_direction_iiiiii21rocsparse_index_base_PKT2_PKiS7_S2_PS3_PiS9_
		.amdhsa_group_segment_fixed_size 8200
		.amdhsa_private_segment_fixed_size 0
		.amdhsa_kernarg_size 88
		.amdhsa_user_sgpr_count 2
		.amdhsa_user_sgpr_dispatch_ptr 0
		.amdhsa_user_sgpr_queue_ptr 0
		.amdhsa_user_sgpr_kernarg_segment_ptr 1
		.amdhsa_user_sgpr_dispatch_id 0
		.amdhsa_user_sgpr_kernarg_preload_length 0
		.amdhsa_user_sgpr_kernarg_preload_offset 0
		.amdhsa_user_sgpr_private_segment_size 0
		.amdhsa_uses_dynamic_stack 0
		.amdhsa_enable_private_segment 0
		.amdhsa_system_sgpr_workgroup_id_x 1
		.amdhsa_system_sgpr_workgroup_id_y 0
		.amdhsa_system_sgpr_workgroup_id_z 0
		.amdhsa_system_sgpr_workgroup_info 0
		.amdhsa_system_vgpr_workitem_id 0
		.amdhsa_next_free_vgpr 44
		.amdhsa_next_free_sgpr 70
		.amdhsa_accum_offset 44
		.amdhsa_reserve_vcc 1
		.amdhsa_float_round_mode_32 0
		.amdhsa_float_round_mode_16_64 0
		.amdhsa_float_denorm_mode_32 3
		.amdhsa_float_denorm_mode_16_64 3
		.amdhsa_dx10_clamp 1
		.amdhsa_ieee_mode 1
		.amdhsa_fp16_overflow 0
		.amdhsa_tg_split 0
		.amdhsa_exception_fp_ieee_invalid_op 0
		.amdhsa_exception_fp_denorm_src 0
		.amdhsa_exception_fp_ieee_div_zero 0
		.amdhsa_exception_fp_ieee_overflow 0
		.amdhsa_exception_fp_ieee_underflow 0
		.amdhsa_exception_fp_ieee_inexact 0
		.amdhsa_exception_int_div_zero 0
	.end_amdhsa_kernel
	.section	.text._ZN9rocsparseL40csr2gebsr_block_per_row_multipass_kernelILj128ELj16ELj64EdEEv20rocsparse_direction_iiiiii21rocsparse_index_base_PKT2_PKiS7_S2_PS3_PiS9_,"axG",@progbits,_ZN9rocsparseL40csr2gebsr_block_per_row_multipass_kernelILj128ELj16ELj64EdEEv20rocsparse_direction_iiiiii21rocsparse_index_base_PKT2_PKiS7_S2_PS3_PiS9_,comdat
.Lfunc_end107:
	.size	_ZN9rocsparseL40csr2gebsr_block_per_row_multipass_kernelILj128ELj16ELj64EdEEv20rocsparse_direction_iiiiii21rocsparse_index_base_PKT2_PKiS7_S2_PS3_PiS9_, .Lfunc_end107-_ZN9rocsparseL40csr2gebsr_block_per_row_multipass_kernelILj128ELj16ELj64EdEEv20rocsparse_direction_iiiiii21rocsparse_index_base_PKT2_PKiS7_S2_PS3_PiS9_
                                        ; -- End function
	.section	.AMDGPU.csdata,"",@progbits
; Kernel info:
; codeLenInByte = 2216
; NumSgprs: 76
; NumVgprs: 44
; NumAgprs: 0
; TotalNumVgprs: 44
; ScratchSize: 0
; MemoryBound: 0
; FloatMode: 240
; IeeeMode: 1
; LDSByteSize: 8200 bytes/workgroup (compile time only)
; SGPRBlocks: 9
; VGPRBlocks: 5
; NumSGPRsForWavesPerEU: 76
; NumVGPRsForWavesPerEU: 44
; AccumOffset: 44
; Occupancy: 4
; WaveLimiterHint : 0
; COMPUTE_PGM_RSRC2:SCRATCH_EN: 0
; COMPUTE_PGM_RSRC2:USER_SGPR: 2
; COMPUTE_PGM_RSRC2:TRAP_HANDLER: 0
; COMPUTE_PGM_RSRC2:TGID_X_EN: 1
; COMPUTE_PGM_RSRC2:TGID_Y_EN: 0
; COMPUTE_PGM_RSRC2:TGID_Z_EN: 0
; COMPUTE_PGM_RSRC2:TIDIG_COMP_CNT: 0
; COMPUTE_PGM_RSRC3_GFX90A:ACCUM_OFFSET: 10
; COMPUTE_PGM_RSRC3_GFX90A:TG_SPLIT: 0
	.section	.text._ZN9rocsparseL44csr2gebsr_wavefront_per_row_multipass_kernelILi256ELi32ELi2ELi64EdEEv20rocsparse_direction_iiiiii21rocsparse_index_base_PKT3_PKiS7_S2_PS3_PiS9_,"axG",@progbits,_ZN9rocsparseL44csr2gebsr_wavefront_per_row_multipass_kernelILi256ELi32ELi2ELi64EdEEv20rocsparse_direction_iiiiii21rocsparse_index_base_PKT3_PKiS7_S2_PS3_PiS9_,comdat
	.globl	_ZN9rocsparseL44csr2gebsr_wavefront_per_row_multipass_kernelILi256ELi32ELi2ELi64EdEEv20rocsparse_direction_iiiiii21rocsparse_index_base_PKT3_PKiS7_S2_PS3_PiS9_ ; -- Begin function _ZN9rocsparseL44csr2gebsr_wavefront_per_row_multipass_kernelILi256ELi32ELi2ELi64EdEEv20rocsparse_direction_iiiiii21rocsparse_index_base_PKT3_PKiS7_S2_PS3_PiS9_
	.p2align	8
	.type	_ZN9rocsparseL44csr2gebsr_wavefront_per_row_multipass_kernelILi256ELi32ELi2ELi64EdEEv20rocsparse_direction_iiiiii21rocsparse_index_base_PKT3_PKiS7_S2_PS3_PiS9_,@function
_ZN9rocsparseL44csr2gebsr_wavefront_per_row_multipass_kernelILi256ELi32ELi2ELi64EdEEv20rocsparse_direction_iiiiii21rocsparse_index_base_PKT3_PKiS7_S2_PS3_PiS9_: ; @_ZN9rocsparseL44csr2gebsr_wavefront_per_row_multipass_kernelILi256ELi32ELi2ELi64EdEEv20rocsparse_direction_iiiiii21rocsparse_index_base_PKT3_PKiS7_S2_PS3_PiS9_
; %bb.0:
	s_load_dwordx2 s[14:15], s[0:1], 0x0
	s_load_dwordx4 s[4:7], s[0:1], 0xc
	s_load_dword s20, s[0:1], 0x1c
	s_load_dwordx2 s[8:9], s[0:1], 0x28
	v_lshrrev_b32_e32 v12, 6, v0
	v_bfe_u32 v6, v0, 1, 5
	v_lshl_or_b32 v4, s2, 2, v12
	s_waitcnt lgkmcnt(0)
	v_mad_u64_u32 v[2:3], s[2:3], v4, s6, v[6:7]
	v_cmp_gt_i32_e64 s[2:3], s15, v2
	v_cmp_gt_i32_e32 vcc, s6, v6
	s_and_b64 s[2:3], vcc, s[2:3]
	v_mov_b32_e32 v13, 0
	v_mov_b32_e32 v8, 0
	s_and_saveexec_b64 s[10:11], s[2:3]
	s_cbranch_execz .LBB108_2
; %bb.1:
	v_ashrrev_i32_e32 v3, 31, v2
	v_lshl_add_u64 v[8:9], v[2:3], 2, s[8:9]
	global_load_dword v1, v[8:9], off
	s_waitcnt vmcnt(0)
	v_subrev_u32_e32 v8, s20, v1
.LBB108_2:
	s_or_b64 exec, exec, s[10:11]
	s_and_saveexec_b64 s[10:11], s[2:3]
	s_cbranch_execz .LBB108_4
; %bb.3:
	v_ashrrev_i32_e32 v3, 31, v2
	v_lshl_add_u64 v[2:3], v[2:3], 2, s[8:9]
	global_load_dword v1, v[2:3], off offset:4
	s_waitcnt vmcnt(0)
	v_subrev_u32_e32 v13, s20, v1
.LBB108_4:
	s_or_b64 exec, exec, s[10:11]
	s_load_dword s21, s[0:1], 0x38
	v_cmp_gt_i32_e64 s[2:3], s4, v4
	v_mov_b32_e32 v2, 0
	s_and_saveexec_b64 s[8:9], s[2:3]
	s_cbranch_execz .LBB108_6
; %bb.5:
	s_load_dwordx2 s[2:3], s[0:1], 0x48
	v_ashrrev_i32_e32 v5, 31, v4
	s_waitcnt lgkmcnt(0)
	v_lshl_add_u64 v[2:3], v[4:5], 2, s[2:3]
	global_load_dword v1, v[2:3], off
	s_waitcnt vmcnt(0)
	v_subrev_u32_e32 v2, s21, v1
.LBB108_6:
	s_or_b64 exec, exec, s[8:9]
	s_cmp_lt_i32 s5, 1
	s_cbranch_scc1 .LBB108_21
; %bb.7:
	v_and_b32_e32 v4, 1, v0
	s_load_dwordx2 s[2:3], s[0:1], 0x20
	s_load_dwordx2 s[8:9], s[0:1], 0x50
	;; [unrolled: 1-line block ×4, first 2 shown]
	v_cmp_gt_u32_e64 s[0:1], s7, v4
	s_and_b64 s[12:13], vcc, s[0:1]
	s_cmp_eq_u32 s14, 0
	s_cselect_b64 vcc, -1, 0
	s_abs_i32 s4, s7
	v_cvt_f32_u32_e32 v9, s4
	v_and_b32_e32 v0, 0xc0, v0
	v_lshl_or_b32 v14, v6, 1, v0
	v_mbcnt_lo_u32_b32 v0, -1, 0
	v_rcp_iflag_f32_e32 v9, v9
	v_mbcnt_hi_u32_b32 v0, -1, v0
	v_lshlrev_b32_e32 v3, 2, v0
	v_mov_b32_e32 v5, 0
	v_or_b32_e32 v15, 4, v3
	v_or_b32_e32 v0, v14, v4
	;; [unrolled: 1-line block ×3, first 2 shown]
	v_mul_f32_e32 v3, 0x4f7ffffe, v9
	v_lshlrev_b32_e32 v16, 3, v0
	v_mul_lo_u32 v0, v4, s6
	v_mov_b32_e32 v1, v5
	v_lshlrev_b32_e32 v10, 3, v6
	v_mul_lo_u32 v6, v6, s7
	v_cvt_u32_f32_e32 v3, v3
	s_waitcnt lgkmcnt(0)
	v_lshl_add_u64 v[0:1], v[0:1], 3, s[16:17]
	v_mov_b32_e32 v11, v5
	v_ashrrev_i32_e32 v7, 31, v6
	s_ashr_i32 s22, s7, 31
	v_lshl_add_u64 v[0:1], v[0:1], 0, v[10:11]
	v_lshl_add_u64 v[6:7], v[6:7], 3, s[16:17]
	v_lshlrev_b32_e32 v10, 3, v4
	s_mul_hi_u32 s0, s7, s6
	s_mul_i32 s1, s22, s6
	v_lshl_add_u64 v[6:7], v[6:7], 0, v[10:11]
	s_add_i32 s23, s0, s1
	s_sub_i32 s0, 0, s4
	v_cndmask_b32_e32 v0, v0, v6, vcc
	v_mul_lo_u32 v6, s0, v3
	v_mul_hi_u32 v6, v3, v6
	s_mul_i32 s6, s7, s6
	v_cndmask_b32_e32 v1, v1, v7, vcc
	v_add_u32_e32 v18, v3, v6
	s_mov_b64 s[14:15], 0
	v_mov_b32_e32 v6, v5
	v_mov_b32_e32 v7, v5
	;; [unrolled: 1-line block ×4, first 2 shown]
	s_branch .LBB108_10
.LBB108_8:                              ;   in Loop: Header=BB108_10 Depth=1
	s_or_b64 exec, exec, s[16:17]
	v_mov_b32_e32 v9, 1
.LBB108_9:                              ;   in Loop: Header=BB108_10 Depth=1
	s_or_b64 exec, exec, s[0:1]
	v_mov_b32_dpp v3, v20 row_shr:1 row_mask:0xf bank_mask:0xf
	v_min_i32_e32 v3, v3, v20
	v_add_u32_e32 v2, v9, v2
	s_waitcnt lgkmcnt(0)
	v_mov_b32_dpp v10, v3 row_shr:2 row_mask:0xf bank_mask:0xf
	v_min_i32_e32 v3, v10, v3
	s_nop 1
	v_mov_b32_dpp v10, v3 row_shr:4 row_mask:0xf bank_mask:0xe
	v_min_i32_e32 v3, v10, v3
	s_nop 1
	;; [unrolled: 3-line block ×3, first 2 shown]
	v_mov_b32_dpp v10, v3 row_bcast:15 row_mask:0xa bank_mask:0xf
	v_min_i32_e32 v3, v10, v3
	s_nop 1
	v_mov_b32_dpp v10, v3 row_bcast:31 row_mask:0xc bank_mask:0xf
	v_min_i32_e32 v3, v10, v3
	ds_bpermute_b32 v3, v17, v3
	s_waitcnt lgkmcnt(0)
	v_cmp_le_i32_e32 vcc, s5, v3
	s_or_b64 s[14:15], vcc, s[14:15]
	s_andn2_b64 exec, exec, s[14:15]
	s_cbranch_execz .LBB108_21
.LBB108_10:                             ; =>This Loop Header: Depth=1
                                        ;     Child Loop BB108_13 Depth 2
	v_add_u32_e32 v21, v8, v4
	v_cmp_lt_i32_e32 vcc, v21, v13
	v_mov_b32_e32 v20, s5
	v_mov_b32_e32 v23, v13
	ds_write_b8 v12, v5 offset:2048
	ds_write_b64 v16, v[6:7]
	s_waitcnt lgkmcnt(0)
	s_and_saveexec_b64 s[16:17], vcc
	s_cbranch_execz .LBB108_18
; %bb.11:                               ;   in Loop: Header=BB108_10 Depth=1
	v_ashrrev_i32_e32 v9, 31, v8
	v_lshl_add_u64 v[10:11], v[4:5], 0, v[8:9]
	v_mul_lo_u32 v22, v3, s7
	v_lshl_add_u64 v[8:9], v[10:11], 2, s[10:11]
	v_lshl_add_u64 v[10:11], v[10:11], 3, s[2:3]
	s_mov_b64 s[18:19], 0
	v_mov_b32_e32 v20, s5
	v_mov_b32_e32 v23, v13
	s_branch .LBB108_13
.LBB108_12:                             ;   in Loop: Header=BB108_13 Depth=2
	s_or_b64 exec, exec, s[0:1]
	v_add_u32_e32 v21, 2, v21
	v_cmp_ge_i32_e64 s[0:1], v21, v13
	s_xor_b64 s[24:25], vcc, -1
	s_or_b64 s[0:1], s[24:25], s[0:1]
	s_and_b64 s[0:1], exec, s[0:1]
	v_lshl_add_u64 v[8:9], v[8:9], 0, 8
	s_or_b64 s[18:19], s[0:1], s[18:19]
	v_lshl_add_u64 v[10:11], v[10:11], 0, 16
	s_andn2_b64 exec, exec, s[18:19]
	s_cbranch_execz .LBB108_17
.LBB108_13:                             ;   Parent Loop BB108_10 Depth=1
                                        ; =>  This Inner Loop Header: Depth=2
	global_load_dword v24, v[8:9], off
	s_waitcnt vmcnt(0)
	v_subrev_u32_e32 v24, s20, v24
	v_sub_u32_e32 v26, 0, v24
	v_max_i32_e32 v26, v24, v26
	v_mul_hi_u32 v27, v26, v18
	v_mul_lo_u32 v28, v27, s4
	v_sub_u32_e32 v26, v26, v28
	v_add_u32_e32 v29, 1, v27
	v_cmp_le_u32_e32 vcc, s4, v26
	v_subrev_u32_e32 v28, s4, v26
	v_ashrrev_i32_e32 v25, 31, v24
	v_cndmask_b32_e32 v27, v27, v29, vcc
	v_cndmask_b32_e32 v26, v26, v28, vcc
	v_add_u32_e32 v28, 1, v27
	v_cmp_le_u32_e32 vcc, s4, v26
	v_xor_b32_e32 v25, s22, v25
	s_nop 0
	v_cndmask_b32_e32 v26, v27, v28, vcc
	v_xor_b32_e32 v26, v26, v25
	v_sub_u32_e32 v26, v26, v25
	v_cmp_eq_u32_e32 vcc, v26, v3
	v_cmp_ne_u32_e64 s[0:1], v26, v3
	v_mov_b32_e32 v25, v23
	s_and_saveexec_b64 s[24:25], s[0:1]
	s_xor_b64 s[0:1], exec, s[24:25]
; %bb.14:                               ;   in Loop: Header=BB108_13 Depth=2
	v_min_i32_e32 v20, v26, v20
                                        ; implicit-def: $vgpr24
                                        ; implicit-def: $vgpr25
; %bb.15:                               ;   in Loop: Header=BB108_13 Depth=2
	s_or_saveexec_b64 s[0:1], s[0:1]
	v_mov_b32_e32 v23, v21
	s_xor_b64 exec, exec, s[0:1]
	s_cbranch_execz .LBB108_12
; %bb.16:                               ;   in Loop: Header=BB108_13 Depth=2
	global_load_dwordx2 v[26:27], v[10:11], off
	v_sub_u32_e32 v23, v24, v22
	v_add_lshl_u32 v23, v14, v23, 3
	ds_write_b8 v12, v19 offset:2048
	s_waitcnt vmcnt(0)
	ds_write_b64 v23, v[26:27]
	v_mov_b32_e32 v23, v25
	s_branch .LBB108_12
.LBB108_17:                             ;   in Loop: Header=BB108_10 Depth=1
	s_or_b64 exec, exec, s[18:19]
.LBB108_18:                             ;   in Loop: Header=BB108_10 Depth=1
	s_or_b64 exec, exec, s[16:17]
	s_waitcnt lgkmcnt(0)
	ds_read_u8 v9, v12 offset:2048
	v_mov_b32_dpp v8, v23 row_shr:1 row_mask:0xf bank_mask:0xf
	v_min_i32_e32 v8, v8, v23
	ds_bpermute_b32 v8, v15, v8
	s_waitcnt lgkmcnt(1)
	v_and_b32_e32 v9, 1, v9
	v_cmp_eq_u32_e32 vcc, 1, v9
	v_mov_b32_e32 v9, 0
	s_and_saveexec_b64 s[0:1], vcc
	s_cbranch_execz .LBB108_9
; %bb.19:                               ;   in Loop: Header=BB108_10 Depth=1
	v_add_u32_e32 v9, s21, v3
	v_ashrrev_i32_e32 v3, 31, v2
	v_lshl_add_u64 v[10:11], v[2:3], 2, s[8:9]
	global_store_dword v[10:11], v9, off
	s_and_saveexec_b64 s[16:17], s[12:13]
	s_cbranch_execz .LBB108_8
; %bb.20:                               ;   in Loop: Header=BB108_10 Depth=1
	ds_read_b64 v[10:11], v16
	v_mul_lo_u32 v9, s23, v2
	v_mul_lo_u32 v3, s6, v3
	v_mad_u64_u32 v[22:23], s[18:19], s6, v2, 0
	v_add3_u32 v23, v23, v3, v9
	v_lshl_add_u64 v[22:23], v[22:23], 3, v[0:1]
	s_waitcnt lgkmcnt(0)
	global_store_dwordx2 v[22:23], v[10:11], off
	s_branch .LBB108_8
.LBB108_21:
	s_endpgm
	.section	.rodata,"a",@progbits
	.p2align	6, 0x0
	.amdhsa_kernel _ZN9rocsparseL44csr2gebsr_wavefront_per_row_multipass_kernelILi256ELi32ELi2ELi64EdEEv20rocsparse_direction_iiiiii21rocsparse_index_base_PKT3_PKiS7_S2_PS3_PiS9_
		.amdhsa_group_segment_fixed_size 2056
		.amdhsa_private_segment_fixed_size 0
		.amdhsa_kernarg_size 88
		.amdhsa_user_sgpr_count 2
		.amdhsa_user_sgpr_dispatch_ptr 0
		.amdhsa_user_sgpr_queue_ptr 0
		.amdhsa_user_sgpr_kernarg_segment_ptr 1
		.amdhsa_user_sgpr_dispatch_id 0
		.amdhsa_user_sgpr_kernarg_preload_length 0
		.amdhsa_user_sgpr_kernarg_preload_offset 0
		.amdhsa_user_sgpr_private_segment_size 0
		.amdhsa_uses_dynamic_stack 0
		.amdhsa_enable_private_segment 0
		.amdhsa_system_sgpr_workgroup_id_x 1
		.amdhsa_system_sgpr_workgroup_id_y 0
		.amdhsa_system_sgpr_workgroup_id_z 0
		.amdhsa_system_sgpr_workgroup_info 0
		.amdhsa_system_vgpr_workitem_id 0
		.amdhsa_next_free_vgpr 30
		.amdhsa_next_free_sgpr 26
		.amdhsa_accum_offset 32
		.amdhsa_reserve_vcc 1
		.amdhsa_float_round_mode_32 0
		.amdhsa_float_round_mode_16_64 0
		.amdhsa_float_denorm_mode_32 3
		.amdhsa_float_denorm_mode_16_64 3
		.amdhsa_dx10_clamp 1
		.amdhsa_ieee_mode 1
		.amdhsa_fp16_overflow 0
		.amdhsa_tg_split 0
		.amdhsa_exception_fp_ieee_invalid_op 0
		.amdhsa_exception_fp_denorm_src 0
		.amdhsa_exception_fp_ieee_div_zero 0
		.amdhsa_exception_fp_ieee_overflow 0
		.amdhsa_exception_fp_ieee_underflow 0
		.amdhsa_exception_fp_ieee_inexact 0
		.amdhsa_exception_int_div_zero 0
	.end_amdhsa_kernel
	.section	.text._ZN9rocsparseL44csr2gebsr_wavefront_per_row_multipass_kernelILi256ELi32ELi2ELi64EdEEv20rocsparse_direction_iiiiii21rocsparse_index_base_PKT3_PKiS7_S2_PS3_PiS9_,"axG",@progbits,_ZN9rocsparseL44csr2gebsr_wavefront_per_row_multipass_kernelILi256ELi32ELi2ELi64EdEEv20rocsparse_direction_iiiiii21rocsparse_index_base_PKT3_PKiS7_S2_PS3_PiS9_,comdat
.Lfunc_end108:
	.size	_ZN9rocsparseL44csr2gebsr_wavefront_per_row_multipass_kernelILi256ELi32ELi2ELi64EdEEv20rocsparse_direction_iiiiii21rocsparse_index_base_PKT3_PKiS7_S2_PS3_PiS9_, .Lfunc_end108-_ZN9rocsparseL44csr2gebsr_wavefront_per_row_multipass_kernelILi256ELi32ELi2ELi64EdEEv20rocsparse_direction_iiiiii21rocsparse_index_base_PKT3_PKiS7_S2_PS3_PiS9_
                                        ; -- End function
	.section	.AMDGPU.csdata,"",@progbits
; Kernel info:
; codeLenInByte = 1176
; NumSgprs: 32
; NumVgprs: 30
; NumAgprs: 0
; TotalNumVgprs: 30
; ScratchSize: 0
; MemoryBound: 0
; FloatMode: 240
; IeeeMode: 1
; LDSByteSize: 2056 bytes/workgroup (compile time only)
; SGPRBlocks: 3
; VGPRBlocks: 3
; NumSGPRsForWavesPerEU: 32
; NumVGPRsForWavesPerEU: 30
; AccumOffset: 32
; Occupancy: 8
; WaveLimiterHint : 0
; COMPUTE_PGM_RSRC2:SCRATCH_EN: 0
; COMPUTE_PGM_RSRC2:USER_SGPR: 2
; COMPUTE_PGM_RSRC2:TRAP_HANDLER: 0
; COMPUTE_PGM_RSRC2:TGID_X_EN: 1
; COMPUTE_PGM_RSRC2:TGID_Y_EN: 0
; COMPUTE_PGM_RSRC2:TGID_Z_EN: 0
; COMPUTE_PGM_RSRC2:TIDIG_COMP_CNT: 0
; COMPUTE_PGM_RSRC3_GFX90A:ACCUM_OFFSET: 7
; COMPUTE_PGM_RSRC3_GFX90A:TG_SPLIT: 0
	.section	.text._ZN9rocsparseL44csr2gebsr_wavefront_per_row_multipass_kernelILi256ELi32ELi2ELi32EdEEv20rocsparse_direction_iiiiii21rocsparse_index_base_PKT3_PKiS7_S2_PS3_PiS9_,"axG",@progbits,_ZN9rocsparseL44csr2gebsr_wavefront_per_row_multipass_kernelILi256ELi32ELi2ELi32EdEEv20rocsparse_direction_iiiiii21rocsparse_index_base_PKT3_PKiS7_S2_PS3_PiS9_,comdat
	.globl	_ZN9rocsparseL44csr2gebsr_wavefront_per_row_multipass_kernelILi256ELi32ELi2ELi32EdEEv20rocsparse_direction_iiiiii21rocsparse_index_base_PKT3_PKiS7_S2_PS3_PiS9_ ; -- Begin function _ZN9rocsparseL44csr2gebsr_wavefront_per_row_multipass_kernelILi256ELi32ELi2ELi32EdEEv20rocsparse_direction_iiiiii21rocsparse_index_base_PKT3_PKiS7_S2_PS3_PiS9_
	.p2align	8
	.type	_ZN9rocsparseL44csr2gebsr_wavefront_per_row_multipass_kernelILi256ELi32ELi2ELi32EdEEv20rocsparse_direction_iiiiii21rocsparse_index_base_PKT3_PKiS7_S2_PS3_PiS9_,@function
_ZN9rocsparseL44csr2gebsr_wavefront_per_row_multipass_kernelILi256ELi32ELi2ELi32EdEEv20rocsparse_direction_iiiiii21rocsparse_index_base_PKT3_PKiS7_S2_PS3_PiS9_: ; @_ZN9rocsparseL44csr2gebsr_wavefront_per_row_multipass_kernelILi256ELi32ELi2ELi32EdEEv20rocsparse_direction_iiiiii21rocsparse_index_base_PKT3_PKiS7_S2_PS3_PiS9_
; %bb.0:
	s_load_dwordx2 s[14:15], s[0:1], 0x0
	s_load_dwordx4 s[4:7], s[0:1], 0xc
	s_load_dword s26, s[0:1], 0x1c
	s_load_dwordx2 s[8:9], s[0:1], 0x28
	v_lshrrev_b32_e32 v16, 5, v0
	v_and_b32_e32 v4, 31, v0
	v_lshl_or_b32 v2, s2, 3, v16
	s_waitcnt lgkmcnt(0)
	v_mad_u64_u32 v[8:9], s[2:3], v2, s6, v[4:5]
	v_cmp_gt_i32_e32 vcc, s15, v8
	v_cmp_gt_i32_e64 s[2:3], s6, v4
	s_and_b64 s[10:11], s[2:3], vcc
	v_mov_b32_e32 v17, 0
	v_mov_b32_e32 v6, 0
	s_and_saveexec_b64 s[12:13], s[10:11]
	s_cbranch_execz .LBB109_2
; %bb.1:
	v_ashrrev_i32_e32 v9, 31, v8
	v_lshl_add_u64 v[6:7], v[8:9], 2, s[8:9]
	global_load_dword v1, v[6:7], off
	s_waitcnt vmcnt(0)
	v_subrev_u32_e32 v6, s26, v1
.LBB109_2:
	s_or_b64 exec, exec, s[12:13]
	s_and_saveexec_b64 s[12:13], s[10:11]
	s_cbranch_execz .LBB109_4
; %bb.3:
	v_ashrrev_i32_e32 v9, 31, v8
	v_lshl_add_u64 v[8:9], v[8:9], 2, s[8:9]
	global_load_dword v1, v[8:9], off offset:4
	s_waitcnt vmcnt(0)
	v_subrev_u32_e32 v17, s26, v1
.LBB109_4:
	s_or_b64 exec, exec, s[12:13]
	s_load_dword s27, s[0:1], 0x38
	v_cmp_gt_i32_e32 vcc, s4, v2
	v_mov_b32_e32 v8, 0
	s_and_saveexec_b64 s[8:9], vcc
	s_cbranch_execz .LBB109_6
; %bb.5:
	s_load_dwordx2 s[10:11], s[0:1], 0x48
	v_ashrrev_i32_e32 v3, 31, v2
	s_waitcnt lgkmcnt(0)
	v_lshl_add_u64 v[2:3], v[2:3], 2, s[10:11]
	global_load_dword v1, v[2:3], off
	s_waitcnt vmcnt(0)
	v_subrev_u32_e32 v8, s27, v1
.LBB109_6:
	s_or_b64 exec, exec, s[8:9]
	s_cmp_lt_i32 s5, 1
	s_cbranch_scc1 .LBB109_23
; %bb.7:
	s_cmp_eq_u32 s14, 0
	s_cselect_b64 vcc, -1, 0
	s_ashr_i32 s4, s7, 31
	s_load_dwordx2 s[8:9], s[0:1], 0x20
	s_load_dwordx2 s[10:11], s[0:1], 0x50
	s_load_dwordx2 s[18:19], s[0:1], 0x40
	s_load_dwordx2 s[12:13], s[0:1], 0x30
	s_mul_hi_u32 s0, s7, s6
	s_mul_i32 s1, s4, s6
	s_add_i32 s28, s0, s1
	s_cmp_lg_u32 s7, 0
	s_cselect_b64 s[0:1], -1, 0
	s_and_b64 s[16:17], s[2:3], s[0:1]
	v_mbcnt_lo_u32_b32 v1, -1, 0
	s_cmp_gt_u32 s7, 1
	v_mbcnt_hi_u32_b32 v1, -1, v1
	s_cselect_b64 s[0:1], -1, 0
	s_abs_i32 s29, s7
	v_lshlrev_b32_e32 v18, 2, v1
	v_cvt_f32_u32_e32 v1, s29
	v_mov_b32_e32 v2, 0
	v_lshlrev_b32_e32 v10, 3, v4
	v_mul_lo_u32 v4, v4, s7
	v_rcp_iflag_f32_e32 v1, v1
	v_mov_b32_e32 v11, v2
	v_ashrrev_i32_e32 v5, 31, v4
	s_waitcnt lgkmcnt(0)
	v_lshl_add_u64 v[10:11], s[18:19], 0, v[10:11]
	v_mul_f32_e32 v1, 0x4f7ffffe, v1
	v_cvt_u32_f32_e32 v1, v1
	v_lshl_add_u64 v[12:13], v[4:5], 3, s[18:19]
	s_and_b64 s[18:19], s[2:3], s[0:1]
	s_sub_i32 s0, 0, s29
	v_lshlrev_b32_e32 v20, 4, v0
	v_mul_lo_u32 v0, s0, v1
	v_mul_hi_u32 v0, v1, v0
	s_mov_b32 s15, 0
	s_mov_b32 s14, s6
	s_mul_i32 s6, s7, s6
	v_or_b32_e32 v19, 0x7c, v18
	v_add_u32_e32 v21, v1, v0
	s_mov_b64 s[20:21], 0
	v_mov_b32_e32 v3, v2
	v_mov_b32_e32 v4, v2
	;; [unrolled: 1-line block ×5, first 2 shown]
	s_branch .LBB109_10
.LBB109_8:                              ;   in Loop: Header=BB109_10 Depth=1
	s_or_b64 exec, exec, s[0:1]
	v_mov_b32_e32 v0, 1
.LBB109_9:                              ;   in Loop: Header=BB109_10 Depth=1
	s_or_b64 exec, exec, s[2:3]
	v_mov_b32_dpp v1, v7 row_shr:1 row_mask:0xf bank_mask:0xf
	v_min_i32_e32 v1, v1, v7
	v_add_u32_e32 v8, v0, v8
	s_waitcnt lgkmcnt(0)
	v_mov_b32_dpp v7, v1 row_shr:2 row_mask:0xf bank_mask:0xf
	v_min_i32_e32 v1, v7, v1
	s_nop 1
	v_mov_b32_dpp v7, v1 row_shr:4 row_mask:0xf bank_mask:0xe
	v_min_i32_e32 v1, v7, v1
	s_nop 1
	;; [unrolled: 3-line block ×3, first 2 shown]
	v_mov_b32_dpp v7, v1 row_bcast:15 row_mask:0xa bank_mask:0xf
	v_min_i32_e32 v1, v7, v1
	ds_bpermute_b32 v9, v19, v1
	s_waitcnt lgkmcnt(0)
	v_cmp_le_i32_e64 s[0:1], s5, v9
	s_or_b64 s[20:21], s[0:1], s[20:21]
	s_andn2_b64 exec, exec, s[20:21]
	s_cbranch_execz .LBB109_23
.LBB109_10:                             ; =>This Loop Header: Depth=1
                                        ;     Child Loop BB109_13 Depth 2
	v_cmp_lt_i32_e64 s[0:1], v6, v17
	v_mov_b32_e32 v7, s5
	v_mov_b32_e32 v24, v17
	ds_write_b8 v16, v2 offset:4096
	ds_write_b128 v20, v[2:5]
	s_waitcnt lgkmcnt(0)
	s_and_saveexec_b64 s[22:23], s[0:1]
	s_cbranch_execz .LBB109_18
; %bb.11:                               ;   in Loop: Header=BB109_10 Depth=1
	v_ashrrev_i32_e32 v7, 31, v6
	v_mul_lo_u32 v23, v9, s7
	v_lshl_add_u64 v[0:1], v[6:7], 2, s[12:13]
	v_lshl_add_u64 v[14:15], v[6:7], 3, s[8:9]
	s_mov_b64 s[24:25], 0
	v_mov_b32_e32 v7, s5
	v_mov_b32_e32 v24, v17
	s_branch .LBB109_13
.LBB109_12:                             ;   in Loop: Header=BB109_13 Depth=2
	s_or_b64 exec, exec, s[2:3]
	v_add_u32_e32 v6, 1, v6
	v_cmp_ge_i32_e64 s[2:3], v6, v17
	s_xor_b64 s[0:1], s[0:1], -1
	s_or_b64 s[0:1], s[0:1], s[2:3]
	s_and_b64 s[0:1], exec, s[0:1]
	v_lshl_add_u64 v[0:1], v[0:1], 0, 4
	s_or_b64 s[24:25], s[0:1], s[24:25]
	v_lshl_add_u64 v[14:15], v[14:15], 0, 8
	s_andn2_b64 exec, exec, s[24:25]
	s_cbranch_execz .LBB109_17
.LBB109_13:                             ;   Parent Loop BB109_10 Depth=1
                                        ; =>  This Inner Loop Header: Depth=2
	global_load_dword v25, v[0:1], off
	s_waitcnt vmcnt(0)
	v_subrev_u32_e32 v25, s26, v25
	v_sub_u32_e32 v27, 0, v25
	v_max_i32_e32 v27, v25, v27
	v_mul_hi_u32 v28, v27, v21
	v_mul_lo_u32 v29, v28, s29
	v_sub_u32_e32 v27, v27, v29
	v_add_u32_e32 v30, 1, v28
	v_cmp_le_u32_e64 s[0:1], s29, v27
	v_subrev_u32_e32 v29, s29, v27
	v_ashrrev_i32_e32 v26, 31, v25
	v_cndmask_b32_e64 v28, v28, v30, s[0:1]
	v_cndmask_b32_e64 v27, v27, v29, s[0:1]
	v_add_u32_e32 v29, 1, v28
	v_cmp_le_u32_e64 s[0:1], s29, v27
	v_xor_b32_e32 v26, s4, v26
	s_nop 0
	v_cndmask_b32_e64 v27, v28, v29, s[0:1]
	v_xor_b32_e32 v27, v27, v26
	v_sub_u32_e32 v27, v27, v26
	v_cmp_eq_u32_e64 s[0:1], v27, v9
	v_cmp_ne_u32_e64 s[2:3], v27, v9
	v_mov_b32_e32 v26, v24
	s_and_saveexec_b64 s[30:31], s[2:3]
	s_xor_b64 s[2:3], exec, s[30:31]
; %bb.14:                               ;   in Loop: Header=BB109_13 Depth=2
	v_min_i32_e32 v7, v27, v7
                                        ; implicit-def: $vgpr25
                                        ; implicit-def: $vgpr26
; %bb.15:                               ;   in Loop: Header=BB109_13 Depth=2
	s_or_saveexec_b64 s[2:3], s[2:3]
	v_mov_b32_e32 v24, v6
	s_xor_b64 exec, exec, s[2:3]
	s_cbranch_execz .LBB109_12
; %bb.16:                               ;   in Loop: Header=BB109_13 Depth=2
	global_load_dwordx2 v[28:29], v[14:15], off
	v_sub_u32_e32 v24, v25, v23
	v_lshl_add_u32 v24, v24, 3, v20
	ds_write_b8 v16, v22 offset:4096
	s_waitcnt vmcnt(0)
	ds_write_b64 v24, v[28:29]
	v_mov_b32_e32 v24, v26
	s_branch .LBB109_12
.LBB109_17:                             ;   in Loop: Header=BB109_10 Depth=1
	s_or_b64 exec, exec, s[24:25]
.LBB109_18:                             ;   in Loop: Header=BB109_10 Depth=1
	s_or_b64 exec, exec, s[22:23]
	s_waitcnt lgkmcnt(0)
	ds_read_u8 v0, v16 offset:4096
	ds_bpermute_b32 v6, v18, v24
	s_waitcnt lgkmcnt(1)
	v_and_b32_e32 v0, 1, v0
	v_cmp_eq_u32_e64 s[0:1], 1, v0
	v_mov_b32_e32 v0, 0
	s_and_saveexec_b64 s[2:3], s[0:1]
	s_cbranch_execz .LBB109_9
; %bb.19:                               ;   in Loop: Header=BB109_10 Depth=1
	v_add_u32_e32 v14, s27, v9
	v_ashrrev_i32_e32 v9, 31, v8
	v_lshl_add_u64 v[0:1], v[8:9], 2, s[10:11]
	global_store_dword v[0:1], v14, off
	v_mul_lo_u32 v14, s28, v8
	v_mul_lo_u32 v9, s6, v9
	v_mad_u64_u32 v[0:1], s[0:1], s6, v8, 0
	v_add3_u32 v1, v1, v9, v14
	v_lshlrev_b64 v[14:15], 3, v[0:1]
	v_lshl_add_u64 v[0:1], v[10:11], 0, v[14:15]
	v_lshl_add_u64 v[14:15], v[12:13], 0, v[14:15]
	s_and_saveexec_b64 s[0:1], s[16:17]
	s_cbranch_execz .LBB109_21
; %bb.20:                               ;   in Loop: Header=BB109_10 Depth=1
	ds_read_b64 v[24:25], v20
	v_cndmask_b32_e32 v27, v1, v15, vcc
	v_cndmask_b32_e32 v26, v0, v14, vcc
	s_waitcnt lgkmcnt(0)
	global_store_dwordx2 v[26:27], v[24:25], off
.LBB109_21:                             ;   in Loop: Header=BB109_10 Depth=1
	s_or_b64 exec, exec, s[0:1]
	s_and_saveexec_b64 s[0:1], s[18:19]
	s_cbranch_execz .LBB109_8
; %bb.22:                               ;   in Loop: Header=BB109_10 Depth=1
	ds_read_b64 v[24:25], v20 offset:8
	v_lshl_add_u64 v[14:15], v[14:15], 0, 8
	v_lshl_add_u64 v[0:1], s[14:15], 3, v[0:1]
	v_cndmask_b32_e32 v1, v1, v15, vcc
	v_cndmask_b32_e32 v0, v0, v14, vcc
	s_waitcnt lgkmcnt(0)
	global_store_dwordx2 v[0:1], v[24:25], off
	s_branch .LBB109_8
.LBB109_23:
	s_endpgm
	.section	.rodata,"a",@progbits
	.p2align	6, 0x0
	.amdhsa_kernel _ZN9rocsparseL44csr2gebsr_wavefront_per_row_multipass_kernelILi256ELi32ELi2ELi32EdEEv20rocsparse_direction_iiiiii21rocsparse_index_base_PKT3_PKiS7_S2_PS3_PiS9_
		.amdhsa_group_segment_fixed_size 4104
		.amdhsa_private_segment_fixed_size 0
		.amdhsa_kernarg_size 88
		.amdhsa_user_sgpr_count 2
		.amdhsa_user_sgpr_dispatch_ptr 0
		.amdhsa_user_sgpr_queue_ptr 0
		.amdhsa_user_sgpr_kernarg_segment_ptr 1
		.amdhsa_user_sgpr_dispatch_id 0
		.amdhsa_user_sgpr_kernarg_preload_length 0
		.amdhsa_user_sgpr_kernarg_preload_offset 0
		.amdhsa_user_sgpr_private_segment_size 0
		.amdhsa_uses_dynamic_stack 0
		.amdhsa_enable_private_segment 0
		.amdhsa_system_sgpr_workgroup_id_x 1
		.amdhsa_system_sgpr_workgroup_id_y 0
		.amdhsa_system_sgpr_workgroup_id_z 0
		.amdhsa_system_sgpr_workgroup_info 0
		.amdhsa_system_vgpr_workitem_id 0
		.amdhsa_next_free_vgpr 31
		.amdhsa_next_free_sgpr 32
		.amdhsa_accum_offset 32
		.amdhsa_reserve_vcc 1
		.amdhsa_float_round_mode_32 0
		.amdhsa_float_round_mode_16_64 0
		.amdhsa_float_denorm_mode_32 3
		.amdhsa_float_denorm_mode_16_64 3
		.amdhsa_dx10_clamp 1
		.amdhsa_ieee_mode 1
		.amdhsa_fp16_overflow 0
		.amdhsa_tg_split 0
		.amdhsa_exception_fp_ieee_invalid_op 0
		.amdhsa_exception_fp_denorm_src 0
		.amdhsa_exception_fp_ieee_div_zero 0
		.amdhsa_exception_fp_ieee_overflow 0
		.amdhsa_exception_fp_ieee_underflow 0
		.amdhsa_exception_fp_ieee_inexact 0
		.amdhsa_exception_int_div_zero 0
	.end_amdhsa_kernel
	.section	.text._ZN9rocsparseL44csr2gebsr_wavefront_per_row_multipass_kernelILi256ELi32ELi2ELi32EdEEv20rocsparse_direction_iiiiii21rocsparse_index_base_PKT3_PKiS7_S2_PS3_PiS9_,"axG",@progbits,_ZN9rocsparseL44csr2gebsr_wavefront_per_row_multipass_kernelILi256ELi32ELi2ELi32EdEEv20rocsparse_direction_iiiiii21rocsparse_index_base_PKT3_PKiS7_S2_PS3_PiS9_,comdat
.Lfunc_end109:
	.size	_ZN9rocsparseL44csr2gebsr_wavefront_per_row_multipass_kernelILi256ELi32ELi2ELi32EdEEv20rocsparse_direction_iiiiii21rocsparse_index_base_PKT3_PKiS7_S2_PS3_PiS9_, .Lfunc_end109-_ZN9rocsparseL44csr2gebsr_wavefront_per_row_multipass_kernelILi256ELi32ELi2ELi32EdEEv20rocsparse_direction_iiiiii21rocsparse_index_base_PKT3_PKiS7_S2_PS3_PiS9_
                                        ; -- End function
	.section	.AMDGPU.csdata,"",@progbits
; Kernel info:
; codeLenInByte = 1200
; NumSgprs: 38
; NumVgprs: 31
; NumAgprs: 0
; TotalNumVgprs: 31
; ScratchSize: 0
; MemoryBound: 0
; FloatMode: 240
; IeeeMode: 1
; LDSByteSize: 4104 bytes/workgroup (compile time only)
; SGPRBlocks: 4
; VGPRBlocks: 3
; NumSGPRsForWavesPerEU: 38
; NumVGPRsForWavesPerEU: 31
; AccumOffset: 32
; Occupancy: 8
; WaveLimiterHint : 0
; COMPUTE_PGM_RSRC2:SCRATCH_EN: 0
; COMPUTE_PGM_RSRC2:USER_SGPR: 2
; COMPUTE_PGM_RSRC2:TRAP_HANDLER: 0
; COMPUTE_PGM_RSRC2:TGID_X_EN: 1
; COMPUTE_PGM_RSRC2:TGID_Y_EN: 0
; COMPUTE_PGM_RSRC2:TGID_Z_EN: 0
; COMPUTE_PGM_RSRC2:TIDIG_COMP_CNT: 0
; COMPUTE_PGM_RSRC3_GFX90A:ACCUM_OFFSET: 7
; COMPUTE_PGM_RSRC3_GFX90A:TG_SPLIT: 0
	.section	.text._ZN9rocsparseL44csr2gebsr_wavefront_per_row_multipass_kernelILi256ELi32ELi4ELi64EdEEv20rocsparse_direction_iiiiii21rocsparse_index_base_PKT3_PKiS7_S2_PS3_PiS9_,"axG",@progbits,_ZN9rocsparseL44csr2gebsr_wavefront_per_row_multipass_kernelILi256ELi32ELi4ELi64EdEEv20rocsparse_direction_iiiiii21rocsparse_index_base_PKT3_PKiS7_S2_PS3_PiS9_,comdat
	.globl	_ZN9rocsparseL44csr2gebsr_wavefront_per_row_multipass_kernelILi256ELi32ELi4ELi64EdEEv20rocsparse_direction_iiiiii21rocsparse_index_base_PKT3_PKiS7_S2_PS3_PiS9_ ; -- Begin function _ZN9rocsparseL44csr2gebsr_wavefront_per_row_multipass_kernelILi256ELi32ELi4ELi64EdEEv20rocsparse_direction_iiiiii21rocsparse_index_base_PKT3_PKiS7_S2_PS3_PiS9_
	.p2align	8
	.type	_ZN9rocsparseL44csr2gebsr_wavefront_per_row_multipass_kernelILi256ELi32ELi4ELi64EdEEv20rocsparse_direction_iiiiii21rocsparse_index_base_PKT3_PKiS7_S2_PS3_PiS9_,@function
_ZN9rocsparseL44csr2gebsr_wavefront_per_row_multipass_kernelILi256ELi32ELi4ELi64EdEEv20rocsparse_direction_iiiiii21rocsparse_index_base_PKT3_PKiS7_S2_PS3_PiS9_: ; @_ZN9rocsparseL44csr2gebsr_wavefront_per_row_multipass_kernelILi256ELi32ELi4ELi64EdEEv20rocsparse_direction_iiiiii21rocsparse_index_base_PKT3_PKiS7_S2_PS3_PiS9_
; %bb.0:
	s_load_dwordx2 s[14:15], s[0:1], 0x0
	s_load_dwordx4 s[4:7], s[0:1], 0xc
	s_load_dword s24, s[0:1], 0x1c
	s_load_dwordx2 s[8:9], s[0:1], 0x28
	v_lshrrev_b32_e32 v18, 6, v0
	v_bfe_u32 v6, v0, 1, 5
	v_lshl_or_b32 v4, s2, 2, v18
	s_waitcnt lgkmcnt(0)
	v_mad_u64_u32 v[2:3], s[2:3], v4, s6, v[6:7]
	v_cmp_gt_i32_e64 s[2:3], s15, v2
	v_cmp_gt_i32_e32 vcc, s6, v6
	s_and_b64 s[2:3], vcc, s[2:3]
	v_mov_b32_e32 v19, 0
	v_mov_b32_e32 v16, 0
	s_and_saveexec_b64 s[10:11], s[2:3]
	s_cbranch_execz .LBB110_2
; %bb.1:
	v_ashrrev_i32_e32 v3, 31, v2
	v_lshl_add_u64 v[8:9], v[2:3], 2, s[8:9]
	global_load_dword v1, v[8:9], off
	s_waitcnt vmcnt(0)
	v_subrev_u32_e32 v16, s24, v1
.LBB110_2:
	s_or_b64 exec, exec, s[10:11]
	s_and_saveexec_b64 s[10:11], s[2:3]
	s_cbranch_execz .LBB110_4
; %bb.3:
	v_ashrrev_i32_e32 v3, 31, v2
	v_lshl_add_u64 v[2:3], v[2:3], 2, s[8:9]
	global_load_dword v1, v[2:3], off offset:4
	s_waitcnt vmcnt(0)
	v_subrev_u32_e32 v19, s24, v1
.LBB110_4:
	s_or_b64 exec, exec, s[10:11]
	s_load_dword s25, s[0:1], 0x38
	v_cmp_gt_i32_e64 s[2:3], s4, v4
	v_mov_b32_e32 v2, 0
	s_and_saveexec_b64 s[8:9], s[2:3]
	s_cbranch_execz .LBB110_6
; %bb.5:
	s_load_dwordx2 s[2:3], s[0:1], 0x48
	v_ashrrev_i32_e32 v5, 31, v4
	s_waitcnt lgkmcnt(0)
	v_lshl_add_u64 v[2:3], v[4:5], 2, s[2:3]
	global_load_dword v1, v[2:3], off
	s_waitcnt vmcnt(0)
	v_subrev_u32_e32 v2, s25, v1
.LBB110_6:
	s_or_b64 exec, exec, s[8:9]
	s_cmp_lt_i32 s5, 1
	s_cbranch_scc1 .LBB110_32
; %bb.7:
	v_and_b32_e32 v20, 1, v0
	v_lshlrev_b32_e32 v0, 7, v18
	v_lshl_or_b32 v21, v6, 2, v0
	v_mbcnt_lo_u32_b32 v0, -1, 0
	v_mbcnt_hi_u32_b32 v0, -1, v0
	s_cmp_lg_u32 s14, 0
	v_lshlrev_b32_e32 v3, 2, v0
	s_cselect_b64 s[14:15], -1, 0
	s_abs_i32 s28, s7
	v_or_b32_e32 v22, 4, v3
	v_or_b32_e32 v23, 0xfc, v3
	v_cvt_f32_u32_e32 v3, s28
	s_load_dwordx2 s[8:9], s[0:1], 0x20
	s_load_dwordx2 s[10:11], s[0:1], 0x50
	;; [unrolled: 1-line block ×4, first 2 shown]
	s_ashr_i32 s4, s7, 31
	s_mul_hi_u32 s0, s7, s6
	v_rcp_iflag_f32_e32 v3, v3
	s_mul_i32 s1, s4, s6
	s_add_i32 s26, s0, s1
	v_lshlrev_b32_e32 v0, 3, v6
	v_mul_f32_e32 v3, 0x4f7ffffe, v3
	v_cvt_u32_f32_e32 v3, v3
	v_mul_lo_u32 v6, v6, s7
	v_cmp_gt_u32_e64 s[0:1], s7, v20
	v_mov_b32_e32 v1, 0
	v_or_b32_e32 v8, v21, v20
	v_ashrrev_i32_e32 v7, 31, v6
	s_and_b64 s[16:17], s[0:1], vcc
	s_sub_i32 s0, 0, s28
	s_waitcnt lgkmcnt(0)
	v_lshl_add_u64 v[4:5], s[2:3], 0, v[0:1]
	v_lshl_add_u64 v[6:7], v[6:7], 3, s[2:3]
	v_lshlrev_b32_e32 v0, 3, v20
	v_lshlrev_b32_e32 v24, 3, v8
	v_or_b32_e32 v8, 2, v20
	v_mul_lo_u32 v10, s0, v3
	v_lshl_add_u64 v[6:7], v[6:7], 0, v[0:1]
	v_mul_lo_u32 v0, v20, s6
	v_cmp_gt_u32_e64 s[2:3], s7, v8
	v_mul_hi_u32 v10, v3, v10
	s_mul_i32 s27, s7, s6
	v_lshl_add_u32 v8, s6, 1, v0
	v_mov_b32_e32 v9, v1
	s_and_b64 s[2:3], vcc, s[2:3]
	v_add_u32_e32 v25, v3, v10
	v_or_b32_e32 v26, -2, v20
	s_mov_b64 s[18:19], 0
	v_mov_b32_e32 v10, v1
	v_mov_b32_e32 v11, v1
	;; [unrolled: 1-line block ×4, first 2 shown]
	s_branch .LBB110_11
.LBB110_8:                              ;   in Loop: Header=BB110_11 Depth=1
	v_mov_b32_e32 v17, s6
.LBB110_9:                              ;   in Loop: Header=BB110_11 Depth=1
	s_or_b64 exec, exec, s[20:21]
.LBB110_10:                             ;   in Loop: Header=BB110_11 Depth=1
	s_or_b64 exec, exec, s[0:1]
	v_mov_b32_dpp v3, v28 row_shr:1 row_mask:0xf bank_mask:0xf
	v_min_i32_e32 v3, v3, v28
	v_add_u32_e32 v2, v17, v2
	s_waitcnt lgkmcnt(0)
	v_mov_b32_dpp v12, v3 row_shr:2 row_mask:0xf bank_mask:0xf
	v_min_i32_e32 v3, v12, v3
	s_nop 1
	v_mov_b32_dpp v12, v3 row_shr:4 row_mask:0xf bank_mask:0xe
	v_min_i32_e32 v3, v12, v3
	s_nop 1
	;; [unrolled: 3-line block ×3, first 2 shown]
	v_mov_b32_dpp v12, v3 row_bcast:15 row_mask:0xa bank_mask:0xf
	v_min_i32_e32 v3, v12, v3
	s_nop 1
	v_mov_b32_dpp v12, v3 row_bcast:31 row_mask:0xc bank_mask:0xf
	v_min_i32_e32 v3, v12, v3
	ds_bpermute_b32 v3, v23, v3
	s_waitcnt lgkmcnt(0)
	v_cmp_le_i32_e32 vcc, s5, v3
	s_or_b64 s[18:19], vcc, s[18:19]
	s_andn2_b64 exec, exec, s[18:19]
	s_cbranch_execz .LBB110_32
.LBB110_11:                             ; =>This Loop Header: Depth=1
                                        ;     Child Loop BB110_12 Depth 2
                                        ;     Child Loop BB110_16 Depth 2
	s_mov_b64 s[0:1], 0
	v_mov_b32_e32 v12, v24
	v_mov_b32_e32 v13, v26
	ds_write_b8 v18, v1 offset:4096
.LBB110_12:                             ;   Parent Loop BB110_11 Depth=1
                                        ; =>  This Inner Loop Header: Depth=2
	v_add_co_u32_e32 v13, vcc, 2, v13
	s_xor_b64 s[20:21], vcc, -1
	s_and_b64 s[20:21], exec, s[20:21]
	ds_write_b64 v12, v[10:11]
	s_or_b64 s[0:1], s[20:21], s[0:1]
	v_add_u32_e32 v12, 16, v12
	s_andn2_b64 exec, exec, s[0:1]
	s_cbranch_execnz .LBB110_12
; %bb.13:                               ;   in Loop: Header=BB110_11 Depth=1
	s_or_b64 exec, exec, s[0:1]
	v_add_u32_e32 v12, v16, v20
	v_cmp_lt_i32_e32 vcc, v12, v19
	v_mov_b32_e32 v28, s5
	v_mov_b32_e32 v13, v19
	s_waitcnt lgkmcnt(0)
	s_and_saveexec_b64 s[20:21], vcc
	s_cbranch_execz .LBB110_21
; %bb.14:                               ;   in Loop: Header=BB110_11 Depth=1
	v_ashrrev_i32_e32 v13, 31, v12
	v_mul_lo_u32 v29, v3, s7
	v_lshl_add_u64 v[14:15], v[12:13], 2, s[12:13]
	v_lshl_add_u64 v[16:17], v[12:13], 3, s[8:9]
	s_mov_b64 s[22:23], 0
	v_mov_b32_e32 v28, s5
	v_mov_b32_e32 v13, v19
	s_branch .LBB110_16
.LBB110_15:                             ;   in Loop: Header=BB110_16 Depth=2
	s_or_b64 exec, exec, s[0:1]
	v_add_u32_e32 v12, 2, v12
	v_cmp_ge_i32_e64 s[0:1], v12, v19
	s_xor_b64 s[30:31], vcc, -1
	s_or_b64 s[0:1], s[30:31], s[0:1]
	s_and_b64 s[0:1], exec, s[0:1]
	v_lshl_add_u64 v[14:15], v[14:15], 0, 8
	s_or_b64 s[22:23], s[0:1], s[22:23]
	v_lshl_add_u64 v[16:17], v[16:17], 0, 16
	s_andn2_b64 exec, exec, s[22:23]
	s_cbranch_execz .LBB110_20
.LBB110_16:                             ;   Parent Loop BB110_11 Depth=1
                                        ; =>  This Inner Loop Header: Depth=2
	global_load_dword v30, v[14:15], off
	s_waitcnt vmcnt(0)
	v_subrev_u32_e32 v30, s24, v30
	v_sub_u32_e32 v32, 0, v30
	v_max_i32_e32 v32, v30, v32
	v_mul_hi_u32 v33, v32, v25
	v_mul_lo_u32 v34, v33, s28
	v_sub_u32_e32 v32, v32, v34
	v_add_u32_e32 v35, 1, v33
	v_cmp_le_u32_e32 vcc, s28, v32
	v_subrev_u32_e32 v34, s28, v32
	v_ashrrev_i32_e32 v31, 31, v30
	v_cndmask_b32_e32 v33, v33, v35, vcc
	v_cndmask_b32_e32 v32, v32, v34, vcc
	v_add_u32_e32 v34, 1, v33
	v_cmp_le_u32_e32 vcc, s28, v32
	v_xor_b32_e32 v31, s4, v31
	s_nop 0
	v_cndmask_b32_e32 v32, v33, v34, vcc
	v_xor_b32_e32 v32, v32, v31
	v_sub_u32_e32 v32, v32, v31
	v_cmp_eq_u32_e32 vcc, v32, v3
	v_cmp_ne_u32_e64 s[0:1], v32, v3
	v_mov_b32_e32 v31, v13
	s_and_saveexec_b64 s[30:31], s[0:1]
	s_xor_b64 s[0:1], exec, s[30:31]
; %bb.17:                               ;   in Loop: Header=BB110_16 Depth=2
	v_min_i32_e32 v28, v32, v28
                                        ; implicit-def: $vgpr30
                                        ; implicit-def: $vgpr31
; %bb.18:                               ;   in Loop: Header=BB110_16 Depth=2
	s_or_saveexec_b64 s[0:1], s[0:1]
	v_mov_b32_e32 v13, v12
	s_xor_b64 exec, exec, s[0:1]
	s_cbranch_execz .LBB110_15
; %bb.19:                               ;   in Loop: Header=BB110_16 Depth=2
	global_load_dwordx2 v[32:33], v[16:17], off
	v_sub_u32_e32 v13, v30, v29
	v_add_lshl_u32 v13, v21, v13, 3
	ds_write_b8 v18, v27 offset:4096
	s_waitcnt vmcnt(0)
	ds_write_b64 v13, v[32:33]
	v_mov_b32_e32 v13, v31
	s_branch .LBB110_15
.LBB110_20:                             ;   in Loop: Header=BB110_11 Depth=1
	s_or_b64 exec, exec, s[22:23]
.LBB110_21:                             ;   in Loop: Header=BB110_11 Depth=1
	s_or_b64 exec, exec, s[20:21]
	s_waitcnt lgkmcnt(0)
	ds_read_u8 v12, v18 offset:4096
	v_mov_b32_dpp v14, v13 row_shr:1 row_mask:0xf bank_mask:0xf
	v_min_i32_e32 v13, v14, v13
	ds_bpermute_b32 v16, v22, v13
	v_mov_b32_e32 v17, 0
	s_waitcnt lgkmcnt(1)
	v_and_b32_e32 v12, 1, v12
	v_cmp_eq_u32_e32 vcc, 1, v12
	s_and_saveexec_b64 s[0:1], vcc
	s_cbranch_execz .LBB110_10
; %bb.22:                               ;   in Loop: Header=BB110_11 Depth=1
	v_add_u32_e32 v14, s25, v3
	v_ashrrev_i32_e32 v3, 31, v2
	v_lshl_add_u64 v[12:13], v[2:3], 2, s[10:11]
	global_store_dword v[12:13], v14, off
	v_mul_lo_u32 v14, s26, v2
	v_mul_lo_u32 v3, s27, v3
	v_mad_u64_u32 v[12:13], s[20:21], s27, v2, 0
	v_add3_u32 v13, v13, v3, v14
	v_lshlrev_b64 v[12:13], 3, v[12:13]
	v_lshl_add_u64 v[14:15], v[4:5], 0, v[12:13]
	v_lshl_add_u64 v[12:13], v[6:7], 0, v[12:13]
	s_and_saveexec_b64 s[20:21], s[16:17]
	s_cbranch_execz .LBB110_26
; %bb.23:                               ;   in Loop: Header=BB110_11 Depth=1
	s_and_b64 vcc, exec, s[14:15]
	s_cbranch_vccz .LBB110_29
; %bb.24:                               ;   in Loop: Header=BB110_11 Depth=1
	ds_read_b64 v[30:31], v24
	v_lshl_add_u64 v[32:33], v[0:1], 3, v[14:15]
	s_waitcnt lgkmcnt(0)
	global_store_dwordx2 v[32:33], v[30:31], off
	s_cbranch_execnz .LBB110_26
.LBB110_25:                             ;   in Loop: Header=BB110_11 Depth=1
	ds_read_b64 v[30:31], v24
	s_waitcnt lgkmcnt(0)
	global_store_dwordx2 v[12:13], v[30:31], off
.LBB110_26:                             ;   in Loop: Header=BB110_11 Depth=1
	s_or_b64 exec, exec, s[20:21]
	v_mov_b32_e32 v17, 1
	s_and_saveexec_b64 s[20:21], s[2:3]
	s_cbranch_execz .LBB110_9
; %bb.27:                               ;   in Loop: Header=BB110_11 Depth=1
	s_andn2_b64 vcc, exec, s[14:15]
	s_cbranch_vccnz .LBB110_30
; %bb.28:                               ;   in Loop: Header=BB110_11 Depth=1
	ds_read_b64 v[30:31], v24 offset:16
	v_lshl_add_u64 v[14:15], v[8:9], 3, v[14:15]
	s_mov_b32 s6, 1
	s_waitcnt lgkmcnt(0)
	global_store_dwordx2 v[14:15], v[30:31], off
	s_cbranch_execnz .LBB110_8
	s_branch .LBB110_31
.LBB110_29:                             ;   in Loop: Header=BB110_11 Depth=1
	s_branch .LBB110_25
.LBB110_30:                             ;   in Loop: Header=BB110_11 Depth=1
                                        ; implicit-def: $sgpr6
.LBB110_31:                             ;   in Loop: Header=BB110_11 Depth=1
	ds_read_b64 v[14:15], v24 offset:16
	s_mov_b32 s6, 1
	s_waitcnt lgkmcnt(0)
	global_store_dwordx2 v[12:13], v[14:15], off offset:16
	s_branch .LBB110_8
.LBB110_32:
	s_endpgm
	.section	.rodata,"a",@progbits
	.p2align	6, 0x0
	.amdhsa_kernel _ZN9rocsparseL44csr2gebsr_wavefront_per_row_multipass_kernelILi256ELi32ELi4ELi64EdEEv20rocsparse_direction_iiiiii21rocsparse_index_base_PKT3_PKiS7_S2_PS3_PiS9_
		.amdhsa_group_segment_fixed_size 4104
		.amdhsa_private_segment_fixed_size 0
		.amdhsa_kernarg_size 88
		.amdhsa_user_sgpr_count 2
		.amdhsa_user_sgpr_dispatch_ptr 0
		.amdhsa_user_sgpr_queue_ptr 0
		.amdhsa_user_sgpr_kernarg_segment_ptr 1
		.amdhsa_user_sgpr_dispatch_id 0
		.amdhsa_user_sgpr_kernarg_preload_length 0
		.amdhsa_user_sgpr_kernarg_preload_offset 0
		.amdhsa_user_sgpr_private_segment_size 0
		.amdhsa_uses_dynamic_stack 0
		.amdhsa_enable_private_segment 0
		.amdhsa_system_sgpr_workgroup_id_x 1
		.amdhsa_system_sgpr_workgroup_id_y 0
		.amdhsa_system_sgpr_workgroup_id_z 0
		.amdhsa_system_sgpr_workgroup_info 0
		.amdhsa_system_vgpr_workitem_id 0
		.amdhsa_next_free_vgpr 36
		.amdhsa_next_free_sgpr 32
		.amdhsa_accum_offset 36
		.amdhsa_reserve_vcc 1
		.amdhsa_float_round_mode_32 0
		.amdhsa_float_round_mode_16_64 0
		.amdhsa_float_denorm_mode_32 3
		.amdhsa_float_denorm_mode_16_64 3
		.amdhsa_dx10_clamp 1
		.amdhsa_ieee_mode 1
		.amdhsa_fp16_overflow 0
		.amdhsa_tg_split 0
		.amdhsa_exception_fp_ieee_invalid_op 0
		.amdhsa_exception_fp_denorm_src 0
		.amdhsa_exception_fp_ieee_div_zero 0
		.amdhsa_exception_fp_ieee_overflow 0
		.amdhsa_exception_fp_ieee_underflow 0
		.amdhsa_exception_fp_ieee_inexact 0
		.amdhsa_exception_int_div_zero 0
	.end_amdhsa_kernel
	.section	.text._ZN9rocsparseL44csr2gebsr_wavefront_per_row_multipass_kernelILi256ELi32ELi4ELi64EdEEv20rocsparse_direction_iiiiii21rocsparse_index_base_PKT3_PKiS7_S2_PS3_PiS9_,"axG",@progbits,_ZN9rocsparseL44csr2gebsr_wavefront_per_row_multipass_kernelILi256ELi32ELi4ELi64EdEEv20rocsparse_direction_iiiiii21rocsparse_index_base_PKT3_PKiS7_S2_PS3_PiS9_,comdat
.Lfunc_end110:
	.size	_ZN9rocsparseL44csr2gebsr_wavefront_per_row_multipass_kernelILi256ELi32ELi4ELi64EdEEv20rocsparse_direction_iiiiii21rocsparse_index_base_PKT3_PKiS7_S2_PS3_PiS9_, .Lfunc_end110-_ZN9rocsparseL44csr2gebsr_wavefront_per_row_multipass_kernelILi256ELi32ELi4ELi64EdEEv20rocsparse_direction_iiiiii21rocsparse_index_base_PKT3_PKiS7_S2_PS3_PiS9_
                                        ; -- End function
	.section	.AMDGPU.csdata,"",@progbits
; Kernel info:
; codeLenInByte = 1364
; NumSgprs: 38
; NumVgprs: 36
; NumAgprs: 0
; TotalNumVgprs: 36
; ScratchSize: 0
; MemoryBound: 0
; FloatMode: 240
; IeeeMode: 1
; LDSByteSize: 4104 bytes/workgroup (compile time only)
; SGPRBlocks: 4
; VGPRBlocks: 4
; NumSGPRsForWavesPerEU: 38
; NumVGPRsForWavesPerEU: 36
; AccumOffset: 36
; Occupancy: 8
; WaveLimiterHint : 0
; COMPUTE_PGM_RSRC2:SCRATCH_EN: 0
; COMPUTE_PGM_RSRC2:USER_SGPR: 2
; COMPUTE_PGM_RSRC2:TRAP_HANDLER: 0
; COMPUTE_PGM_RSRC2:TGID_X_EN: 1
; COMPUTE_PGM_RSRC2:TGID_Y_EN: 0
; COMPUTE_PGM_RSRC2:TGID_Z_EN: 0
; COMPUTE_PGM_RSRC2:TIDIG_COMP_CNT: 0
; COMPUTE_PGM_RSRC3_GFX90A:ACCUM_OFFSET: 8
; COMPUTE_PGM_RSRC3_GFX90A:TG_SPLIT: 0
	.section	.text._ZN9rocsparseL44csr2gebsr_wavefront_per_row_multipass_kernelILi256ELi32ELi4ELi32EdEEv20rocsparse_direction_iiiiii21rocsparse_index_base_PKT3_PKiS7_S2_PS3_PiS9_,"axG",@progbits,_ZN9rocsparseL44csr2gebsr_wavefront_per_row_multipass_kernelILi256ELi32ELi4ELi32EdEEv20rocsparse_direction_iiiiii21rocsparse_index_base_PKT3_PKiS7_S2_PS3_PiS9_,comdat
	.globl	_ZN9rocsparseL44csr2gebsr_wavefront_per_row_multipass_kernelILi256ELi32ELi4ELi32EdEEv20rocsparse_direction_iiiiii21rocsparse_index_base_PKT3_PKiS7_S2_PS3_PiS9_ ; -- Begin function _ZN9rocsparseL44csr2gebsr_wavefront_per_row_multipass_kernelILi256ELi32ELi4ELi32EdEEv20rocsparse_direction_iiiiii21rocsparse_index_base_PKT3_PKiS7_S2_PS3_PiS9_
	.p2align	8
	.type	_ZN9rocsparseL44csr2gebsr_wavefront_per_row_multipass_kernelILi256ELi32ELi4ELi32EdEEv20rocsparse_direction_iiiiii21rocsparse_index_base_PKT3_PKiS7_S2_PS3_PiS9_,@function
_ZN9rocsparseL44csr2gebsr_wavefront_per_row_multipass_kernelILi256ELi32ELi4ELi32EdEEv20rocsparse_direction_iiiiii21rocsparse_index_base_PKT3_PKiS7_S2_PS3_PiS9_: ; @_ZN9rocsparseL44csr2gebsr_wavefront_per_row_multipass_kernelILi256ELi32ELi4ELi32EdEEv20rocsparse_direction_iiiiii21rocsparse_index_base_PKT3_PKiS7_S2_PS3_PiS9_
; %bb.0:
	s_load_dwordx2 s[14:15], s[0:1], 0x0
	s_load_dwordx4 s[4:7], s[0:1], 0xc
	s_load_dword s33, s[0:1], 0x1c
	s_load_dwordx2 s[8:9], s[0:1], 0x28
	v_lshrrev_b32_e32 v18, 5, v0
	v_and_b32_e32 v2, 31, v0
	v_lshl_or_b32 v8, s2, 3, v18
	s_waitcnt lgkmcnt(0)
	v_mad_u64_u32 v[6:7], s[2:3], v8, s6, v[2:3]
	v_cmp_gt_i32_e32 vcc, s15, v6
	v_cmp_gt_i32_e64 s[2:3], s6, v2
	s_and_b64 s[10:11], s[2:3], vcc
	v_mov_b32_e32 v19, 0
	v_mov_b32_e32 v4, 0
	s_and_saveexec_b64 s[12:13], s[10:11]
	s_cbranch_execz .LBB111_2
; %bb.1:
	v_ashrrev_i32_e32 v7, 31, v6
	v_lshl_add_u64 v[4:5], v[6:7], 2, s[8:9]
	global_load_dword v1, v[4:5], off
	s_waitcnt vmcnt(0)
	v_subrev_u32_e32 v4, s33, v1
.LBB111_2:
	s_or_b64 exec, exec, s[12:13]
	s_and_saveexec_b64 s[12:13], s[10:11]
	s_cbranch_execz .LBB111_4
; %bb.3:
	v_ashrrev_i32_e32 v7, 31, v6
	v_lshl_add_u64 v[6:7], v[6:7], 2, s[8:9]
	global_load_dword v1, v[6:7], off offset:4
	s_waitcnt vmcnt(0)
	v_subrev_u32_e32 v19, s33, v1
.LBB111_4:
	s_or_b64 exec, exec, s[12:13]
	s_load_dword s36, s[0:1], 0x38
	v_cmp_gt_i32_e32 vcc, s4, v8
	v_mov_b32_e32 v6, 0
	s_and_saveexec_b64 s[8:9], vcc
	s_cbranch_execz .LBB111_6
; %bb.5:
	s_load_dwordx2 s[10:11], s[0:1], 0x48
	v_ashrrev_i32_e32 v9, 31, v8
	s_waitcnt lgkmcnt(0)
	v_lshl_add_u64 v[6:7], v[8:9], 2, s[10:11]
	global_load_dword v1, v[6:7], off
	s_waitcnt vmcnt(0)
	v_subrev_u32_e32 v6, s36, v1
.LBB111_6:
	s_or_b64 exec, exec, s[8:9]
	s_cmp_lt_i32 s5, 1
	s_cbranch_scc1 .LBB111_27
; %bb.7:
	s_cmp_eq_u32 s14, 0
	s_cselect_b64 vcc, -1, 0
	s_ashr_i32 s4, s7, 31
	s_load_dwordx2 s[8:9], s[0:1], 0x20
	s_load_dwordx2 s[10:11], s[0:1], 0x50
	;; [unrolled: 1-line block ×4, first 2 shown]
	s_mul_hi_u32 s0, s7, s6
	s_mul_i32 s1, s4, s6
	s_add_i32 s37, s0, s1
	s_cmp_lg_u32 s7, 0
	s_cselect_b64 s[0:1], -1, 0
	s_and_b64 s[16:17], s[2:3], s[0:1]
	s_cmp_gt_u32 s7, 1
	s_cselect_b64 s[0:1], -1, 0
	s_and_b64 s[18:19], s[2:3], s[0:1]
	s_cmp_gt_u32 s7, 2
	s_cselect_b64 s[0:1], -1, 0
	s_and_b64 s[20:21], s[2:3], s[0:1]
	s_lshl_b32 s22, s6, 1
	v_mbcnt_lo_u32_b32 v1, -1, 0
	s_cmp_gt_u32 s7, 3
	v_mbcnt_hi_u32_b32 v1, -1, v1
	s_cselect_b64 s[0:1], -1, 0
	s_abs_i32 s39, s7
	v_lshlrev_b32_e32 v20, 2, v1
	v_cvt_f32_u32_e32 v1, s39
	v_lshlrev_b32_e32 v21, 5, v0
	v_lshlrev_b32_e32 v8, 3, v2
	v_mul_lo_u32 v2, v2, s7
	v_rcp_iflag_f32_e32 v1, v1
	v_mov_b32_e32 v9, 0
	v_ashrrev_i32_e32 v3, 31, v2
	s_waitcnt lgkmcnt(0)
	v_lshl_add_u64 v[10:11], s[24:25], 0, v[8:9]
	v_mul_f32_e32 v0, 0x4f7ffffe, v1
	v_cvt_u32_f32_e32 v0, v0
	v_lshl_add_u64 v[12:13], v[2:3], 3, s[24:25]
	s_and_b64 s[24:25], s[2:3], s[0:1]
	s_sub_i32 s0, 0, s39
	s_mov_b32 s15, 0
	v_mul_lo_u32 v1, s0, v0
	v_mul_hi_u32 v1, v0, v1
	s_mov_b32 s0, s15
	s_mov_b32 s1, s15
	v_add_u32_e32 v22, v0, v1
	s_mov_b32 s2, s15
	s_mov_b32 s3, s15
	v_mov_b64_e32 v[0:1], s[0:1]
	s_mov_b32 s14, s6
	s_mul_i32 s38, s7, s6
	v_or_b32_e32 v8, 0x7c, v20
	s_mov_b32 s23, s15
	s_mul_i32 s26, s6, 3
	s_mov_b32 s27, s15
	s_mov_b64 s[28:29], 0
	v_mov_b64_e32 v[2:3], s[2:3]
	v_mov_b32_e32 v23, 1
	v_mov_b32_e32 v7, 0
	s_branch .LBB111_10
.LBB111_8:                              ;   in Loop: Header=BB111_10 Depth=1
	s_or_b64 exec, exec, s[0:1]
	v_mov_b32_e32 v14, 1
.LBB111_9:                              ;   in Loop: Header=BB111_10 Depth=1
	s_or_b64 exec, exec, s[2:3]
	v_mov_b32_dpp v7, v5 row_shr:1 row_mask:0xf bank_mask:0xf
	v_min_i32_e32 v5, v7, v5
	v_add_u32_e32 v6, v14, v6
	s_waitcnt lgkmcnt(0)
	v_mov_b32_dpp v7, v5 row_shr:2 row_mask:0xf bank_mask:0xf
	v_min_i32_e32 v5, v7, v5
	s_nop 1
	v_mov_b32_dpp v7, v5 row_shr:4 row_mask:0xf bank_mask:0xe
	v_min_i32_e32 v5, v7, v5
	s_nop 1
	;; [unrolled: 3-line block ×3, first 2 shown]
	v_mov_b32_dpp v7, v5 row_bcast:15 row_mask:0xa bank_mask:0xf
	v_min_i32_e32 v5, v7, v5
	ds_bpermute_b32 v7, v8, v5
	s_waitcnt lgkmcnt(0)
	v_cmp_le_i32_e64 s[0:1], s5, v7
	s_or_b64 s[28:29], s[0:1], s[28:29]
	s_andn2_b64 exec, exec, s[28:29]
	s_cbranch_execz .LBB111_27
.LBB111_10:                             ; =>This Loop Header: Depth=1
                                        ;     Child Loop BB111_13 Depth 2
	v_cmp_lt_i32_e64 s[0:1], v4, v19
	v_mov_b32_e32 v5, s5
	v_mov_b32_e32 v25, v19
	ds_write_b8 v18, v9 offset:8192
	ds_write_b128 v21, v[0:3]
	ds_write_b128 v21, v[0:3] offset:16
	s_waitcnt lgkmcnt(0)
	s_and_saveexec_b64 s[30:31], s[0:1]
	s_cbranch_execz .LBB111_18
; %bb.11:                               ;   in Loop: Header=BB111_10 Depth=1
	v_ashrrev_i32_e32 v5, 31, v4
	v_mul_lo_u32 v24, v7, s7
	v_lshl_add_u64 v[14:15], v[4:5], 2, s[12:13]
	v_lshl_add_u64 v[16:17], v[4:5], 3, s[8:9]
	s_mov_b64 s[34:35], 0
	v_mov_b32_e32 v5, s5
	v_mov_b32_e32 v25, v19
	s_branch .LBB111_13
.LBB111_12:                             ;   in Loop: Header=BB111_13 Depth=2
	s_or_b64 exec, exec, s[2:3]
	v_add_u32_e32 v4, 1, v4
	v_cmp_ge_i32_e64 s[2:3], v4, v19
	s_xor_b64 s[0:1], s[0:1], -1
	s_or_b64 s[0:1], s[0:1], s[2:3]
	s_and_b64 s[0:1], exec, s[0:1]
	v_lshl_add_u64 v[14:15], v[14:15], 0, 4
	s_or_b64 s[34:35], s[0:1], s[34:35]
	v_lshl_add_u64 v[16:17], v[16:17], 0, 8
	s_andn2_b64 exec, exec, s[34:35]
	s_cbranch_execz .LBB111_17
.LBB111_13:                             ;   Parent Loop BB111_10 Depth=1
                                        ; =>  This Inner Loop Header: Depth=2
	global_load_dword v26, v[14:15], off
	s_waitcnt vmcnt(0)
	v_subrev_u32_e32 v26, s33, v26
	v_sub_u32_e32 v28, 0, v26
	v_max_i32_e32 v28, v26, v28
	v_mul_hi_u32 v29, v28, v22
	v_mul_lo_u32 v30, v29, s39
	v_sub_u32_e32 v28, v28, v30
	v_add_u32_e32 v31, 1, v29
	v_cmp_le_u32_e64 s[0:1], s39, v28
	v_subrev_u32_e32 v30, s39, v28
	v_ashrrev_i32_e32 v27, 31, v26
	v_cndmask_b32_e64 v29, v29, v31, s[0:1]
	v_cndmask_b32_e64 v28, v28, v30, s[0:1]
	v_add_u32_e32 v30, 1, v29
	v_cmp_le_u32_e64 s[0:1], s39, v28
	v_xor_b32_e32 v27, s4, v27
	s_nop 0
	v_cndmask_b32_e64 v28, v29, v30, s[0:1]
	v_xor_b32_e32 v28, v28, v27
	v_sub_u32_e32 v28, v28, v27
	v_cmp_eq_u32_e64 s[0:1], v28, v7
	v_cmp_ne_u32_e64 s[2:3], v28, v7
	v_mov_b32_e32 v27, v25
	s_and_saveexec_b64 s[40:41], s[2:3]
	s_xor_b64 s[2:3], exec, s[40:41]
; %bb.14:                               ;   in Loop: Header=BB111_13 Depth=2
	v_min_i32_e32 v5, v28, v5
                                        ; implicit-def: $vgpr26
                                        ; implicit-def: $vgpr27
; %bb.15:                               ;   in Loop: Header=BB111_13 Depth=2
	s_or_saveexec_b64 s[2:3], s[2:3]
	v_mov_b32_e32 v25, v4
	s_xor_b64 exec, exec, s[2:3]
	s_cbranch_execz .LBB111_12
; %bb.16:                               ;   in Loop: Header=BB111_13 Depth=2
	global_load_dwordx2 v[28:29], v[16:17], off
	v_sub_u32_e32 v25, v26, v24
	v_lshl_add_u32 v25, v25, 3, v21
	ds_write_b8 v18, v23 offset:8192
	s_waitcnt vmcnt(0)
	ds_write_b64 v25, v[28:29]
	v_mov_b32_e32 v25, v27
	s_branch .LBB111_12
.LBB111_17:                             ;   in Loop: Header=BB111_10 Depth=1
	s_or_b64 exec, exec, s[34:35]
.LBB111_18:                             ;   in Loop: Header=BB111_10 Depth=1
	s_or_b64 exec, exec, s[30:31]
	s_waitcnt lgkmcnt(0)
	ds_read_u8 v14, v18 offset:8192
	ds_bpermute_b32 v4, v20, v25
	s_waitcnt lgkmcnt(1)
	v_and_b32_e32 v14, 1, v14
	v_cmp_eq_u32_e64 s[0:1], 1, v14
	v_mov_b32_e32 v14, 0
	s_and_saveexec_b64 s[2:3], s[0:1]
	s_cbranch_execz .LBB111_9
; %bb.19:                               ;   in Loop: Header=BB111_10 Depth=1
	v_add_u32_e32 v16, s36, v7
	v_ashrrev_i32_e32 v7, 31, v6
	v_lshl_add_u64 v[14:15], v[6:7], 2, s[10:11]
	global_store_dword v[14:15], v16, off
	v_mul_lo_u32 v16, s37, v6
	v_mul_lo_u32 v7, s38, v7
	v_mad_u64_u32 v[14:15], s[0:1], s38, v6, 0
	v_add3_u32 v15, v15, v7, v16
	v_lshlrev_b64 v[16:17], 3, v[14:15]
	v_lshl_add_u64 v[14:15], v[10:11], 0, v[16:17]
	v_lshl_add_u64 v[16:17], v[12:13], 0, v[16:17]
	s_and_saveexec_b64 s[0:1], s[16:17]
	s_cbranch_execnz .LBB111_23
; %bb.20:                               ;   in Loop: Header=BB111_10 Depth=1
	s_or_b64 exec, exec, s[0:1]
	s_and_saveexec_b64 s[0:1], s[18:19]
	s_cbranch_execnz .LBB111_24
.LBB111_21:                             ;   in Loop: Header=BB111_10 Depth=1
	s_or_b64 exec, exec, s[0:1]
	s_and_saveexec_b64 s[0:1], s[20:21]
	s_cbranch_execnz .LBB111_25
.LBB111_22:                             ;   in Loop: Header=BB111_10 Depth=1
	s_or_b64 exec, exec, s[0:1]
	s_and_saveexec_b64 s[0:1], s[24:25]
	s_cbranch_execz .LBB111_8
	s_branch .LBB111_26
.LBB111_23:                             ;   in Loop: Header=BB111_10 Depth=1
	ds_read_b64 v[24:25], v21
	v_cndmask_b32_e32 v27, v15, v17, vcc
	v_cndmask_b32_e32 v26, v14, v16, vcc
	s_waitcnt lgkmcnt(0)
	global_store_dwordx2 v[26:27], v[24:25], off
	s_or_b64 exec, exec, s[0:1]
	s_and_saveexec_b64 s[0:1], s[18:19]
	s_cbranch_execz .LBB111_21
.LBB111_24:                             ;   in Loop: Header=BB111_10 Depth=1
	ds_read_b64 v[24:25], v21 offset:8
	v_lshl_add_u64 v[26:27], v[16:17], 0, 8
	v_lshl_add_u64 v[28:29], s[14:15], 3, v[14:15]
	v_cndmask_b32_e32 v27, v29, v27, vcc
	v_cndmask_b32_e32 v26, v28, v26, vcc
	s_waitcnt lgkmcnt(0)
	global_store_dwordx2 v[26:27], v[24:25], off
	s_or_b64 exec, exec, s[0:1]
	s_and_saveexec_b64 s[0:1], s[20:21]
	s_cbranch_execz .LBB111_22
.LBB111_25:                             ;   in Loop: Header=BB111_10 Depth=1
	ds_read_b64 v[24:25], v21 offset:16
	v_lshl_add_u64 v[26:27], v[16:17], 0, 16
	v_lshl_add_u64 v[28:29], s[22:23], 3, v[14:15]
	v_cndmask_b32_e32 v27, v29, v27, vcc
	v_cndmask_b32_e32 v26, v28, v26, vcc
	s_waitcnt lgkmcnt(0)
	global_store_dwordx2 v[26:27], v[24:25], off
	s_or_b64 exec, exec, s[0:1]
	s_and_saveexec_b64 s[0:1], s[24:25]
	s_cbranch_execz .LBB111_8
.LBB111_26:                             ;   in Loop: Header=BB111_10 Depth=1
	ds_read_b64 v[24:25], v21 offset:24
	v_lshl_add_u64 v[16:17], v[16:17], 0, 24
	v_lshl_add_u64 v[14:15], s[26:27], 3, v[14:15]
	v_cndmask_b32_e32 v15, v15, v17, vcc
	v_cndmask_b32_e32 v14, v14, v16, vcc
	s_waitcnt lgkmcnt(0)
	global_store_dwordx2 v[14:15], v[24:25], off
	s_branch .LBB111_8
.LBB111_27:
	s_endpgm
	.section	.rodata,"a",@progbits
	.p2align	6, 0x0
	.amdhsa_kernel _ZN9rocsparseL44csr2gebsr_wavefront_per_row_multipass_kernelILi256ELi32ELi4ELi32EdEEv20rocsparse_direction_iiiiii21rocsparse_index_base_PKT3_PKiS7_S2_PS3_PiS9_
		.amdhsa_group_segment_fixed_size 8200
		.amdhsa_private_segment_fixed_size 0
		.amdhsa_kernarg_size 88
		.amdhsa_user_sgpr_count 2
		.amdhsa_user_sgpr_dispatch_ptr 0
		.amdhsa_user_sgpr_queue_ptr 0
		.amdhsa_user_sgpr_kernarg_segment_ptr 1
		.amdhsa_user_sgpr_dispatch_id 0
		.amdhsa_user_sgpr_kernarg_preload_length 0
		.amdhsa_user_sgpr_kernarg_preload_offset 0
		.amdhsa_user_sgpr_private_segment_size 0
		.amdhsa_uses_dynamic_stack 0
		.amdhsa_enable_private_segment 0
		.amdhsa_system_sgpr_workgroup_id_x 1
		.amdhsa_system_sgpr_workgroup_id_y 0
		.amdhsa_system_sgpr_workgroup_id_z 0
		.amdhsa_system_sgpr_workgroup_info 0
		.amdhsa_system_vgpr_workitem_id 0
		.amdhsa_next_free_vgpr 32
		.amdhsa_next_free_sgpr 42
		.amdhsa_accum_offset 32
		.amdhsa_reserve_vcc 1
		.amdhsa_float_round_mode_32 0
		.amdhsa_float_round_mode_16_64 0
		.amdhsa_float_denorm_mode_32 3
		.amdhsa_float_denorm_mode_16_64 3
		.amdhsa_dx10_clamp 1
		.amdhsa_ieee_mode 1
		.amdhsa_fp16_overflow 0
		.amdhsa_tg_split 0
		.amdhsa_exception_fp_ieee_invalid_op 0
		.amdhsa_exception_fp_denorm_src 0
		.amdhsa_exception_fp_ieee_div_zero 0
		.amdhsa_exception_fp_ieee_overflow 0
		.amdhsa_exception_fp_ieee_underflow 0
		.amdhsa_exception_fp_ieee_inexact 0
		.amdhsa_exception_int_div_zero 0
	.end_amdhsa_kernel
	.section	.text._ZN9rocsparseL44csr2gebsr_wavefront_per_row_multipass_kernelILi256ELi32ELi4ELi32EdEEv20rocsparse_direction_iiiiii21rocsparse_index_base_PKT3_PKiS7_S2_PS3_PiS9_,"axG",@progbits,_ZN9rocsparseL44csr2gebsr_wavefront_per_row_multipass_kernelILi256ELi32ELi4ELi32EdEEv20rocsparse_direction_iiiiii21rocsparse_index_base_PKT3_PKiS7_S2_PS3_PiS9_,comdat
.Lfunc_end111:
	.size	_ZN9rocsparseL44csr2gebsr_wavefront_per_row_multipass_kernelILi256ELi32ELi4ELi32EdEEv20rocsparse_direction_iiiiii21rocsparse_index_base_PKT3_PKiS7_S2_PS3_PiS9_, .Lfunc_end111-_ZN9rocsparseL44csr2gebsr_wavefront_per_row_multipass_kernelILi256ELi32ELi4ELi32EdEEv20rocsparse_direction_iiiiii21rocsparse_index_base_PKT3_PKiS7_S2_PS3_PiS9_
                                        ; -- End function
	.section	.AMDGPU.csdata,"",@progbits
; Kernel info:
; codeLenInByte = 1408
; NumSgprs: 48
; NumVgprs: 32
; NumAgprs: 0
; TotalNumVgprs: 32
; ScratchSize: 0
; MemoryBound: 0
; FloatMode: 240
; IeeeMode: 1
; LDSByteSize: 8200 bytes/workgroup (compile time only)
; SGPRBlocks: 5
; VGPRBlocks: 3
; NumSGPRsForWavesPerEU: 48
; NumVGPRsForWavesPerEU: 32
; AccumOffset: 32
; Occupancy: 7
; WaveLimiterHint : 0
; COMPUTE_PGM_RSRC2:SCRATCH_EN: 0
; COMPUTE_PGM_RSRC2:USER_SGPR: 2
; COMPUTE_PGM_RSRC2:TRAP_HANDLER: 0
; COMPUTE_PGM_RSRC2:TGID_X_EN: 1
; COMPUTE_PGM_RSRC2:TGID_Y_EN: 0
; COMPUTE_PGM_RSRC2:TGID_Z_EN: 0
; COMPUTE_PGM_RSRC2:TIDIG_COMP_CNT: 0
; COMPUTE_PGM_RSRC3_GFX90A:ACCUM_OFFSET: 7
; COMPUTE_PGM_RSRC3_GFX90A:TG_SPLIT: 0
	.section	.text._ZN9rocsparseL44csr2gebsr_wavefront_per_row_multipass_kernelILi256ELi32ELi8ELi64EdEEv20rocsparse_direction_iiiiii21rocsparse_index_base_PKT3_PKiS7_S2_PS3_PiS9_,"axG",@progbits,_ZN9rocsparseL44csr2gebsr_wavefront_per_row_multipass_kernelILi256ELi32ELi8ELi64EdEEv20rocsparse_direction_iiiiii21rocsparse_index_base_PKT3_PKiS7_S2_PS3_PiS9_,comdat
	.globl	_ZN9rocsparseL44csr2gebsr_wavefront_per_row_multipass_kernelILi256ELi32ELi8ELi64EdEEv20rocsparse_direction_iiiiii21rocsparse_index_base_PKT3_PKiS7_S2_PS3_PiS9_ ; -- Begin function _ZN9rocsparseL44csr2gebsr_wavefront_per_row_multipass_kernelILi256ELi32ELi8ELi64EdEEv20rocsparse_direction_iiiiii21rocsparse_index_base_PKT3_PKiS7_S2_PS3_PiS9_
	.p2align	8
	.type	_ZN9rocsparseL44csr2gebsr_wavefront_per_row_multipass_kernelILi256ELi32ELi8ELi64EdEEv20rocsparse_direction_iiiiii21rocsparse_index_base_PKT3_PKiS7_S2_PS3_PiS9_,@function
_ZN9rocsparseL44csr2gebsr_wavefront_per_row_multipass_kernelILi256ELi32ELi8ELi64EdEEv20rocsparse_direction_iiiiii21rocsparse_index_base_PKT3_PKiS7_S2_PS3_PiS9_: ; @_ZN9rocsparseL44csr2gebsr_wavefront_per_row_multipass_kernelILi256ELi32ELi8ELi64EdEEv20rocsparse_direction_iiiiii21rocsparse_index_base_PKT3_PKiS7_S2_PS3_PiS9_
; %bb.0:
	s_load_dwordx2 s[4:5], s[0:1], 0x0
	s_load_dwordx4 s[8:11], s[0:1], 0xc
	s_load_dword s30, s[0:1], 0x1c
	s_load_dwordx2 s[6:7], s[0:1], 0x28
	v_lshrrev_b32_e32 v22, 6, v0
	v_bfe_u32 v6, v0, 1, 5
	v_lshl_or_b32 v4, s2, 2, v22
	s_waitcnt lgkmcnt(0)
	v_mad_u64_u32 v[2:3], s[2:3], v4, s10, v[6:7]
	v_cmp_gt_i32_e64 s[2:3], s5, v2
	v_cmp_gt_i32_e32 vcc, s10, v6
	s_and_b64 s[2:3], vcc, s[2:3]
	v_mov_b32_e32 v23, 0
	v_mov_b32_e32 v20, 0
	s_and_saveexec_b64 s[12:13], s[2:3]
	s_cbranch_execz .LBB112_2
; %bb.1:
	v_ashrrev_i32_e32 v3, 31, v2
	v_lshl_add_u64 v[8:9], v[2:3], 2, s[6:7]
	global_load_dword v1, v[8:9], off
	s_waitcnt vmcnt(0)
	v_subrev_u32_e32 v20, s30, v1
.LBB112_2:
	s_or_b64 exec, exec, s[12:13]
	s_and_saveexec_b64 s[12:13], s[2:3]
	s_cbranch_execz .LBB112_4
; %bb.3:
	v_ashrrev_i32_e32 v3, 31, v2
	v_lshl_add_u64 v[2:3], v[2:3], 2, s[6:7]
	global_load_dword v1, v[2:3], off offset:4
	s_waitcnt vmcnt(0)
	v_subrev_u32_e32 v23, s30, v1
.LBB112_4:
	s_or_b64 exec, exec, s[12:13]
	s_load_dword s31, s[0:1], 0x38
	v_cmp_gt_i32_e64 s[2:3], s8, v4
	v_mov_b32_e32 v2, 0
	s_and_saveexec_b64 s[6:7], s[2:3]
	s_cbranch_execz .LBB112_6
; %bb.5:
	s_load_dwordx2 s[2:3], s[0:1], 0x48
	v_ashrrev_i32_e32 v5, 31, v4
	s_waitcnt lgkmcnt(0)
	v_lshl_add_u64 v[2:3], v[4:5], 2, s[2:3]
	global_load_dword v1, v[2:3], off
	s_waitcnt vmcnt(0)
	v_subrev_u32_e32 v2, s31, v1
.LBB112_6:
	s_or_b64 exec, exec, s[6:7]
	s_cmp_lt_i32 s9, 1
	s_cbranch_scc1 .LBB112_42
; %bb.7:
	s_load_dwordx2 s[12:13], s[0:1], 0x20
	s_load_dwordx2 s[14:15], s[0:1], 0x50
	;; [unrolled: 1-line block ×4, first 2 shown]
	v_mbcnt_lo_u32_b32 v3, -1, 0
	v_and_b32_e32 v24, 1, v0
	v_lshlrev_b32_e32 v0, 3, v6
	v_mbcnt_hi_u32_b32 v3, -1, v3
	v_mul_lo_u32 v6, v6, s11
	v_mov_b32_e32 v1, 0
	v_lshlrev_b32_e32 v3, 2, v3
	s_cmp_lg_u32 s4, 0
	v_ashrrev_i32_e32 v7, 31, v6
	v_lshl_or_b32 v25, v22, 8, v0
	v_or_b32_e32 v26, 4, v3
	s_cselect_b64 s[18:19], -1, 0
	s_ashr_i32 s8, s11, 31
	s_waitcnt lgkmcnt(0)
	v_lshl_add_u64 v[4:5], s[2:3], 0, v[0:1]
	v_lshl_add_u64 v[6:7], v[6:7], 3, s[2:3]
	v_lshlrev_b32_e32 v0, 3, v24
	v_or_b32_e32 v27, 0xfc, v3
	v_or_b32_e32 v3, 2, v24
	s_mul_hi_u32 s0, s11, s10
	s_mul_i32 s1, s8, s10
	s_mul_i32 s34, s11, s10
	v_lshl_add_u64 v[6:7], v[6:7], 0, v[0:1]
	v_mul_lo_u32 v0, v24, s10
	v_cmp_gt_u32_e64 s[2:3], s11, v3
	s_lshl_b32 s20, s10, 1
	v_or_b32_e32 v3, 4, v24
	s_abs_i32 s10, s11
	v_cmp_gt_u32_e64 s[4:5], s11, v3
	v_cvt_f32_u32_e32 v3, s10
	v_or_b32_e32 v8, v25, v24
	v_lshlrev_b32_e32 v28, 3, v8
	v_add_u32_e32 v8, s20, v0
	v_rcp_iflag_f32_e32 v3, v3
	s_add_i32 s33, s0, s1
	v_cmp_gt_u32_e64 s[0:1], s11, v24
	v_add_u32_e32 v10, s20, v8
	v_mul_f32_e32 v3, 0x4f7ffffe, v3
	v_cvt_u32_f32_e32 v3, v3
	v_or_b32_e32 v12, 6, v24
	v_cmp_gt_u32_e64 s[6:7], s11, v12
	v_add_u32_e32 v12, s20, v10
	s_and_b64 s[20:21], s[0:1], vcc
	s_sub_i32 s0, 0, s10
	v_mul_lo_u32 v14, s0, v3
	v_mul_hi_u32 v14, v3, v14
	v_mov_b32_e32 v9, v1
	v_mov_b32_e32 v11, v1
	;; [unrolled: 1-line block ×3, first 2 shown]
	s_and_b64 s[2:3], vcc, s[2:3]
	s_and_b64 s[4:5], vcc, s[4:5]
	;; [unrolled: 1-line block ×3, first 2 shown]
	v_add_u32_e32 v29, v3, v14
	v_or_b32_e32 v30, -2, v24
	s_mov_b64 s[22:23], 0
	v_mov_b32_e32 v14, v1
	v_mov_b32_e32 v15, v1
	;; [unrolled: 1-line block ×4, first 2 shown]
	s_branch .LBB112_11
.LBB112_8:                              ;   in Loop: Header=BB112_11 Depth=1
	v_mov_b32_e32 v21, s28
.LBB112_9:                              ;   in Loop: Header=BB112_11 Depth=1
	s_or_b64 exec, exec, s[26:27]
.LBB112_10:                             ;   in Loop: Header=BB112_11 Depth=1
	s_or_b64 exec, exec, s[24:25]
	v_mov_b32_dpp v3, v32 row_shr:1 row_mask:0xf bank_mask:0xf
	v_min_i32_e32 v3, v3, v32
	v_add_u32_e32 v2, v21, v2
	s_waitcnt lgkmcnt(0)
	v_mov_b32_dpp v16, v3 row_shr:2 row_mask:0xf bank_mask:0xf
	v_min_i32_e32 v3, v16, v3
	s_nop 1
	v_mov_b32_dpp v16, v3 row_shr:4 row_mask:0xf bank_mask:0xe
	v_min_i32_e32 v3, v16, v3
	s_nop 1
	;; [unrolled: 3-line block ×3, first 2 shown]
	v_mov_b32_dpp v16, v3 row_bcast:15 row_mask:0xa bank_mask:0xf
	v_min_i32_e32 v3, v16, v3
	s_nop 1
	v_mov_b32_dpp v16, v3 row_bcast:31 row_mask:0xc bank_mask:0xf
	v_min_i32_e32 v3, v16, v3
	ds_bpermute_b32 v3, v27, v3
	s_waitcnt lgkmcnt(0)
	v_cmp_le_i32_e32 vcc, s9, v3
	s_or_b64 s[22:23], vcc, s[22:23]
	s_andn2_b64 exec, exec, s[22:23]
	s_cbranch_execz .LBB112_42
.LBB112_11:                             ; =>This Loop Header: Depth=1
                                        ;     Child Loop BB112_12 Depth 2
                                        ;     Child Loop BB112_16 Depth 2
	s_mov_b64 s[0:1], 0
	v_mov_b32_e32 v16, v28
	v_mov_b32_e32 v17, v30
	ds_write_b8 v22, v1 offset:8192
.LBB112_12:                             ;   Parent Loop BB112_11 Depth=1
                                        ; =>  This Inner Loop Header: Depth=2
	v_add_u32_e32 v17, 2, v17
	v_cmp_lt_u32_e32 vcc, 5, v17
	ds_write_b64 v16, v[14:15]
	s_or_b64 s[0:1], vcc, s[0:1]
	v_add_u32_e32 v16, 16, v16
	s_andn2_b64 exec, exec, s[0:1]
	s_cbranch_execnz .LBB112_12
; %bb.13:                               ;   in Loop: Header=BB112_11 Depth=1
	s_or_b64 exec, exec, s[0:1]
	v_add_u32_e32 v16, v20, v24
	v_cmp_lt_i32_e32 vcc, v16, v23
	v_mov_b32_e32 v32, s9
	v_mov_b32_e32 v17, v23
	s_waitcnt lgkmcnt(0)
	s_and_saveexec_b64 s[24:25], vcc
	s_cbranch_execz .LBB112_21
; %bb.14:                               ;   in Loop: Header=BB112_11 Depth=1
	v_ashrrev_i32_e32 v17, 31, v16
	v_mul_lo_u32 v33, v3, s11
	v_lshl_add_u64 v[18:19], v[16:17], 2, s[16:17]
	v_lshl_add_u64 v[20:21], v[16:17], 3, s[12:13]
	s_mov_b64 s[26:27], 0
	v_mov_b32_e32 v32, s9
	v_mov_b32_e32 v17, v23
	s_branch .LBB112_16
.LBB112_15:                             ;   in Loop: Header=BB112_16 Depth=2
	s_or_b64 exec, exec, s[0:1]
	v_add_u32_e32 v16, 2, v16
	v_cmp_ge_i32_e64 s[0:1], v16, v23
	s_xor_b64 s[28:29], vcc, -1
	s_or_b64 s[0:1], s[28:29], s[0:1]
	s_and_b64 s[0:1], exec, s[0:1]
	v_lshl_add_u64 v[18:19], v[18:19], 0, 8
	s_or_b64 s[26:27], s[0:1], s[26:27]
	v_lshl_add_u64 v[20:21], v[20:21], 0, 16
	s_andn2_b64 exec, exec, s[26:27]
	s_cbranch_execz .LBB112_20
.LBB112_16:                             ;   Parent Loop BB112_11 Depth=1
                                        ; =>  This Inner Loop Header: Depth=2
	global_load_dword v34, v[18:19], off
	s_waitcnt vmcnt(0)
	v_subrev_u32_e32 v34, s30, v34
	v_sub_u32_e32 v36, 0, v34
	v_max_i32_e32 v36, v34, v36
	v_mul_hi_u32 v37, v36, v29
	v_mul_lo_u32 v38, v37, s10
	v_sub_u32_e32 v36, v36, v38
	v_add_u32_e32 v39, 1, v37
	v_cmp_le_u32_e32 vcc, s10, v36
	v_subrev_u32_e32 v38, s10, v36
	v_ashrrev_i32_e32 v35, 31, v34
	v_cndmask_b32_e32 v37, v37, v39, vcc
	v_cndmask_b32_e32 v36, v36, v38, vcc
	v_add_u32_e32 v38, 1, v37
	v_cmp_le_u32_e32 vcc, s10, v36
	v_xor_b32_e32 v35, s8, v35
	s_nop 0
	v_cndmask_b32_e32 v36, v37, v38, vcc
	v_xor_b32_e32 v36, v36, v35
	v_sub_u32_e32 v36, v36, v35
	v_cmp_eq_u32_e32 vcc, v36, v3
	v_cmp_ne_u32_e64 s[0:1], v36, v3
	v_mov_b32_e32 v35, v17
	s_and_saveexec_b64 s[28:29], s[0:1]
	s_xor_b64 s[0:1], exec, s[28:29]
; %bb.17:                               ;   in Loop: Header=BB112_16 Depth=2
	v_min_i32_e32 v32, v36, v32
                                        ; implicit-def: $vgpr34
                                        ; implicit-def: $vgpr35
; %bb.18:                               ;   in Loop: Header=BB112_16 Depth=2
	s_or_saveexec_b64 s[0:1], s[0:1]
	v_mov_b32_e32 v17, v16
	s_xor_b64 exec, exec, s[0:1]
	s_cbranch_execz .LBB112_15
; %bb.19:                               ;   in Loop: Header=BB112_16 Depth=2
	global_load_dwordx2 v[36:37], v[20:21], off
	v_sub_u32_e32 v17, v34, v33
	v_add_lshl_u32 v17, v25, v17, 3
	ds_write_b8 v22, v31 offset:8192
	s_waitcnt vmcnt(0)
	ds_write_b64 v17, v[36:37]
	v_mov_b32_e32 v17, v35
	s_branch .LBB112_15
.LBB112_20:                             ;   in Loop: Header=BB112_11 Depth=1
	s_or_b64 exec, exec, s[26:27]
.LBB112_21:                             ;   in Loop: Header=BB112_11 Depth=1
	s_or_b64 exec, exec, s[24:25]
	s_waitcnt lgkmcnt(0)
	ds_read_u8 v16, v22 offset:8192
	v_mov_b32_dpp v18, v17 row_shr:1 row_mask:0xf bank_mask:0xf
	v_min_i32_e32 v17, v18, v17
	ds_bpermute_b32 v20, v26, v17
	v_mov_b32_e32 v21, 0
	s_waitcnt lgkmcnt(1)
	v_and_b32_e32 v16, 1, v16
	v_cmp_eq_u32_e32 vcc, 1, v16
	s_and_saveexec_b64 s[24:25], vcc
	s_cbranch_execz .LBB112_10
; %bb.22:                               ;   in Loop: Header=BB112_11 Depth=1
	v_add_u32_e32 v18, s31, v3
	v_ashrrev_i32_e32 v3, 31, v2
	v_lshl_add_u64 v[16:17], v[2:3], 2, s[14:15]
	global_store_dword v[16:17], v18, off
	v_mul_lo_u32 v18, s33, v2
	v_mul_lo_u32 v3, s34, v3
	v_mad_u64_u32 v[16:17], s[0:1], s34, v2, 0
	v_add3_u32 v17, v17, v3, v18
	v_lshlrev_b64 v[16:17], 3, v[16:17]
	v_lshl_add_u64 v[18:19], v[4:5], 0, v[16:17]
	v_lshl_add_u64 v[16:17], v[6:7], 0, v[16:17]
	s_and_saveexec_b64 s[0:1], s[20:21]
	s_cbranch_execz .LBB112_26
; %bb.23:                               ;   in Loop: Header=BB112_11 Depth=1
	s_and_b64 vcc, exec, s[18:19]
	s_cbranch_vccz .LBB112_37
; %bb.24:                               ;   in Loop: Header=BB112_11 Depth=1
	ds_read_b64 v[34:35], v28
	v_lshl_add_u64 v[36:37], v[0:1], 3, v[18:19]
	s_waitcnt lgkmcnt(0)
	global_store_dwordx2 v[36:37], v[34:35], off
	s_cbranch_execnz .LBB112_26
.LBB112_25:                             ;   in Loop: Header=BB112_11 Depth=1
	ds_read_b64 v[34:35], v28
	s_waitcnt lgkmcnt(0)
	global_store_dwordx2 v[16:17], v[34:35], off
.LBB112_26:                             ;   in Loop: Header=BB112_11 Depth=1
	s_or_b64 exec, exec, s[0:1]
	v_cndmask_b32_e64 v3, 0, 1, s[18:19]
	v_cmp_ne_u32_e64 s[0:1], 1, v3
	s_and_saveexec_b64 s[26:27], s[2:3]
	s_cbranch_execz .LBB112_30
; %bb.27:                               ;   in Loop: Header=BB112_11 Depth=1
	s_and_b64 vcc, exec, s[0:1]
	s_cbranch_vccnz .LBB112_38
; %bb.28:                               ;   in Loop: Header=BB112_11 Depth=1
	ds_read_b64 v[34:35], v28 offset:16
	v_lshl_add_u64 v[36:37], v[8:9], 3, v[18:19]
	s_waitcnt lgkmcnt(0)
	global_store_dwordx2 v[36:37], v[34:35], off
	s_cbranch_execnz .LBB112_30
.LBB112_29:                             ;   in Loop: Header=BB112_11 Depth=1
	ds_read_b64 v[34:35], v28 offset:16
	s_waitcnt lgkmcnt(0)
	global_store_dwordx2 v[16:17], v[34:35], off offset:16
.LBB112_30:                             ;   in Loop: Header=BB112_11 Depth=1
	s_or_b64 exec, exec, s[26:27]
	s_and_saveexec_b64 s[26:27], s[4:5]
	s_cbranch_execz .LBB112_34
; %bb.31:                               ;   in Loop: Header=BB112_11 Depth=1
	s_and_b64 vcc, exec, s[0:1]
	s_cbranch_vccnz .LBB112_39
; %bb.32:                               ;   in Loop: Header=BB112_11 Depth=1
	ds_read_b64 v[34:35], v28 offset:32
	v_lshl_add_u64 v[36:37], v[10:11], 3, v[18:19]
	s_waitcnt lgkmcnt(0)
	global_store_dwordx2 v[36:37], v[34:35], off
	s_cbranch_execnz .LBB112_34
.LBB112_33:                             ;   in Loop: Header=BB112_11 Depth=1
	ds_read_b64 v[34:35], v28 offset:32
	s_waitcnt lgkmcnt(0)
	global_store_dwordx2 v[16:17], v[34:35], off offset:32
.LBB112_34:                             ;   in Loop: Header=BB112_11 Depth=1
	s_or_b64 exec, exec, s[26:27]
	v_mov_b32_e32 v21, 1
	s_and_saveexec_b64 s[26:27], s[6:7]
	s_cbranch_execz .LBB112_9
; %bb.35:                               ;   in Loop: Header=BB112_11 Depth=1
	s_and_b64 vcc, exec, s[0:1]
	s_cbranch_vccnz .LBB112_40
; %bb.36:                               ;   in Loop: Header=BB112_11 Depth=1
	ds_read_b64 v[34:35], v28 offset:48
	v_lshl_add_u64 v[18:19], v[12:13], 3, v[18:19]
	s_mov_b32 s28, 1
	s_waitcnt lgkmcnt(0)
	global_store_dwordx2 v[18:19], v[34:35], off
	s_cbranch_execnz .LBB112_8
	s_branch .LBB112_41
.LBB112_37:                             ;   in Loop: Header=BB112_11 Depth=1
	s_branch .LBB112_25
.LBB112_38:                             ;   in Loop: Header=BB112_11 Depth=1
	s_branch .LBB112_29
.LBB112_39:                             ;   in Loop: Header=BB112_11 Depth=1
	s_branch .LBB112_33
.LBB112_40:                             ;   in Loop: Header=BB112_11 Depth=1
                                        ; implicit-def: $sgpr28
.LBB112_41:                             ;   in Loop: Header=BB112_11 Depth=1
	ds_read_b64 v[18:19], v28 offset:48
	s_mov_b32 s28, 1
	s_waitcnt lgkmcnt(0)
	global_store_dwordx2 v[16:17], v[18:19], off offset:48
	s_branch .LBB112_8
.LBB112_42:
	s_endpgm
	.section	.rodata,"a",@progbits
	.p2align	6, 0x0
	.amdhsa_kernel _ZN9rocsparseL44csr2gebsr_wavefront_per_row_multipass_kernelILi256ELi32ELi8ELi64EdEEv20rocsparse_direction_iiiiii21rocsparse_index_base_PKT3_PKiS7_S2_PS3_PiS9_
		.amdhsa_group_segment_fixed_size 8200
		.amdhsa_private_segment_fixed_size 0
		.amdhsa_kernarg_size 88
		.amdhsa_user_sgpr_count 2
		.amdhsa_user_sgpr_dispatch_ptr 0
		.amdhsa_user_sgpr_queue_ptr 0
		.amdhsa_user_sgpr_kernarg_segment_ptr 1
		.amdhsa_user_sgpr_dispatch_id 0
		.amdhsa_user_sgpr_kernarg_preload_length 0
		.amdhsa_user_sgpr_kernarg_preload_offset 0
		.amdhsa_user_sgpr_private_segment_size 0
		.amdhsa_uses_dynamic_stack 0
		.amdhsa_enable_private_segment 0
		.amdhsa_system_sgpr_workgroup_id_x 1
		.amdhsa_system_sgpr_workgroup_id_y 0
		.amdhsa_system_sgpr_workgroup_id_z 0
		.amdhsa_system_sgpr_workgroup_info 0
		.amdhsa_system_vgpr_workitem_id 0
		.amdhsa_next_free_vgpr 40
		.amdhsa_next_free_sgpr 35
		.amdhsa_accum_offset 40
		.amdhsa_reserve_vcc 1
		.amdhsa_float_round_mode_32 0
		.amdhsa_float_round_mode_16_64 0
		.amdhsa_float_denorm_mode_32 3
		.amdhsa_float_denorm_mode_16_64 3
		.amdhsa_dx10_clamp 1
		.amdhsa_ieee_mode 1
		.amdhsa_fp16_overflow 0
		.amdhsa_tg_split 0
		.amdhsa_exception_fp_ieee_invalid_op 0
		.amdhsa_exception_fp_denorm_src 0
		.amdhsa_exception_fp_ieee_div_zero 0
		.amdhsa_exception_fp_ieee_overflow 0
		.amdhsa_exception_fp_ieee_underflow 0
		.amdhsa_exception_fp_ieee_inexact 0
		.amdhsa_exception_int_div_zero 0
	.end_amdhsa_kernel
	.section	.text._ZN9rocsparseL44csr2gebsr_wavefront_per_row_multipass_kernelILi256ELi32ELi8ELi64EdEEv20rocsparse_direction_iiiiii21rocsparse_index_base_PKT3_PKiS7_S2_PS3_PiS9_,"axG",@progbits,_ZN9rocsparseL44csr2gebsr_wavefront_per_row_multipass_kernelILi256ELi32ELi8ELi64EdEEv20rocsparse_direction_iiiiii21rocsparse_index_base_PKT3_PKiS7_S2_PS3_PiS9_,comdat
.Lfunc_end112:
	.size	_ZN9rocsparseL44csr2gebsr_wavefront_per_row_multipass_kernelILi256ELi32ELi8ELi64EdEEv20rocsparse_direction_iiiiii21rocsparse_index_base_PKT3_PKiS7_S2_PS3_PiS9_, .Lfunc_end112-_ZN9rocsparseL44csr2gebsr_wavefront_per_row_multipass_kernelILi256ELi32ELi8ELi64EdEEv20rocsparse_direction_iiiiii21rocsparse_index_base_PKT3_PKiS7_S2_PS3_PiS9_
                                        ; -- End function
	.section	.AMDGPU.csdata,"",@progbits
; Kernel info:
; codeLenInByte = 1572
; NumSgprs: 41
; NumVgprs: 40
; NumAgprs: 0
; TotalNumVgprs: 40
; ScratchSize: 0
; MemoryBound: 0
; FloatMode: 240
; IeeeMode: 1
; LDSByteSize: 8200 bytes/workgroup (compile time only)
; SGPRBlocks: 5
; VGPRBlocks: 4
; NumSGPRsForWavesPerEU: 41
; NumVGPRsForWavesPerEU: 40
; AccumOffset: 40
; Occupancy: 7
; WaveLimiterHint : 0
; COMPUTE_PGM_RSRC2:SCRATCH_EN: 0
; COMPUTE_PGM_RSRC2:USER_SGPR: 2
; COMPUTE_PGM_RSRC2:TRAP_HANDLER: 0
; COMPUTE_PGM_RSRC2:TGID_X_EN: 1
; COMPUTE_PGM_RSRC2:TGID_Y_EN: 0
; COMPUTE_PGM_RSRC2:TGID_Z_EN: 0
; COMPUTE_PGM_RSRC2:TIDIG_COMP_CNT: 0
; COMPUTE_PGM_RSRC3_GFX90A:ACCUM_OFFSET: 9
; COMPUTE_PGM_RSRC3_GFX90A:TG_SPLIT: 0
	.section	.text._ZN9rocsparseL44csr2gebsr_wavefront_per_row_multipass_kernelILi256ELi32ELi8ELi32EdEEv20rocsparse_direction_iiiiii21rocsparse_index_base_PKT3_PKiS7_S2_PS3_PiS9_,"axG",@progbits,_ZN9rocsparseL44csr2gebsr_wavefront_per_row_multipass_kernelILi256ELi32ELi8ELi32EdEEv20rocsparse_direction_iiiiii21rocsparse_index_base_PKT3_PKiS7_S2_PS3_PiS9_,comdat
	.globl	_ZN9rocsparseL44csr2gebsr_wavefront_per_row_multipass_kernelILi256ELi32ELi8ELi32EdEEv20rocsparse_direction_iiiiii21rocsparse_index_base_PKT3_PKiS7_S2_PS3_PiS9_ ; -- Begin function _ZN9rocsparseL44csr2gebsr_wavefront_per_row_multipass_kernelILi256ELi32ELi8ELi32EdEEv20rocsparse_direction_iiiiii21rocsparse_index_base_PKT3_PKiS7_S2_PS3_PiS9_
	.p2align	8
	.type	_ZN9rocsparseL44csr2gebsr_wavefront_per_row_multipass_kernelILi256ELi32ELi8ELi32EdEEv20rocsparse_direction_iiiiii21rocsparse_index_base_PKT3_PKiS7_S2_PS3_PiS9_,@function
_ZN9rocsparseL44csr2gebsr_wavefront_per_row_multipass_kernelILi256ELi32ELi8ELi32EdEEv20rocsparse_direction_iiiiii21rocsparse_index_base_PKT3_PKiS7_S2_PS3_PiS9_: ; @_ZN9rocsparseL44csr2gebsr_wavefront_per_row_multipass_kernelILi256ELi32ELi8ELi32EdEEv20rocsparse_direction_iiiiii21rocsparse_index_base_PKT3_PKiS7_S2_PS3_PiS9_
; %bb.0:
	s_load_dwordx2 s[14:15], s[0:1], 0x0
	s_load_dwordx4 s[4:7], s[0:1], 0xc
	s_load_dword s33, s[0:1], 0x1c
	s_load_dwordx2 s[8:9], s[0:1], 0x28
	v_lshrrev_b32_e32 v18, 5, v0
	v_and_b32_e32 v2, 31, v0
	v_lshl_or_b32 v8, s2, 3, v18
	s_waitcnt lgkmcnt(0)
	v_mad_u64_u32 v[6:7], s[2:3], v8, s6, v[2:3]
	v_cmp_gt_i32_e32 vcc, s15, v6
	v_cmp_gt_i32_e64 s[2:3], s6, v2
	s_and_b64 s[10:11], s[2:3], vcc
	v_mov_b32_e32 v19, 0
	v_mov_b32_e32 v4, 0
	s_and_saveexec_b64 s[12:13], s[10:11]
	s_cbranch_execz .LBB113_2
; %bb.1:
	v_ashrrev_i32_e32 v7, 31, v6
	v_lshl_add_u64 v[4:5], v[6:7], 2, s[8:9]
	global_load_dword v1, v[4:5], off
	s_waitcnt vmcnt(0)
	v_subrev_u32_e32 v4, s33, v1
.LBB113_2:
	s_or_b64 exec, exec, s[12:13]
	s_and_saveexec_b64 s[12:13], s[10:11]
	s_cbranch_execz .LBB113_4
; %bb.3:
	v_ashrrev_i32_e32 v7, 31, v6
	v_lshl_add_u64 v[6:7], v[6:7], 2, s[8:9]
	global_load_dword v1, v[6:7], off offset:4
	s_waitcnt vmcnt(0)
	v_subrev_u32_e32 v19, s33, v1
.LBB113_4:
	s_or_b64 exec, exec, s[12:13]
	s_load_dword s52, s[0:1], 0x38
	v_cmp_gt_i32_e32 vcc, s4, v8
	v_mov_b32_e32 v6, 0
	s_and_saveexec_b64 s[8:9], vcc
	s_cbranch_execz .LBB113_6
; %bb.5:
	s_load_dwordx2 s[10:11], s[0:1], 0x48
	v_ashrrev_i32_e32 v9, 31, v8
	s_waitcnt lgkmcnt(0)
	v_lshl_add_u64 v[6:7], v[8:9], 2, s[10:11]
	global_load_dword v1, v[6:7], off
	s_waitcnt vmcnt(0)
	v_subrev_u32_e32 v6, s52, v1
.LBB113_6:
	s_or_b64 exec, exec, s[8:9]
	s_cmp_lt_i32 s5, 1
	s_cbranch_scc1 .LBB113_35
; %bb.7:
	s_cmp_eq_u32 s14, 0
	s_cselect_b64 vcc, -1, 0
	s_ashr_i32 s4, s7, 31
	s_load_dwordx2 s[8:9], s[0:1], 0x20
	s_load_dwordx2 s[10:11], s[0:1], 0x50
	;; [unrolled: 1-line block ×4, first 2 shown]
	s_mul_hi_u32 s0, s7, s6
	s_mul_i32 s1, s4, s6
	s_add_i32 s53, s0, s1
	v_lshlrev_b32_e32 v8, 3, v2
	v_mul_lo_u32 v2, v2, s7
	s_cmp_lg_u32 s7, 0
	v_mov_b32_e32 v9, 0
	v_ashrrev_i32_e32 v3, 31, v2
	s_cselect_b64 s[0:1], -1, 0
	s_waitcnt lgkmcnt(0)
	v_lshl_add_u64 v[10:11], s[16:17], 0, v[8:9]
	v_lshl_add_u64 v[12:13], v[2:3], 3, s[16:17]
	s_and_b64 s[16:17], s[2:3], s[0:1]
	s_cmp_gt_u32 s7, 1
	s_cselect_b64 s[0:1], -1, 0
	s_and_b64 s[18:19], s[2:3], s[0:1]
	s_cmp_gt_u32 s7, 2
	s_cselect_b64 s[0:1], -1, 0
	s_and_b64 s[20:21], s[2:3], s[0:1]
	s_lshl_b32 s22, s6, 1
	s_cmp_gt_u32 s7, 3
	s_cselect_b64 s[0:1], -1, 0
	s_and_b64 s[24:25], s[2:3], s[0:1]
	s_cmp_gt_u32 s7, 4
	s_cselect_b64 s[0:1], -1, 0
	s_and_b64 s[28:29], s[2:3], s[0:1]
	s_lshl_b32 s30, s6, 2
	s_cmp_gt_u32 s7, 5
	s_cselect_b64 s[0:1], -1, 0
	s_and_b64 s[34:35], s[2:3], s[0:1]
	s_cmp_gt_u32 s7, 6
	s_cselect_b64 s[0:1], -1, 0
	s_and_b64 s[36:37], s[2:3], s[0:1]
	s_cmp_gt_u32 s7, 7
	s_cselect_b64 s[0:1], -1, 0
	s_abs_i32 s55, s7
	v_lshlrev_b32_e32 v21, 6, v0
	v_cvt_f32_u32_e32 v0, s55
	v_mbcnt_lo_u32_b32 v1, -1, 0
	v_mbcnt_hi_u32_b32 v1, -1, v1
	s_and_b64 s[42:43], s[2:3], s[0:1]
	v_rcp_iflag_f32_e32 v0, v0
	s_sub_i32 s0, 0, s55
	s_mov_b32 s15, 0
	v_lshlrev_b32_e32 v20, 2, v1
	v_mul_f32_e32 v0, 0x4f7ffffe, v0
	v_cvt_u32_f32_e32 v0, v0
	s_mov_b32 s1, s15
	s_mov_b32 s2, s15
	;; [unrolled: 1-line block ×3, first 2 shown]
	v_mul_lo_u32 v1, s0, v0
	v_mul_hi_u32 v1, v0, v1
	s_mov_b32 s0, s15
	v_add_u32_e32 v22, v0, v1
	v_mov_b64_e32 v[0:1], s[0:1]
	s_mov_b32 s14, s6
	s_mul_i32 s54, s7, s6
	v_or_b32_e32 v8, 0x7c, v20
	s_mov_b32 s23, s15
	s_mul_i32 s26, s6, 3
	s_mov_b32 s27, s15
	s_mov_b32 s31, s15
	s_mul_i32 s38, s6, 5
	s_mov_b32 s39, s15
	s_mul_i32 s40, s6, 6
	;; [unrolled: 2-line block ×3, first 2 shown]
	s_mov_b32 s45, s15
	s_mov_b64 s[46:47], 0
	v_mov_b64_e32 v[2:3], s[2:3]
	v_mov_b32_e32 v23, 1
	v_mov_b32_e32 v7, 0
	s_branch .LBB113_10
.LBB113_8:                              ;   in Loop: Header=BB113_10 Depth=1
	s_or_b64 exec, exec, s[0:1]
	v_mov_b32_e32 v14, 1
.LBB113_9:                              ;   in Loop: Header=BB113_10 Depth=1
	s_or_b64 exec, exec, s[2:3]
	v_mov_b32_dpp v7, v5 row_shr:1 row_mask:0xf bank_mask:0xf
	v_min_i32_e32 v5, v7, v5
	v_add_u32_e32 v6, v14, v6
	s_waitcnt lgkmcnt(0)
	v_mov_b32_dpp v7, v5 row_shr:2 row_mask:0xf bank_mask:0xf
	v_min_i32_e32 v5, v7, v5
	s_nop 1
	v_mov_b32_dpp v7, v5 row_shr:4 row_mask:0xf bank_mask:0xe
	v_min_i32_e32 v5, v7, v5
	s_nop 1
	;; [unrolled: 3-line block ×3, first 2 shown]
	v_mov_b32_dpp v7, v5 row_bcast:15 row_mask:0xa bank_mask:0xf
	v_min_i32_e32 v5, v7, v5
	ds_bpermute_b32 v7, v8, v5
	s_waitcnt lgkmcnt(0)
	v_cmp_le_i32_e64 s[0:1], s5, v7
	s_or_b64 s[46:47], s[0:1], s[46:47]
	s_andn2_b64 exec, exec, s[46:47]
	s_cbranch_execz .LBB113_35
.LBB113_10:                             ; =>This Loop Header: Depth=1
                                        ;     Child Loop BB113_13 Depth 2
	v_cmp_lt_i32_e64 s[0:1], v4, v19
	v_mov_b32_e32 v5, s5
	v_mov_b32_e32 v25, v19
	ds_write_b8 v18, v9 offset:16384
	ds_write_b128 v21, v[0:3]
	ds_write_b128 v21, v[0:3] offset:16
	ds_write_b128 v21, v[0:3] offset:32
	;; [unrolled: 1-line block ×3, first 2 shown]
	s_waitcnt lgkmcnt(0)
	s_and_saveexec_b64 s[48:49], s[0:1]
	s_cbranch_execz .LBB113_18
; %bb.11:                               ;   in Loop: Header=BB113_10 Depth=1
	v_ashrrev_i32_e32 v5, 31, v4
	v_mul_lo_u32 v24, v7, s7
	v_lshl_add_u64 v[14:15], v[4:5], 2, s[12:13]
	v_lshl_add_u64 v[16:17], v[4:5], 3, s[8:9]
	s_mov_b64 s[50:51], 0
	v_mov_b32_e32 v5, s5
	v_mov_b32_e32 v25, v19
	s_branch .LBB113_13
.LBB113_12:                             ;   in Loop: Header=BB113_13 Depth=2
	s_or_b64 exec, exec, s[2:3]
	v_add_u32_e32 v4, 1, v4
	v_cmp_ge_i32_e64 s[2:3], v4, v19
	s_xor_b64 s[0:1], s[0:1], -1
	s_or_b64 s[0:1], s[0:1], s[2:3]
	s_and_b64 s[0:1], exec, s[0:1]
	v_lshl_add_u64 v[14:15], v[14:15], 0, 4
	s_or_b64 s[50:51], s[0:1], s[50:51]
	v_lshl_add_u64 v[16:17], v[16:17], 0, 8
	s_andn2_b64 exec, exec, s[50:51]
	s_cbranch_execz .LBB113_17
.LBB113_13:                             ;   Parent Loop BB113_10 Depth=1
                                        ; =>  This Inner Loop Header: Depth=2
	global_load_dword v26, v[14:15], off
	s_waitcnt vmcnt(0)
	v_subrev_u32_e32 v26, s33, v26
	v_sub_u32_e32 v28, 0, v26
	v_max_i32_e32 v28, v26, v28
	v_mul_hi_u32 v29, v28, v22
	v_mul_lo_u32 v30, v29, s55
	v_sub_u32_e32 v28, v28, v30
	v_add_u32_e32 v31, 1, v29
	v_cmp_le_u32_e64 s[0:1], s55, v28
	v_subrev_u32_e32 v30, s55, v28
	v_ashrrev_i32_e32 v27, 31, v26
	v_cndmask_b32_e64 v29, v29, v31, s[0:1]
	v_cndmask_b32_e64 v28, v28, v30, s[0:1]
	v_add_u32_e32 v30, 1, v29
	v_cmp_le_u32_e64 s[0:1], s55, v28
	v_xor_b32_e32 v27, s4, v27
	s_nop 0
	v_cndmask_b32_e64 v28, v29, v30, s[0:1]
	v_xor_b32_e32 v28, v28, v27
	v_sub_u32_e32 v28, v28, v27
	v_cmp_eq_u32_e64 s[0:1], v28, v7
	v_cmp_ne_u32_e64 s[2:3], v28, v7
	v_mov_b32_e32 v27, v25
	s_and_saveexec_b64 s[56:57], s[2:3]
	s_xor_b64 s[2:3], exec, s[56:57]
; %bb.14:                               ;   in Loop: Header=BB113_13 Depth=2
	v_min_i32_e32 v5, v28, v5
                                        ; implicit-def: $vgpr26
                                        ; implicit-def: $vgpr27
; %bb.15:                               ;   in Loop: Header=BB113_13 Depth=2
	s_or_saveexec_b64 s[2:3], s[2:3]
	v_mov_b32_e32 v25, v4
	s_xor_b64 exec, exec, s[2:3]
	s_cbranch_execz .LBB113_12
; %bb.16:                               ;   in Loop: Header=BB113_13 Depth=2
	global_load_dwordx2 v[28:29], v[16:17], off
	v_sub_u32_e32 v25, v26, v24
	v_lshl_add_u32 v25, v25, 3, v21
	ds_write_b8 v18, v23 offset:16384
	s_waitcnt vmcnt(0)
	ds_write_b64 v25, v[28:29]
	v_mov_b32_e32 v25, v27
	s_branch .LBB113_12
.LBB113_17:                             ;   in Loop: Header=BB113_10 Depth=1
	s_or_b64 exec, exec, s[50:51]
.LBB113_18:                             ;   in Loop: Header=BB113_10 Depth=1
	s_or_b64 exec, exec, s[48:49]
	s_waitcnt lgkmcnt(0)
	ds_read_u8 v14, v18 offset:16384
	ds_bpermute_b32 v4, v20, v25
	s_waitcnt lgkmcnt(1)
	v_and_b32_e32 v14, 1, v14
	v_cmp_eq_u32_e64 s[0:1], 1, v14
	v_mov_b32_e32 v14, 0
	s_and_saveexec_b64 s[2:3], s[0:1]
	s_cbranch_execz .LBB113_9
; %bb.19:                               ;   in Loop: Header=BB113_10 Depth=1
	v_add_u32_e32 v16, s52, v7
	v_ashrrev_i32_e32 v7, 31, v6
	v_lshl_add_u64 v[14:15], v[6:7], 2, s[10:11]
	global_store_dword v[14:15], v16, off
	v_mul_lo_u32 v16, s53, v6
	v_mul_lo_u32 v7, s54, v7
	v_mad_u64_u32 v[14:15], s[0:1], s54, v6, 0
	v_add3_u32 v15, v15, v7, v16
	v_lshlrev_b64 v[16:17], 3, v[14:15]
	v_lshl_add_u64 v[14:15], v[10:11], 0, v[16:17]
	v_lshl_add_u64 v[16:17], v[12:13], 0, v[16:17]
	s_and_saveexec_b64 s[0:1], s[16:17]
	s_cbranch_execnz .LBB113_27
; %bb.20:                               ;   in Loop: Header=BB113_10 Depth=1
	s_or_b64 exec, exec, s[0:1]
	s_and_saveexec_b64 s[0:1], s[18:19]
	s_cbranch_execnz .LBB113_28
.LBB113_21:                             ;   in Loop: Header=BB113_10 Depth=1
	s_or_b64 exec, exec, s[0:1]
	s_and_saveexec_b64 s[0:1], s[20:21]
	s_cbranch_execnz .LBB113_29
.LBB113_22:                             ;   in Loop: Header=BB113_10 Depth=1
	s_or_b64 exec, exec, s[0:1]
	s_and_saveexec_b64 s[0:1], s[24:25]
	s_cbranch_execnz .LBB113_30
.LBB113_23:                             ;   in Loop: Header=BB113_10 Depth=1
	s_or_b64 exec, exec, s[0:1]
	s_and_saveexec_b64 s[0:1], s[28:29]
	s_cbranch_execnz .LBB113_31
.LBB113_24:                             ;   in Loop: Header=BB113_10 Depth=1
	s_or_b64 exec, exec, s[0:1]
	s_and_saveexec_b64 s[0:1], s[34:35]
	s_cbranch_execnz .LBB113_32
.LBB113_25:                             ;   in Loop: Header=BB113_10 Depth=1
	s_or_b64 exec, exec, s[0:1]
	s_and_saveexec_b64 s[0:1], s[36:37]
	s_cbranch_execnz .LBB113_33
.LBB113_26:                             ;   in Loop: Header=BB113_10 Depth=1
	s_or_b64 exec, exec, s[0:1]
	s_and_saveexec_b64 s[0:1], s[42:43]
	s_cbranch_execz .LBB113_8
	s_branch .LBB113_34
.LBB113_27:                             ;   in Loop: Header=BB113_10 Depth=1
	ds_read_b64 v[24:25], v21
	v_cndmask_b32_e32 v27, v15, v17, vcc
	v_cndmask_b32_e32 v26, v14, v16, vcc
	s_waitcnt lgkmcnt(0)
	global_store_dwordx2 v[26:27], v[24:25], off
	s_or_b64 exec, exec, s[0:1]
	s_and_saveexec_b64 s[0:1], s[18:19]
	s_cbranch_execz .LBB113_21
.LBB113_28:                             ;   in Loop: Header=BB113_10 Depth=1
	ds_read_b64 v[24:25], v21 offset:8
	v_lshl_add_u64 v[26:27], v[16:17], 0, 8
	v_lshl_add_u64 v[28:29], s[14:15], 3, v[14:15]
	v_cndmask_b32_e32 v27, v29, v27, vcc
	v_cndmask_b32_e32 v26, v28, v26, vcc
	s_waitcnt lgkmcnt(0)
	global_store_dwordx2 v[26:27], v[24:25], off
	s_or_b64 exec, exec, s[0:1]
	s_and_saveexec_b64 s[0:1], s[20:21]
	s_cbranch_execz .LBB113_22
.LBB113_29:                             ;   in Loop: Header=BB113_10 Depth=1
	ds_read_b64 v[24:25], v21 offset:16
	v_lshl_add_u64 v[26:27], v[16:17], 0, 16
	v_lshl_add_u64 v[28:29], s[22:23], 3, v[14:15]
	v_cndmask_b32_e32 v27, v29, v27, vcc
	v_cndmask_b32_e32 v26, v28, v26, vcc
	s_waitcnt lgkmcnt(0)
	global_store_dwordx2 v[26:27], v[24:25], off
	s_or_b64 exec, exec, s[0:1]
	s_and_saveexec_b64 s[0:1], s[24:25]
	s_cbranch_execz .LBB113_23
.LBB113_30:                             ;   in Loop: Header=BB113_10 Depth=1
	ds_read_b64 v[24:25], v21 offset:24
	v_lshl_add_u64 v[26:27], v[16:17], 0, 24
	v_lshl_add_u64 v[28:29], s[26:27], 3, v[14:15]
	v_cndmask_b32_e32 v27, v29, v27, vcc
	v_cndmask_b32_e32 v26, v28, v26, vcc
	s_waitcnt lgkmcnt(0)
	global_store_dwordx2 v[26:27], v[24:25], off
	s_or_b64 exec, exec, s[0:1]
	s_and_saveexec_b64 s[0:1], s[28:29]
	s_cbranch_execz .LBB113_24
.LBB113_31:                             ;   in Loop: Header=BB113_10 Depth=1
	ds_read_b64 v[24:25], v21 offset:32
	v_lshl_add_u64 v[26:27], v[16:17], 0, 32
	v_lshl_add_u64 v[28:29], s[30:31], 3, v[14:15]
	v_cndmask_b32_e32 v27, v29, v27, vcc
	v_cndmask_b32_e32 v26, v28, v26, vcc
	s_waitcnt lgkmcnt(0)
	global_store_dwordx2 v[26:27], v[24:25], off
	s_or_b64 exec, exec, s[0:1]
	s_and_saveexec_b64 s[0:1], s[34:35]
	s_cbranch_execz .LBB113_25
.LBB113_32:                             ;   in Loop: Header=BB113_10 Depth=1
	ds_read_b64 v[24:25], v21 offset:40
	v_lshl_add_u64 v[26:27], v[16:17], 0, 40
	v_lshl_add_u64 v[28:29], s[38:39], 3, v[14:15]
	v_cndmask_b32_e32 v27, v29, v27, vcc
	v_cndmask_b32_e32 v26, v28, v26, vcc
	s_waitcnt lgkmcnt(0)
	global_store_dwordx2 v[26:27], v[24:25], off
	s_or_b64 exec, exec, s[0:1]
	s_and_saveexec_b64 s[0:1], s[36:37]
	s_cbranch_execz .LBB113_26
.LBB113_33:                             ;   in Loop: Header=BB113_10 Depth=1
	ds_read_b64 v[24:25], v21 offset:48
	v_lshl_add_u64 v[26:27], v[16:17], 0, 48
	v_lshl_add_u64 v[28:29], s[40:41], 3, v[14:15]
	v_cndmask_b32_e32 v27, v29, v27, vcc
	v_cndmask_b32_e32 v26, v28, v26, vcc
	s_waitcnt lgkmcnt(0)
	global_store_dwordx2 v[26:27], v[24:25], off
	s_or_b64 exec, exec, s[0:1]
	s_and_saveexec_b64 s[0:1], s[42:43]
	s_cbranch_execz .LBB113_8
.LBB113_34:                             ;   in Loop: Header=BB113_10 Depth=1
	ds_read_b64 v[24:25], v21 offset:56
	v_lshl_add_u64 v[16:17], v[16:17], 0, 56
	v_lshl_add_u64 v[14:15], s[44:45], 3, v[14:15]
	v_cndmask_b32_e32 v15, v15, v17, vcc
	v_cndmask_b32_e32 v14, v14, v16, vcc
	s_waitcnt lgkmcnt(0)
	global_store_dwordx2 v[14:15], v[24:25], off
	s_branch .LBB113_8
.LBB113_35:
	s_endpgm
	.section	.rodata,"a",@progbits
	.p2align	6, 0x0
	.amdhsa_kernel _ZN9rocsparseL44csr2gebsr_wavefront_per_row_multipass_kernelILi256ELi32ELi8ELi32EdEEv20rocsparse_direction_iiiiii21rocsparse_index_base_PKT3_PKiS7_S2_PS3_PiS9_
		.amdhsa_group_segment_fixed_size 16392
		.amdhsa_private_segment_fixed_size 0
		.amdhsa_kernarg_size 88
		.amdhsa_user_sgpr_count 2
		.amdhsa_user_sgpr_dispatch_ptr 0
		.amdhsa_user_sgpr_queue_ptr 0
		.amdhsa_user_sgpr_kernarg_segment_ptr 1
		.amdhsa_user_sgpr_dispatch_id 0
		.amdhsa_user_sgpr_kernarg_preload_length 0
		.amdhsa_user_sgpr_kernarg_preload_offset 0
		.amdhsa_user_sgpr_private_segment_size 0
		.amdhsa_uses_dynamic_stack 0
		.amdhsa_enable_private_segment 0
		.amdhsa_system_sgpr_workgroup_id_x 1
		.amdhsa_system_sgpr_workgroup_id_y 0
		.amdhsa_system_sgpr_workgroup_id_z 0
		.amdhsa_system_sgpr_workgroup_info 0
		.amdhsa_system_vgpr_workitem_id 0
		.amdhsa_next_free_vgpr 32
		.amdhsa_next_free_sgpr 58
		.amdhsa_accum_offset 32
		.amdhsa_reserve_vcc 1
		.amdhsa_float_round_mode_32 0
		.amdhsa_float_round_mode_16_64 0
		.amdhsa_float_denorm_mode_32 3
		.amdhsa_float_denorm_mode_16_64 3
		.amdhsa_dx10_clamp 1
		.amdhsa_ieee_mode 1
		.amdhsa_fp16_overflow 0
		.amdhsa_tg_split 0
		.amdhsa_exception_fp_ieee_invalid_op 0
		.amdhsa_exception_fp_denorm_src 0
		.amdhsa_exception_fp_ieee_div_zero 0
		.amdhsa_exception_fp_ieee_overflow 0
		.amdhsa_exception_fp_ieee_underflow 0
		.amdhsa_exception_fp_ieee_inexact 0
		.amdhsa_exception_int_div_zero 0
	.end_amdhsa_kernel
	.section	.text._ZN9rocsparseL44csr2gebsr_wavefront_per_row_multipass_kernelILi256ELi32ELi8ELi32EdEEv20rocsparse_direction_iiiiii21rocsparse_index_base_PKT3_PKiS7_S2_PS3_PiS9_,"axG",@progbits,_ZN9rocsparseL44csr2gebsr_wavefront_per_row_multipass_kernelILi256ELi32ELi8ELi32EdEEv20rocsparse_direction_iiiiii21rocsparse_index_base_PKT3_PKiS7_S2_PS3_PiS9_,comdat
.Lfunc_end113:
	.size	_ZN9rocsparseL44csr2gebsr_wavefront_per_row_multipass_kernelILi256ELi32ELi8ELi32EdEEv20rocsparse_direction_iiiiii21rocsparse_index_base_PKT3_PKiS7_S2_PS3_PiS9_, .Lfunc_end113-_ZN9rocsparseL44csr2gebsr_wavefront_per_row_multipass_kernelILi256ELi32ELi8ELi32EdEEv20rocsparse_direction_iiiiii21rocsparse_index_base_PKT3_PKiS7_S2_PS3_PiS9_
                                        ; -- End function
	.section	.AMDGPU.csdata,"",@progbits
; Kernel info:
; codeLenInByte = 1776
; NumSgprs: 64
; NumVgprs: 32
; NumAgprs: 0
; TotalNumVgprs: 32
; ScratchSize: 0
; MemoryBound: 0
; FloatMode: 240
; IeeeMode: 1
; LDSByteSize: 16392 bytes/workgroup (compile time only)
; SGPRBlocks: 7
; VGPRBlocks: 3
; NumSGPRsForWavesPerEU: 64
; NumVGPRsForWavesPerEU: 32
; AccumOffset: 32
; Occupancy: 3
; WaveLimiterHint : 0
; COMPUTE_PGM_RSRC2:SCRATCH_EN: 0
; COMPUTE_PGM_RSRC2:USER_SGPR: 2
; COMPUTE_PGM_RSRC2:TRAP_HANDLER: 0
; COMPUTE_PGM_RSRC2:TGID_X_EN: 1
; COMPUTE_PGM_RSRC2:TGID_Y_EN: 0
; COMPUTE_PGM_RSRC2:TGID_Z_EN: 0
; COMPUTE_PGM_RSRC2:TIDIG_COMP_CNT: 0
; COMPUTE_PGM_RSRC3_GFX90A:ACCUM_OFFSET: 7
; COMPUTE_PGM_RSRC3_GFX90A:TG_SPLIT: 0
	.section	.text._ZN9rocsparseL40csr2gebsr_block_per_row_multipass_kernelILj256ELj32ELj16EdEEv20rocsparse_direction_iiiiii21rocsparse_index_base_PKT2_PKiS7_S2_PS3_PiS9_,"axG",@progbits,_ZN9rocsparseL40csr2gebsr_block_per_row_multipass_kernelILj256ELj32ELj16EdEEv20rocsparse_direction_iiiiii21rocsparse_index_base_PKT2_PKiS7_S2_PS3_PiS9_,comdat
	.globl	_ZN9rocsparseL40csr2gebsr_block_per_row_multipass_kernelILj256ELj32ELj16EdEEv20rocsparse_direction_iiiiii21rocsparse_index_base_PKT2_PKiS7_S2_PS3_PiS9_ ; -- Begin function _ZN9rocsparseL40csr2gebsr_block_per_row_multipass_kernelILj256ELj32ELj16EdEEv20rocsparse_direction_iiiiii21rocsparse_index_base_PKT2_PKiS7_S2_PS3_PiS9_
	.p2align	8
	.type	_ZN9rocsparseL40csr2gebsr_block_per_row_multipass_kernelILj256ELj32ELj16EdEEv20rocsparse_direction_iiiiii21rocsparse_index_base_PKT2_PKiS7_S2_PS3_PiS9_,@function
_ZN9rocsparseL40csr2gebsr_block_per_row_multipass_kernelILj256ELj32ELj16EdEEv20rocsparse_direction_iiiiii21rocsparse_index_base_PKT2_PKiS7_S2_PS3_PiS9_: ; @_ZN9rocsparseL40csr2gebsr_block_per_row_multipass_kernelILj256ELj32ELj16EdEEv20rocsparse_direction_iiiiii21rocsparse_index_base_PKT2_PKiS7_S2_PS3_PiS9_
; %bb.0:
	s_load_dwordx4 s[20:23], s[0:1], 0x10
	s_load_dwordx2 s[6:7], s[0:1], 0x0
	s_load_dwordx2 s[8:9], s[0:1], 0x28
	v_lshrrev_b32_e32 v1, 3, v0
	v_mov_b32_e32 v14, 0
	s_waitcnt lgkmcnt(0)
	s_mul_i32 s3, s2, s21
	v_add_u32_e32 v2, s3, v1
	v_cmp_gt_i32_e64 s[4:5], s7, v2
	v_cmp_gt_i32_e32 vcc, s21, v1
	s_and_b64 s[4:5], vcc, s[4:5]
	v_mov_b32_e32 v23, 0
	s_and_saveexec_b64 s[10:11], s[4:5]
	s_cbranch_execnz .LBB114_3
; %bb.1:
	s_or_b64 exec, exec, s[10:11]
	s_and_saveexec_b64 s[10:11], s[4:5]
	s_cbranch_execnz .LBB114_4
.LBB114_2:
	s_or_b64 exec, exec, s[10:11]
	s_cmp_lt_i32 s20, 1
	s_cbranch_scc0 .LBB114_5
	s_branch .LBB114_37
.LBB114_3:
	v_ashrrev_i32_e32 v3, 31, v2
	v_lshl_add_u64 v[4:5], v[2:3], 2, s[8:9]
	global_load_dword v3, v[4:5], off
	s_waitcnt vmcnt(0)
	v_subrev_u32_e32 v23, s23, v3
	s_or_b64 exec, exec, s[10:11]
	s_and_saveexec_b64 s[10:11], s[4:5]
	s_cbranch_execz .LBB114_2
.LBB114_4:
	v_ashrrev_i32_e32 v3, 31, v2
	v_lshl_add_u64 v[2:3], v[2:3], 2, s[8:9]
	global_load_dword v2, v[2:3], off offset:4
	s_waitcnt vmcnt(0)
	v_subrev_u32_e32 v14, s23, v2
	s_or_b64 exec, exec, s[10:11]
	s_cmp_lt_i32 s20, 1
	s_cbranch_scc1 .LBB114_37
.LBB114_5:
	s_load_dwordx4 s[8:11], s[0:1], 0x40
	s_load_dwordx2 s[24:25], s[0:1], 0x50
	s_load_dword s33, s[0:1], 0x38
	s_ashr_i32 s3, s2, 31
	s_lshl_b64 s[2:3], s[2:3], 2
	s_waitcnt lgkmcnt(0)
	s_add_u32 s2, s10, s2
	s_addc_u32 s3, s11, s3
	s_load_dword s4, s[2:3], 0x0
	s_load_dwordx2 s[26:27], s[0:1], 0x20
	s_load_dwordx2 s[28:29], s[0:1], 0x30
	v_mbcnt_lo_u32_b32 v2, -1, 0
	v_mbcnt_hi_u32_b32 v2, -1, v2
	s_waitcnt lgkmcnt(0)
	s_sub_i32 s30, s4, s33
	s_cmp_eq_u32 s6, 0
	s_cselect_b64 s[0:1], -1, 0
	s_ashr_i32 s42, s22, 31
	s_mul_hi_u32 s2, s22, s21
	s_mul_i32 s3, s42, s21
	v_mul_lo_u32 v6, v1, s22
	v_and_b32_e32 v15, 7, v0
	v_lshlrev_b32_e32 v16, 4, v1
	v_lshl_or_b32 v18, v2, 2, 28
	s_add_i32 s43, s2, s3
	v_lshlrev_b32_e32 v2, 3, v1
	v_mov_b32_e32 v3, 0
	v_ashrrev_i32_e32 v7, 31, v6
	s_movk_i32 s2, 0x80
	v_lshl_add_u64 v[4:5], s[8:9], 0, v[2:3]
	v_lshl_add_u64 v[6:7], v[6:7], 3, s[8:9]
	v_lshlrev_b32_e32 v19, 2, v0
	v_cmp_gt_u32_e64 s[2:3], s2, v0
	v_cmp_gt_u32_e64 s[4:5], 64, v0
	;; [unrolled: 1-line block ×7, first 2 shown]
	v_cmp_eq_u32_e64 s[16:17], 0, v0
	v_or_b32_e32 v0, v16, v15
	s_abs_i32 s45, s22
	v_lshlrev_b32_e32 v20, 3, v0
	v_cvt_f32_u32_e32 v0, s45
	v_cmp_gt_u32_e64 s[18:19], s22, v15
	v_or_b32_e32 v1, 8, v15
	s_and_b64 s[34:35], vcc, s[18:19]
	v_rcp_iflag_f32_e32 v0, v0
	v_cmp_gt_u32_e64 s[18:19], s22, v1
	s_and_b64 s[36:37], vcc, s[18:19]
	s_sub_i32 s18, 0, s45
	v_mul_f32_e32 v0, 0x4f7ffffe, v0
	v_cvt_u32_f32_e32 v8, v0
	s_mov_b32 s38, 0
	v_lshlrev_b32_e32 v2, 3, v15
	v_lshl_add_u64 v[6:7], v[6:7], 0, v[2:3]
	v_mul_lo_u32 v9, s18, v8
	v_mul_lo_u32 v2, v15, s21
	v_mul_hi_u32 v9, v8, v9
	s_mov_b32 s39, s38
	v_mov_b32_e32 v17, 0
	s_mul_i32 s44, s22, s21
	v_lshl_add_u32 v0, s21, 3, v2
	v_mov_b32_e32 v1, v3
	v_add_u32_e32 v21, v8, v9
	v_mov_b64_e32 v[8:9], s[38:39]
	v_mov_b32_e32 v22, 1
	v_mov_b32_e32 v12, 0
	s_branch .LBB114_7
.LBB114_6:                              ;   in Loop: Header=BB114_7 Depth=1
	s_or_b64 exec, exec, s[18:19]
	s_waitcnt lgkmcnt(0)
	s_barrier
	ds_read_b32 v12, v3
	s_add_i32 s30, s21, s30
	s_waitcnt lgkmcnt(0)
	s_barrier
	v_cmp_gt_i32_e32 vcc, s20, v12
	s_cbranch_vccz .LBB114_37
.LBB114_7:                              ; =>This Loop Header: Depth=1
                                        ;     Child Loop BB114_10 Depth 2
	v_add_u32_e32 v10, v23, v15
	v_cmp_lt_i32_e32 vcc, v10, v14
	v_mov_b32_e32 v24, s20
	v_mov_b32_e32 v23, v14
	ds_write_b8 v3, v17 offset:4096
	ds_write2_b64 v20, v[8:9], v[8:9] offset1:8
	s_waitcnt lgkmcnt(0)
	s_barrier
	s_and_saveexec_b64 s[38:39], vcc
	s_cbranch_execz .LBB114_15
; %bb.8:                                ;   in Loop: Header=BB114_7 Depth=1
	v_mul_lo_u32 v13, v12, s22
	s_mov_b64 s[40:41], 0
	v_mov_b32_e32 v24, s20
	v_mov_b32_e32 v23, v14
	s_branch .LBB114_10
.LBB114_9:                              ;   in Loop: Header=BB114_10 Depth=2
	s_or_b64 exec, exec, s[18:19]
	v_add_u32_e32 v10, 8, v10
	v_cmp_ge_i32_e64 s[18:19], v10, v14
	s_xor_b64 s[46:47], vcc, -1
	s_or_b64 s[18:19], s[46:47], s[18:19]
	s_and_b64 s[18:19], exec, s[18:19]
	s_or_b64 s[40:41], s[18:19], s[40:41]
	s_andn2_b64 exec, exec, s[40:41]
	s_cbranch_execz .LBB114_14
.LBB114_10:                             ;   Parent Loop BB114_7 Depth=1
                                        ; =>  This Inner Loop Header: Depth=2
	v_ashrrev_i32_e32 v11, 31, v10
	v_lshl_add_u64 v[26:27], v[10:11], 2, s[28:29]
	global_load_dword v25, v[26:27], off
	s_waitcnt vmcnt(0)
	v_subrev_u32_e32 v25, s23, v25
	v_sub_u32_e32 v27, 0, v25
	v_max_i32_e32 v27, v25, v27
	v_mul_hi_u32 v28, v27, v21
	v_mul_lo_u32 v29, v28, s45
	v_sub_u32_e32 v27, v27, v29
	v_add_u32_e32 v30, 1, v28
	v_cmp_le_u32_e32 vcc, s45, v27
	v_subrev_u32_e32 v29, s45, v27
	v_ashrrev_i32_e32 v26, 31, v25
	v_cndmask_b32_e32 v28, v28, v30, vcc
	v_cndmask_b32_e32 v27, v27, v29, vcc
	v_add_u32_e32 v29, 1, v28
	v_cmp_le_u32_e32 vcc, s45, v27
	v_xor_b32_e32 v26, s42, v26
	s_nop 0
	v_cndmask_b32_e32 v27, v28, v29, vcc
	v_xor_b32_e32 v27, v27, v26
	v_sub_u32_e32 v27, v27, v26
	v_cmp_eq_u32_e32 vcc, v27, v12
	v_cmp_ne_u32_e64 s[18:19], v27, v12
	v_mov_b32_e32 v26, v23
	s_and_saveexec_b64 s[46:47], s[18:19]
	s_xor_b64 s[18:19], exec, s[46:47]
; %bb.11:                               ;   in Loop: Header=BB114_10 Depth=2
	v_min_i32_e32 v24, v27, v24
                                        ; implicit-def: $vgpr25
                                        ; implicit-def: $vgpr26
; %bb.12:                               ;   in Loop: Header=BB114_10 Depth=2
	s_or_saveexec_b64 s[18:19], s[18:19]
	v_mov_b32_e32 v23, v10
	s_xor_b64 exec, exec, s[18:19]
	s_cbranch_execz .LBB114_9
; %bb.13:                               ;   in Loop: Header=BB114_10 Depth=2
	v_lshl_add_u64 v[28:29], v[10:11], 3, s[26:27]
	global_load_dwordx2 v[28:29], v[28:29], off
	v_sub_u32_e32 v11, v25, v13
	v_add_lshl_u32 v11, v11, v16, 3
	v_mov_b32_e32 v23, v26
	ds_write_b8 v3, v22 offset:4096
	s_waitcnt vmcnt(0)
	ds_write_b64 v11, v[28:29]
	s_branch .LBB114_9
.LBB114_14:                             ;   in Loop: Header=BB114_7 Depth=1
	s_or_b64 exec, exec, s[40:41]
.LBB114_15:                             ;   in Loop: Header=BB114_7 Depth=1
	s_or_b64 exec, exec, s[38:39]
	v_mov_b32_dpp v10, v23 row_shr:1 row_mask:0xf bank_mask:0xf
	v_min_i32_e32 v10, v10, v23
	s_waitcnt lgkmcnt(0)
	s_barrier
	v_mov_b32_dpp v11, v10 row_shr:2 row_mask:0xf bank_mask:0xf
	v_min_i32_e32 v10, v11, v10
	ds_read_u8 v11, v3 offset:4096
	s_nop 0
	v_mov_b32_dpp v13, v10 row_shr:4 row_mask:0xf bank_mask:0xe
	v_min_i32_e32 v10, v13, v10
	ds_bpermute_b32 v23, v18, v10
	s_mov_b32 s21, 0
	s_waitcnt lgkmcnt(1)
	v_cmp_eq_u32_e32 vcc, 0, v11
	s_cbranch_vccnz .LBB114_21
; %bb.16:                               ;   in Loop: Header=BB114_7 Depth=1
	s_ashr_i32 s31, s30, 31
	s_lshl_b64 s[18:19], s[30:31], 2
	s_add_u32 s18, s24, s18
	v_add_u32_e32 v10, s33, v12
	s_addc_u32 s19, s25, s19
	global_store_dword v3, v10, s[18:19]
	s_mul_hi_u32 s18, s44, s30
	s_mul_i32 s19, s44, s31
	s_add_i32 s18, s18, s19
	s_mul_i32 s19, s43, s30
	s_add_i32 s19, s18, s19
	s_mul_i32 s18, s44, s30
	s_lshl_b64 s[18:19], s[18:19], 3
	v_lshl_add_u64 v[10:11], v[4:5], 0, s[18:19]
	v_lshl_add_u64 v[12:13], v[6:7], 0, s[18:19]
	s_and_saveexec_b64 s[18:19], s[34:35]
	s_cbranch_execz .LBB114_18
; %bb.17:                               ;   in Loop: Header=BB114_7 Depth=1
	ds_read_b64 v[26:27], v20
	v_lshl_add_u64 v[28:29], v[2:3], 3, v[10:11]
	v_cndmask_b32_e64 v29, v29, v13, s[0:1]
	v_cndmask_b32_e64 v28, v28, v12, s[0:1]
	s_waitcnt lgkmcnt(0)
	global_store_dwordx2 v[28:29], v[26:27], off
.LBB114_18:                             ;   in Loop: Header=BB114_7 Depth=1
	s_or_b64 exec, exec, s[18:19]
	s_and_saveexec_b64 s[18:19], s[36:37]
	s_cbranch_execz .LBB114_20
; %bb.19:                               ;   in Loop: Header=BB114_7 Depth=1
	ds_read_b64 v[26:27], v20 offset:64
	v_lshl_add_u64 v[12:13], v[12:13], 0, 64
	v_lshl_add_u64 v[10:11], v[0:1], 3, v[10:11]
	v_cndmask_b32_e64 v11, v11, v13, s[0:1]
	v_cndmask_b32_e64 v10, v10, v12, s[0:1]
	s_waitcnt lgkmcnt(0)
	global_store_dwordx2 v[10:11], v[26:27], off
.LBB114_20:                             ;   in Loop: Header=BB114_7 Depth=1
	s_or_b64 exec, exec, s[18:19]
	s_mov_b32 s21, 1
.LBB114_21:                             ;   in Loop: Header=BB114_7 Depth=1
	s_waitcnt lgkmcnt(0)
	s_barrier
	ds_write_b32 v19, v24
	s_waitcnt lgkmcnt(0)
	s_barrier
	s_and_saveexec_b64 s[18:19], s[2:3]
	s_cbranch_execz .LBB114_23
; %bb.22:                               ;   in Loop: Header=BB114_7 Depth=1
	ds_read2st64_b32 v[10:11], v19 offset1:2
	s_waitcnt lgkmcnt(0)
	v_min_i32_e32 v10, v11, v10
	ds_write_b32 v19, v10
.LBB114_23:                             ;   in Loop: Header=BB114_7 Depth=1
	s_or_b64 exec, exec, s[18:19]
	s_waitcnt lgkmcnt(0)
	s_barrier
	s_and_saveexec_b64 s[18:19], s[4:5]
	s_cbranch_execz .LBB114_25
; %bb.24:                               ;   in Loop: Header=BB114_7 Depth=1
	ds_read2st64_b32 v[10:11], v19 offset1:1
	s_waitcnt lgkmcnt(0)
	v_min_i32_e32 v10, v11, v10
	ds_write_b32 v19, v10
.LBB114_25:                             ;   in Loop: Header=BB114_7 Depth=1
	s_or_b64 exec, exec, s[18:19]
	s_waitcnt lgkmcnt(0)
	s_barrier
	s_and_saveexec_b64 s[18:19], s[6:7]
	s_cbranch_execz .LBB114_27
; %bb.26:                               ;   in Loop: Header=BB114_7 Depth=1
	ds_read2_b32 v[10:11], v19 offset1:32
	s_waitcnt lgkmcnt(0)
	v_min_i32_e32 v10, v11, v10
	ds_write_b32 v19, v10
.LBB114_27:                             ;   in Loop: Header=BB114_7 Depth=1
	s_or_b64 exec, exec, s[18:19]
	s_waitcnt lgkmcnt(0)
	s_barrier
	s_and_saveexec_b64 s[18:19], s[8:9]
	s_cbranch_execz .LBB114_29
; %bb.28:                               ;   in Loop: Header=BB114_7 Depth=1
	ds_read2_b32 v[10:11], v19 offset1:16
	s_waitcnt lgkmcnt(0)
	v_min_i32_e32 v10, v11, v10
	ds_write_b32 v19, v10
.LBB114_29:                             ;   in Loop: Header=BB114_7 Depth=1
	;; [unrolled: 11-line block ×5, first 2 shown]
	s_or_b64 exec, exec, s[18:19]
	s_waitcnt lgkmcnt(0)
	s_barrier
	s_and_saveexec_b64 s[18:19], s[16:17]
	s_cbranch_execz .LBB114_6
; %bb.36:                               ;   in Loop: Header=BB114_7 Depth=1
	ds_read_b64 v[10:11], v3
	s_waitcnt lgkmcnt(0)
	v_min_i32_e32 v10, v11, v10
	ds_write_b32 v3, v10
	s_branch .LBB114_6
.LBB114_37:
	s_endpgm
	.section	.rodata,"a",@progbits
	.p2align	6, 0x0
	.amdhsa_kernel _ZN9rocsparseL40csr2gebsr_block_per_row_multipass_kernelILj256ELj32ELj16EdEEv20rocsparse_direction_iiiiii21rocsparse_index_base_PKT2_PKiS7_S2_PS3_PiS9_
		.amdhsa_group_segment_fixed_size 4104
		.amdhsa_private_segment_fixed_size 0
		.amdhsa_kernarg_size 88
		.amdhsa_user_sgpr_count 2
		.amdhsa_user_sgpr_dispatch_ptr 0
		.amdhsa_user_sgpr_queue_ptr 0
		.amdhsa_user_sgpr_kernarg_segment_ptr 1
		.amdhsa_user_sgpr_dispatch_id 0
		.amdhsa_user_sgpr_kernarg_preload_length 0
		.amdhsa_user_sgpr_kernarg_preload_offset 0
		.amdhsa_user_sgpr_private_segment_size 0
		.amdhsa_uses_dynamic_stack 0
		.amdhsa_enable_private_segment 0
		.amdhsa_system_sgpr_workgroup_id_x 1
		.amdhsa_system_sgpr_workgroup_id_y 0
		.amdhsa_system_sgpr_workgroup_id_z 0
		.amdhsa_system_sgpr_workgroup_info 0
		.amdhsa_system_vgpr_workitem_id 0
		.amdhsa_next_free_vgpr 31
		.amdhsa_next_free_sgpr 48
		.amdhsa_accum_offset 32
		.amdhsa_reserve_vcc 1
		.amdhsa_float_round_mode_32 0
		.amdhsa_float_round_mode_16_64 0
		.amdhsa_float_denorm_mode_32 3
		.amdhsa_float_denorm_mode_16_64 3
		.amdhsa_dx10_clamp 1
		.amdhsa_ieee_mode 1
		.amdhsa_fp16_overflow 0
		.amdhsa_tg_split 0
		.amdhsa_exception_fp_ieee_invalid_op 0
		.amdhsa_exception_fp_denorm_src 0
		.amdhsa_exception_fp_ieee_div_zero 0
		.amdhsa_exception_fp_ieee_overflow 0
		.amdhsa_exception_fp_ieee_underflow 0
		.amdhsa_exception_fp_ieee_inexact 0
		.amdhsa_exception_int_div_zero 0
	.end_amdhsa_kernel
	.section	.text._ZN9rocsparseL40csr2gebsr_block_per_row_multipass_kernelILj256ELj32ELj16EdEEv20rocsparse_direction_iiiiii21rocsparse_index_base_PKT2_PKiS7_S2_PS3_PiS9_,"axG",@progbits,_ZN9rocsparseL40csr2gebsr_block_per_row_multipass_kernelILj256ELj32ELj16EdEEv20rocsparse_direction_iiiiii21rocsparse_index_base_PKT2_PKiS7_S2_PS3_PiS9_,comdat
.Lfunc_end114:
	.size	_ZN9rocsparseL40csr2gebsr_block_per_row_multipass_kernelILj256ELj32ELj16EdEEv20rocsparse_direction_iiiiii21rocsparse_index_base_PKT2_PKiS7_S2_PS3_PiS9_, .Lfunc_end114-_ZN9rocsparseL40csr2gebsr_block_per_row_multipass_kernelILj256ELj32ELj16EdEEv20rocsparse_direction_iiiiii21rocsparse_index_base_PKT2_PKiS7_S2_PS3_PiS9_
                                        ; -- End function
	.section	.AMDGPU.csdata,"",@progbits
; Kernel info:
; codeLenInByte = 1584
; NumSgprs: 54
; NumVgprs: 31
; NumAgprs: 0
; TotalNumVgprs: 31
; ScratchSize: 0
; MemoryBound: 0
; FloatMode: 240
; IeeeMode: 1
; LDSByteSize: 4104 bytes/workgroup (compile time only)
; SGPRBlocks: 6
; VGPRBlocks: 3
; NumSGPRsForWavesPerEU: 54
; NumVGPRsForWavesPerEU: 31
; AccumOffset: 32
; Occupancy: 8
; WaveLimiterHint : 0
; COMPUTE_PGM_RSRC2:SCRATCH_EN: 0
; COMPUTE_PGM_RSRC2:USER_SGPR: 2
; COMPUTE_PGM_RSRC2:TRAP_HANDLER: 0
; COMPUTE_PGM_RSRC2:TGID_X_EN: 1
; COMPUTE_PGM_RSRC2:TGID_Y_EN: 0
; COMPUTE_PGM_RSRC2:TGID_Z_EN: 0
; COMPUTE_PGM_RSRC2:TIDIG_COMP_CNT: 0
; COMPUTE_PGM_RSRC3_GFX90A:ACCUM_OFFSET: 7
; COMPUTE_PGM_RSRC3_GFX90A:TG_SPLIT: 0
	.section	.text._ZN9rocsparseL40csr2gebsr_block_per_row_multipass_kernelILj256ELj32ELj32EdEEv20rocsparse_direction_iiiiii21rocsparse_index_base_PKT2_PKiS7_S2_PS3_PiS9_,"axG",@progbits,_ZN9rocsparseL40csr2gebsr_block_per_row_multipass_kernelILj256ELj32ELj32EdEEv20rocsparse_direction_iiiiii21rocsparse_index_base_PKT2_PKiS7_S2_PS3_PiS9_,comdat
	.globl	_ZN9rocsparseL40csr2gebsr_block_per_row_multipass_kernelILj256ELj32ELj32EdEEv20rocsparse_direction_iiiiii21rocsparse_index_base_PKT2_PKiS7_S2_PS3_PiS9_ ; -- Begin function _ZN9rocsparseL40csr2gebsr_block_per_row_multipass_kernelILj256ELj32ELj32EdEEv20rocsparse_direction_iiiiii21rocsparse_index_base_PKT2_PKiS7_S2_PS3_PiS9_
	.p2align	8
	.type	_ZN9rocsparseL40csr2gebsr_block_per_row_multipass_kernelILj256ELj32ELj32EdEEv20rocsparse_direction_iiiiii21rocsparse_index_base_PKT2_PKiS7_S2_PS3_PiS9_,@function
_ZN9rocsparseL40csr2gebsr_block_per_row_multipass_kernelILj256ELj32ELj32EdEEv20rocsparse_direction_iiiiii21rocsparse_index_base_PKT2_PKiS7_S2_PS3_PiS9_: ; @_ZN9rocsparseL40csr2gebsr_block_per_row_multipass_kernelILj256ELj32ELj32EdEEv20rocsparse_direction_iiiiii21rocsparse_index_base_PKT2_PKiS7_S2_PS3_PiS9_
; %bb.0:
	s_load_dwordx4 s[20:23], s[0:1], 0x10
	s_load_dwordx2 s[6:7], s[0:1], 0x0
	s_load_dwordx2 s[8:9], s[0:1], 0x28
	v_lshrrev_b32_e32 v1, 3, v0
	v_mov_b32_e32 v18, 0
	s_waitcnt lgkmcnt(0)
	s_mul_i32 s3, s2, s21
	v_add_u32_e32 v2, s3, v1
	v_cmp_gt_i32_e64 s[4:5], s7, v2
	v_cmp_gt_i32_e32 vcc, s21, v1
	s_and_b64 s[4:5], vcc, s[4:5]
	v_mov_b32_e32 v27, 0
	s_and_saveexec_b64 s[10:11], s[4:5]
	s_cbranch_execnz .LBB115_3
; %bb.1:
	s_or_b64 exec, exec, s[10:11]
	s_and_saveexec_b64 s[10:11], s[4:5]
	s_cbranch_execnz .LBB115_4
.LBB115_2:
	s_or_b64 exec, exec, s[10:11]
	s_cmp_lt_i32 s20, 1
	s_cbranch_scc0 .LBB115_5
	s_branch .LBB115_41
.LBB115_3:
	v_ashrrev_i32_e32 v3, 31, v2
	v_lshl_add_u64 v[4:5], v[2:3], 2, s[8:9]
	global_load_dword v3, v[4:5], off
	s_waitcnt vmcnt(0)
	v_subrev_u32_e32 v27, s23, v3
	s_or_b64 exec, exec, s[10:11]
	s_and_saveexec_b64 s[10:11], s[4:5]
	s_cbranch_execz .LBB115_2
.LBB115_4:
	v_ashrrev_i32_e32 v3, 31, v2
	v_lshl_add_u64 v[2:3], v[2:3], 2, s[8:9]
	global_load_dword v2, v[2:3], off offset:4
	s_waitcnt vmcnt(0)
	v_subrev_u32_e32 v18, s23, v2
	s_or_b64 exec, exec, s[10:11]
	s_cmp_lt_i32 s20, 1
	s_cbranch_scc1 .LBB115_41
.LBB115_5:
	s_load_dwordx4 s[8:11], s[0:1], 0x40
	s_load_dwordx2 s[24:25], s[0:1], 0x50
	s_load_dword s33, s[0:1], 0x38
	s_ashr_i32 s3, s2, 31
	s_lshl_b64 s[2:3], s[2:3], 2
	s_waitcnt lgkmcnt(0)
	s_add_u32 s2, s10, s2
	s_addc_u32 s3, s11, s3
	s_load_dword s4, s[2:3], 0x0
	s_load_dwordx2 s[26:27], s[0:1], 0x20
	s_load_dwordx2 s[28:29], s[0:1], 0x30
	v_mbcnt_lo_u32_b32 v2, -1, 0
	v_mbcnt_hi_u32_b32 v2, -1, v2
	s_waitcnt lgkmcnt(0)
	s_sub_i32 s30, s4, s33
	v_mul_lo_u32 v6, v1, s22
	v_and_b32_e32 v19, 7, v0
	v_lshl_or_b32 v22, v2, 2, 28
	s_cmp_eq_u32 s6, 0
	v_lshlrev_b32_e32 v2, 3, v1
	v_mov_b32_e32 v3, 0
	v_ashrrev_i32_e32 v7, 31, v6
	s_cselect_b64 s[0:1], -1, 0
	s_ashr_i32 s50, s22, 31
	v_lshl_add_u64 v[4:5], s[8:9], 0, v[2:3]
	v_lshl_add_u64 v[6:7], v[6:7], 3, s[8:9]
	v_lshlrev_b32_e32 v2, 3, v19
	s_mul_hi_u32 s2, s22, s21
	s_mul_i32 s3, s50, s21
	s_mul_i32 s52, s22, s21
	v_lshl_add_u64 v[6:7], v[6:7], 0, v[2:3]
	v_mul_lo_u32 v2, v19, s21
	s_lshl_b32 s31, s21, 3
	s_abs_i32 s21, s22
	v_cvt_f32_u32_e32 v10, s21
	v_lshlrev_b32_e32 v20, 5, v1
	s_add_i32 s51, s2, s3
	s_movk_i32 s2, 0x80
	v_rcp_iflag_f32_e32 v10, v10
	v_lshlrev_b32_e32 v23, 2, v0
	v_cmp_gt_u32_e64 s[2:3], s2, v0
	v_cmp_gt_u32_e64 s[4:5], 64, v0
	;; [unrolled: 1-line block ×7, first 2 shown]
	v_cmp_eq_u32_e64 s[16:17], 0, v0
	v_or_b32_e32 v0, v20, v19
	v_lshlrev_b32_e32 v24, 3, v0
	v_cmp_gt_u32_e64 s[18:19], s22, v19
	v_or_b32_e32 v0, 8, v19
	v_mul_f32_e32 v10, 0x4f7ffffe, v10
	s_and_b64 s[34:35], vcc, s[18:19]
	v_cmp_gt_u32_e64 s[18:19], s22, v0
	v_or_b32_e32 v8, 16, v19
	v_cvt_u32_f32_e32 v12, v10
	s_and_b64 s[36:37], vcc, s[18:19]
	v_cmp_gt_u32_e64 s[18:19], s22, v8
	v_or_b32_e32 v11, 24, v19
	s_and_b64 s[38:39], vcc, s[18:19]
	v_cmp_gt_u32_e64 s[18:19], s22, v11
	s_and_b64 s[40:41], vcc, s[18:19]
	s_sub_i32 s18, 0, s21
	s_mov_b32 s42, 0
	v_add_u32_e32 v0, s31, v2
	v_mul_lo_u32 v13, s18, v12
	v_add_u32_e32 v8, s31, v0
	v_mul_hi_u32 v13, v12, v13
	s_mov_b32 s43, s42
	v_mov_b32_e32 v21, 0
	v_mov_b32_e32 v1, v3
	;; [unrolled: 1-line block ×3, first 2 shown]
	v_add_u32_e32 v10, s31, v8
	v_mov_b32_e32 v11, v3
	v_add_u32_e32 v25, v12, v13
	v_mov_b64_e32 v[12:13], s[42:43]
	s_mov_b64 s[42:43], 0x80
	s_mov_b64 s[44:45], 0xc0
	v_mov_b32_e32 v26, 1
	v_mov_b32_e32 v16, 0
	s_branch .LBB115_7
.LBB115_6:                              ;   in Loop: Header=BB115_7 Depth=1
	s_or_b64 exec, exec, s[18:19]
	s_waitcnt lgkmcnt(0)
	s_barrier
	ds_read_b32 v16, v3
	s_add_i32 s30, s31, s30
	s_waitcnt lgkmcnt(0)
	s_barrier
	v_cmp_gt_i32_e32 vcc, s20, v16
	s_cbranch_vccz .LBB115_41
.LBB115_7:                              ; =>This Loop Header: Depth=1
                                        ;     Child Loop BB115_10 Depth 2
	v_add_u32_e32 v14, v27, v19
	v_cmp_lt_i32_e32 vcc, v14, v18
	v_mov_b32_e32 v28, s20
	v_mov_b32_e32 v27, v18
	ds_write_b8 v3, v21 offset:8192
	ds_write2_b64 v24, v[12:13], v[12:13] offset1:8
	ds_write2_b64 v24, v[12:13], v[12:13] offset0:16 offset1:24
	s_waitcnt lgkmcnt(0)
	s_barrier
	s_and_saveexec_b64 s[46:47], vcc
	s_cbranch_execz .LBB115_15
; %bb.8:                                ;   in Loop: Header=BB115_7 Depth=1
	v_mul_lo_u32 v17, v16, s22
	s_mov_b64 s[48:49], 0
	v_mov_b32_e32 v28, s20
	v_mov_b32_e32 v27, v18
	s_branch .LBB115_10
.LBB115_9:                              ;   in Loop: Header=BB115_10 Depth=2
	s_or_b64 exec, exec, s[18:19]
	v_add_u32_e32 v14, 8, v14
	v_cmp_ge_i32_e64 s[18:19], v14, v18
	s_xor_b64 s[54:55], vcc, -1
	s_or_b64 s[18:19], s[54:55], s[18:19]
	s_and_b64 s[18:19], exec, s[18:19]
	s_or_b64 s[48:49], s[18:19], s[48:49]
	s_andn2_b64 exec, exec, s[48:49]
	s_cbranch_execz .LBB115_14
.LBB115_10:                             ;   Parent Loop BB115_7 Depth=1
                                        ; =>  This Inner Loop Header: Depth=2
	v_ashrrev_i32_e32 v15, 31, v14
	v_lshl_add_u64 v[30:31], v[14:15], 2, s[28:29]
	global_load_dword v29, v[30:31], off
	s_waitcnt vmcnt(0)
	v_subrev_u32_e32 v29, s23, v29
	v_sub_u32_e32 v31, 0, v29
	v_max_i32_e32 v31, v29, v31
	v_mul_hi_u32 v32, v31, v25
	v_mul_lo_u32 v33, v32, s21
	v_sub_u32_e32 v31, v31, v33
	v_add_u32_e32 v34, 1, v32
	v_cmp_le_u32_e32 vcc, s21, v31
	v_subrev_u32_e32 v33, s21, v31
	v_ashrrev_i32_e32 v30, 31, v29
	v_cndmask_b32_e32 v32, v32, v34, vcc
	v_cndmask_b32_e32 v31, v31, v33, vcc
	v_add_u32_e32 v33, 1, v32
	v_cmp_le_u32_e32 vcc, s21, v31
	v_xor_b32_e32 v30, s50, v30
	s_nop 0
	v_cndmask_b32_e32 v31, v32, v33, vcc
	v_xor_b32_e32 v31, v31, v30
	v_sub_u32_e32 v31, v31, v30
	v_cmp_eq_u32_e32 vcc, v31, v16
	v_cmp_ne_u32_e64 s[18:19], v31, v16
	v_mov_b32_e32 v30, v27
	s_and_saveexec_b64 s[54:55], s[18:19]
	s_xor_b64 s[18:19], exec, s[54:55]
; %bb.11:                               ;   in Loop: Header=BB115_10 Depth=2
	v_min_i32_e32 v28, v31, v28
                                        ; implicit-def: $vgpr29
                                        ; implicit-def: $vgpr30
; %bb.12:                               ;   in Loop: Header=BB115_10 Depth=2
	s_or_saveexec_b64 s[18:19], s[18:19]
	v_mov_b32_e32 v27, v14
	s_xor_b64 exec, exec, s[18:19]
	s_cbranch_execz .LBB115_9
; %bb.13:                               ;   in Loop: Header=BB115_10 Depth=2
	v_lshl_add_u64 v[32:33], v[14:15], 3, s[26:27]
	global_load_dwordx2 v[32:33], v[32:33], off
	v_sub_u32_e32 v15, v29, v17
	v_add_lshl_u32 v15, v15, v20, 3
	v_mov_b32_e32 v27, v30
	ds_write_b8 v3, v26 offset:8192
	s_waitcnt vmcnt(0)
	ds_write_b64 v15, v[32:33]
	s_branch .LBB115_9
.LBB115_14:                             ;   in Loop: Header=BB115_7 Depth=1
	s_or_b64 exec, exec, s[48:49]
.LBB115_15:                             ;   in Loop: Header=BB115_7 Depth=1
	s_or_b64 exec, exec, s[46:47]
	v_mov_b32_dpp v14, v27 row_shr:1 row_mask:0xf bank_mask:0xf
	v_min_i32_e32 v14, v14, v27
	s_waitcnt lgkmcnt(0)
	s_barrier
	v_mov_b32_dpp v15, v14 row_shr:2 row_mask:0xf bank_mask:0xf
	v_min_i32_e32 v14, v15, v14
	ds_read_u8 v15, v3 offset:8192
	s_nop 0
	v_mov_b32_dpp v17, v14 row_shr:4 row_mask:0xf bank_mask:0xe
	v_min_i32_e32 v14, v17, v14
	ds_bpermute_b32 v27, v22, v14
	s_mov_b32 s31, 0
	s_waitcnt lgkmcnt(1)
	v_cmp_eq_u32_e32 vcc, 0, v15
	s_cbranch_vccnz .LBB115_22
; %bb.16:                               ;   in Loop: Header=BB115_7 Depth=1
	s_ashr_i32 s31, s30, 31
	s_lshl_b64 s[18:19], s[30:31], 2
	s_add_u32 s18, s24, s18
	v_add_u32_e32 v14, s33, v16
	s_addc_u32 s19, s25, s19
	global_store_dword v3, v14, s[18:19]
	s_mul_hi_u32 s18, s52, s30
	s_mul_i32 s19, s52, s31
	s_add_i32 s18, s18, s19
	s_mul_i32 s19, s51, s30
	s_add_i32 s19, s18, s19
	s_mul_i32 s18, s52, s30
	s_lshl_b64 s[18:19], s[18:19], 3
	v_lshl_add_u64 v[14:15], v[4:5], 0, s[18:19]
	v_lshl_add_u64 v[16:17], v[6:7], 0, s[18:19]
	s_and_saveexec_b64 s[18:19], s[34:35]
	s_cbranch_execnz .LBB115_38
; %bb.17:                               ;   in Loop: Header=BB115_7 Depth=1
	s_or_b64 exec, exec, s[18:19]
	s_and_saveexec_b64 s[18:19], s[36:37]
	s_cbranch_execnz .LBB115_39
.LBB115_18:                             ;   in Loop: Header=BB115_7 Depth=1
	s_or_b64 exec, exec, s[18:19]
	s_and_saveexec_b64 s[18:19], s[38:39]
	s_cbranch_execnz .LBB115_40
.LBB115_19:                             ;   in Loop: Header=BB115_7 Depth=1
	s_or_b64 exec, exec, s[18:19]
	s_and_saveexec_b64 s[18:19], s[40:41]
	s_cbranch_execz .LBB115_21
.LBB115_20:                             ;   in Loop: Header=BB115_7 Depth=1
	ds_read_b64 v[30:31], v24 offset:192
	v_lshl_add_u64 v[16:17], v[16:17], 0, s[44:45]
	v_lshl_add_u64 v[14:15], v[10:11], 3, v[14:15]
	v_cndmask_b32_e64 v15, v15, v17, s[0:1]
	v_cndmask_b32_e64 v14, v14, v16, s[0:1]
	s_waitcnt lgkmcnt(0)
	global_store_dwordx2 v[14:15], v[30:31], off
.LBB115_21:                             ;   in Loop: Header=BB115_7 Depth=1
	s_or_b64 exec, exec, s[18:19]
	s_mov_b32 s31, 1
.LBB115_22:                             ;   in Loop: Header=BB115_7 Depth=1
	s_waitcnt lgkmcnt(0)
	s_barrier
	ds_write_b32 v23, v28
	s_waitcnt lgkmcnt(0)
	s_barrier
	s_and_saveexec_b64 s[18:19], s[2:3]
	s_cbranch_execz .LBB115_24
; %bb.23:                               ;   in Loop: Header=BB115_7 Depth=1
	ds_read2st64_b32 v[14:15], v23 offset1:2
	s_waitcnt lgkmcnt(0)
	v_min_i32_e32 v14, v15, v14
	ds_write_b32 v23, v14
.LBB115_24:                             ;   in Loop: Header=BB115_7 Depth=1
	s_or_b64 exec, exec, s[18:19]
	s_waitcnt lgkmcnt(0)
	s_barrier
	s_and_saveexec_b64 s[18:19], s[4:5]
	s_cbranch_execz .LBB115_26
; %bb.25:                               ;   in Loop: Header=BB115_7 Depth=1
	ds_read2st64_b32 v[14:15], v23 offset1:1
	s_waitcnt lgkmcnt(0)
	v_min_i32_e32 v14, v15, v14
	ds_write_b32 v23, v14
.LBB115_26:                             ;   in Loop: Header=BB115_7 Depth=1
	s_or_b64 exec, exec, s[18:19]
	s_waitcnt lgkmcnt(0)
	s_barrier
	s_and_saveexec_b64 s[18:19], s[6:7]
	s_cbranch_execz .LBB115_28
; %bb.27:                               ;   in Loop: Header=BB115_7 Depth=1
	ds_read2_b32 v[14:15], v23 offset1:32
	s_waitcnt lgkmcnt(0)
	v_min_i32_e32 v14, v15, v14
	ds_write_b32 v23, v14
.LBB115_28:                             ;   in Loop: Header=BB115_7 Depth=1
	s_or_b64 exec, exec, s[18:19]
	s_waitcnt lgkmcnt(0)
	s_barrier
	s_and_saveexec_b64 s[18:19], s[8:9]
	s_cbranch_execz .LBB115_30
; %bb.29:                               ;   in Loop: Header=BB115_7 Depth=1
	ds_read2_b32 v[14:15], v23 offset1:16
	s_waitcnt lgkmcnt(0)
	v_min_i32_e32 v14, v15, v14
	ds_write_b32 v23, v14
.LBB115_30:                             ;   in Loop: Header=BB115_7 Depth=1
	;; [unrolled: 11-line block ×5, first 2 shown]
	s_or_b64 exec, exec, s[18:19]
	s_waitcnt lgkmcnt(0)
	s_barrier
	s_and_saveexec_b64 s[18:19], s[16:17]
	s_cbranch_execz .LBB115_6
; %bb.37:                               ;   in Loop: Header=BB115_7 Depth=1
	ds_read_b64 v[14:15], v3
	s_waitcnt lgkmcnt(0)
	v_min_i32_e32 v14, v15, v14
	ds_write_b32 v3, v14
	s_branch .LBB115_6
.LBB115_38:                             ;   in Loop: Header=BB115_7 Depth=1
	ds_read_b64 v[30:31], v24
	v_lshl_add_u64 v[32:33], v[2:3], 3, v[14:15]
	v_cndmask_b32_e64 v33, v33, v17, s[0:1]
	v_cndmask_b32_e64 v32, v32, v16, s[0:1]
	s_waitcnt lgkmcnt(0)
	global_store_dwordx2 v[32:33], v[30:31], off
	s_or_b64 exec, exec, s[18:19]
	s_and_saveexec_b64 s[18:19], s[36:37]
	s_cbranch_execz .LBB115_18
.LBB115_39:                             ;   in Loop: Header=BB115_7 Depth=1
	ds_read_b64 v[30:31], v24 offset:64
	v_lshl_add_u64 v[32:33], v[16:17], 0, 64
	v_lshl_add_u64 v[34:35], v[0:1], 3, v[14:15]
	v_cndmask_b32_e64 v33, v35, v33, s[0:1]
	v_cndmask_b32_e64 v32, v34, v32, s[0:1]
	s_waitcnt lgkmcnt(0)
	global_store_dwordx2 v[32:33], v[30:31], off
	s_or_b64 exec, exec, s[18:19]
	s_and_saveexec_b64 s[18:19], s[38:39]
	s_cbranch_execz .LBB115_19
.LBB115_40:                             ;   in Loop: Header=BB115_7 Depth=1
	ds_read_b64 v[30:31], v24 offset:128
	v_lshl_add_u64 v[32:33], v[16:17], 0, s[42:43]
	v_lshl_add_u64 v[34:35], v[8:9], 3, v[14:15]
	v_cndmask_b32_e64 v33, v35, v33, s[0:1]
	v_cndmask_b32_e64 v32, v34, v32, s[0:1]
	s_waitcnt lgkmcnt(0)
	global_store_dwordx2 v[32:33], v[30:31], off
	s_or_b64 exec, exec, s[18:19]
	s_and_saveexec_b64 s[18:19], s[40:41]
	s_cbranch_execnz .LBB115_20
	s_branch .LBB115_21
.LBB115_41:
	s_endpgm
	.section	.rodata,"a",@progbits
	.p2align	6, 0x0
	.amdhsa_kernel _ZN9rocsparseL40csr2gebsr_block_per_row_multipass_kernelILj256ELj32ELj32EdEEv20rocsparse_direction_iiiiii21rocsparse_index_base_PKT2_PKiS7_S2_PS3_PiS9_
		.amdhsa_group_segment_fixed_size 8200
		.amdhsa_private_segment_fixed_size 0
		.amdhsa_kernarg_size 88
		.amdhsa_user_sgpr_count 2
		.amdhsa_user_sgpr_dispatch_ptr 0
		.amdhsa_user_sgpr_queue_ptr 0
		.amdhsa_user_sgpr_kernarg_segment_ptr 1
		.amdhsa_user_sgpr_dispatch_id 0
		.amdhsa_user_sgpr_kernarg_preload_length 0
		.amdhsa_user_sgpr_kernarg_preload_offset 0
		.amdhsa_user_sgpr_private_segment_size 0
		.amdhsa_uses_dynamic_stack 0
		.amdhsa_enable_private_segment 0
		.amdhsa_system_sgpr_workgroup_id_x 1
		.amdhsa_system_sgpr_workgroup_id_y 0
		.amdhsa_system_sgpr_workgroup_id_z 0
		.amdhsa_system_sgpr_workgroup_info 0
		.amdhsa_system_vgpr_workitem_id 0
		.amdhsa_next_free_vgpr 36
		.amdhsa_next_free_sgpr 56
		.amdhsa_accum_offset 36
		.amdhsa_reserve_vcc 1
		.amdhsa_float_round_mode_32 0
		.amdhsa_float_round_mode_16_64 0
		.amdhsa_float_denorm_mode_32 3
		.amdhsa_float_denorm_mode_16_64 3
		.amdhsa_dx10_clamp 1
		.amdhsa_ieee_mode 1
		.amdhsa_fp16_overflow 0
		.amdhsa_tg_split 0
		.amdhsa_exception_fp_ieee_invalid_op 0
		.amdhsa_exception_fp_denorm_src 0
		.amdhsa_exception_fp_ieee_div_zero 0
		.amdhsa_exception_fp_ieee_overflow 0
		.amdhsa_exception_fp_ieee_underflow 0
		.amdhsa_exception_fp_ieee_inexact 0
		.amdhsa_exception_int_div_zero 0
	.end_amdhsa_kernel
	.section	.text._ZN9rocsparseL40csr2gebsr_block_per_row_multipass_kernelILj256ELj32ELj32EdEEv20rocsparse_direction_iiiiii21rocsparse_index_base_PKT2_PKiS7_S2_PS3_PiS9_,"axG",@progbits,_ZN9rocsparseL40csr2gebsr_block_per_row_multipass_kernelILj256ELj32ELj32EdEEv20rocsparse_direction_iiiiii21rocsparse_index_base_PKT2_PKiS7_S2_PS3_PiS9_,comdat
.Lfunc_end115:
	.size	_ZN9rocsparseL40csr2gebsr_block_per_row_multipass_kernelILj256ELj32ELj32EdEEv20rocsparse_direction_iiiiii21rocsparse_index_base_PKT2_PKiS7_S2_PS3_PiS9_, .Lfunc_end115-_ZN9rocsparseL40csr2gebsr_block_per_row_multipass_kernelILj256ELj32ELj32EdEEv20rocsparse_direction_iiiiii21rocsparse_index_base_PKT2_PKiS7_S2_PS3_PiS9_
                                        ; -- End function
	.section	.AMDGPU.csdata,"",@progbits
; Kernel info:
; codeLenInByte = 1824
; NumSgprs: 62
; NumVgprs: 36
; NumAgprs: 0
; TotalNumVgprs: 36
; ScratchSize: 0
; MemoryBound: 0
; FloatMode: 240
; IeeeMode: 1
; LDSByteSize: 8200 bytes/workgroup (compile time only)
; SGPRBlocks: 7
; VGPRBlocks: 4
; NumSGPRsForWavesPerEU: 62
; NumVGPRsForWavesPerEU: 36
; AccumOffset: 36
; Occupancy: 7
; WaveLimiterHint : 0
; COMPUTE_PGM_RSRC2:SCRATCH_EN: 0
; COMPUTE_PGM_RSRC2:USER_SGPR: 2
; COMPUTE_PGM_RSRC2:TRAP_HANDLER: 0
; COMPUTE_PGM_RSRC2:TGID_X_EN: 1
; COMPUTE_PGM_RSRC2:TGID_Y_EN: 0
; COMPUTE_PGM_RSRC2:TGID_Z_EN: 0
; COMPUTE_PGM_RSRC2:TIDIG_COMP_CNT: 0
; COMPUTE_PGM_RSRC3_GFX90A:ACCUM_OFFSET: 8
; COMPUTE_PGM_RSRC3_GFX90A:TG_SPLIT: 0
	.section	.text._ZN9rocsparseL40csr2gebsr_block_per_row_multipass_kernelILj256ELj32ELj64EdEEv20rocsparse_direction_iiiiii21rocsparse_index_base_PKT2_PKiS7_S2_PS3_PiS9_,"axG",@progbits,_ZN9rocsparseL40csr2gebsr_block_per_row_multipass_kernelILj256ELj32ELj64EdEEv20rocsparse_direction_iiiiii21rocsparse_index_base_PKT2_PKiS7_S2_PS3_PiS9_,comdat
	.globl	_ZN9rocsparseL40csr2gebsr_block_per_row_multipass_kernelILj256ELj32ELj64EdEEv20rocsparse_direction_iiiiii21rocsparse_index_base_PKT2_PKiS7_S2_PS3_PiS9_ ; -- Begin function _ZN9rocsparseL40csr2gebsr_block_per_row_multipass_kernelILj256ELj32ELj64EdEEv20rocsparse_direction_iiiiii21rocsparse_index_base_PKT2_PKiS7_S2_PS3_PiS9_
	.p2align	8
	.type	_ZN9rocsparseL40csr2gebsr_block_per_row_multipass_kernelILj256ELj32ELj64EdEEv20rocsparse_direction_iiiiii21rocsparse_index_base_PKT2_PKiS7_S2_PS3_PiS9_,@function
_ZN9rocsparseL40csr2gebsr_block_per_row_multipass_kernelILj256ELj32ELj64EdEEv20rocsparse_direction_iiiiii21rocsparse_index_base_PKT2_PKiS7_S2_PS3_PiS9_: ; @_ZN9rocsparseL40csr2gebsr_block_per_row_multipass_kernelILj256ELj32ELj64EdEEv20rocsparse_direction_iiiiii21rocsparse_index_base_PKT2_PKiS7_S2_PS3_PiS9_
; %bb.0:
	s_load_dwordx4 s[20:23], s[0:1], 0x10
	s_load_dwordx2 s[6:7], s[0:1], 0x0
	s_load_dwordx2 s[8:9], s[0:1], 0x28
	v_lshrrev_b32_e32 v1, 3, v0
	v_mov_b32_e32 v26, 0
	s_waitcnt lgkmcnt(0)
	s_mul_i32 s3, s2, s21
	v_add_u32_e32 v2, s3, v1
	v_cmp_gt_i32_e64 s[4:5], s7, v2
	v_cmp_gt_i32_e32 vcc, s21, v1
	s_and_b64 s[4:5], vcc, s[4:5]
	v_mov_b32_e32 v33, 0
	s_and_saveexec_b64 s[10:11], s[4:5]
	s_cbranch_execnz .LBB116_3
; %bb.1:
	s_or_b64 exec, exec, s[10:11]
	s_and_saveexec_b64 s[10:11], s[4:5]
	s_cbranch_execnz .LBB116_4
.LBB116_2:
	s_or_b64 exec, exec, s[10:11]
	s_cmp_lt_i32 s20, 1
	s_cbranch_scc0 .LBB116_5
	s_branch .LBB116_49
.LBB116_3:
	v_ashrrev_i32_e32 v3, 31, v2
	v_lshl_add_u64 v[4:5], v[2:3], 2, s[8:9]
	global_load_dword v3, v[4:5], off
	s_waitcnt vmcnt(0)
	v_subrev_u32_e32 v33, s23, v3
	s_or_b64 exec, exec, s[10:11]
	s_and_saveexec_b64 s[10:11], s[4:5]
	s_cbranch_execz .LBB116_2
.LBB116_4:
	v_ashrrev_i32_e32 v3, 31, v2
	v_lshl_add_u64 v[2:3], v[2:3], 2, s[8:9]
	global_load_dword v2, v[2:3], off offset:4
	s_waitcnt vmcnt(0)
	v_subrev_u32_e32 v26, s23, v2
	s_or_b64 exec, exec, s[10:11]
	s_cmp_lt_i32 s20, 1
	s_cbranch_scc1 .LBB116_49
.LBB116_5:
	s_load_dwordx4 s[8:11], s[0:1], 0x40
	s_load_dwordx2 s[24:25], s[0:1], 0x50
	s_load_dword s33, s[0:1], 0x38
	s_ashr_i32 s3, s2, 31
	s_lshl_b64 s[2:3], s[2:3], 2
	s_waitcnt lgkmcnt(0)
	s_add_u32 s2, s10, s2
	s_addc_u32 s3, s11, s3
	s_load_dword s4, s[2:3], 0x0
	s_load_dwordx2 s[26:27], s[0:1], 0x20
	s_load_dwordx2 s[28:29], s[0:1], 0x30
	v_mbcnt_lo_u32_b32 v2, -1, 0
	v_mbcnt_hi_u32_b32 v2, -1, v2
	s_waitcnt lgkmcnt(0)
	s_sub_i32 s30, s4, s33
	v_mul_lo_u32 v6, v1, s22
	v_and_b32_e32 v27, 7, v0
	v_lshl_or_b32 v30, v2, 2, 28
	s_cmp_eq_u32 s6, 0
	v_lshlrev_b32_e32 v2, 3, v1
	v_mov_b32_e32 v3, 0
	v_ashrrev_i32_e32 v7, 31, v6
	s_cselect_b64 s[0:1], -1, 0
	s_ashr_i32 s66, s22, 31
	v_lshl_add_u64 v[4:5], s[8:9], 0, v[2:3]
	v_lshl_add_u64 v[6:7], v[6:7], 3, s[8:9]
	v_lshlrev_b32_e32 v2, 3, v27
	s_mul_hi_u32 s2, s22, s21
	s_mul_i32 s3, s66, s21
	s_mul_i32 s68, s22, s21
	v_lshl_add_u64 v[6:7], v[6:7], 0, v[2:3]
	v_mul_lo_u32 v2, v27, s21
	s_lshl_b32 s31, s21, 3
	s_abs_i32 s21, s22
	v_cvt_f32_u32_e32 v18, s21
	v_lshlrev_b32_e32 v28, 6, v1
	s_add_i32 s67, s2, s3
	s_movk_i32 s2, 0x80
	v_lshlrev_b32_e32 v31, 2, v0
	v_cmp_gt_u32_e64 s[2:3], s2, v0
	v_cmp_gt_u32_e64 s[4:5], 64, v0
	v_cmp_gt_u32_e64 s[6:7], 32, v0
	v_cmp_gt_u32_e64 s[8:9], 16, v0
	v_cmp_gt_u32_e64 s[10:11], 8, v0
	v_cmp_gt_u32_e64 s[12:13], 4, v0
	v_cmp_gt_u32_e64 s[14:15], 2, v0
	v_cmp_eq_u32_e64 s[16:17], 0, v0
	v_or_b32_e32 v0, v28, v27
	v_lshlrev_b32_e32 v32, 3, v0
	v_cmp_gt_u32_e64 s[18:19], s22, v27
	v_or_b32_e32 v0, 8, v27
	v_rcp_iflag_f32_e32 v18, v18
	s_and_b64 s[34:35], vcc, s[18:19]
	v_cmp_gt_u32_e64 s[18:19], s22, v0
	v_or_b32_e32 v8, 16, v27
	s_and_b64 s[36:37], vcc, s[18:19]
	v_cmp_gt_u32_e64 s[18:19], s22, v8
	v_or_b32_e32 v10, 24, v27
	;; [unrolled: 3-line block ×4, first 2 shown]
	v_mul_f32_e32 v18, 0x4f7ffffe, v18
	v_add_u32_e32 v0, s31, v2
	s_and_b64 s[42:43], vcc, s[18:19]
	v_cmp_gt_u32_e64 s[18:19], s22, v14
	v_or_b32_e32 v16, 48, v27
	v_cvt_u32_f32_e32 v20, v18
	v_add_u32_e32 v8, s31, v0
	s_and_b64 s[44:45], vcc, s[18:19]
	v_cmp_gt_u32_e64 s[18:19], s22, v16
	v_or_b32_e32 v19, 56, v27
	v_add_u32_e32 v10, s31, v8
	s_and_b64 s[46:47], vcc, s[18:19]
	v_cmp_gt_u32_e64 s[18:19], s22, v19
	v_add_u32_e32 v12, s31, v10
	s_and_b64 s[48:49], vcc, s[18:19]
	s_sub_i32 s18, 0, s21
	s_mov_b32 s50, 0
	v_add_u32_e32 v14, s31, v12
	v_mul_lo_u32 v21, s18, v20
	v_add_u32_e32 v16, s31, v14
	v_mul_hi_u32 v21, v20, v21
	s_mov_b32 s51, s50
	v_mov_b32_e32 v29, 0
	v_mov_b32_e32 v1, v3
	;; [unrolled: 1-line block ×7, first 2 shown]
	v_add_u32_e32 v18, s31, v16
	v_mov_b32_e32 v19, v3
	v_add_u32_e32 v34, v20, v21
	v_mov_b64_e32 v[20:21], s[50:51]
	s_mov_b64 s[50:51], 0x80
	s_mov_b64 s[52:53], 0xc0
	;; [unrolled: 1-line block ×6, first 2 shown]
	v_mov_b32_e32 v35, 1
	v_mov_b32_e32 v24, 0
	s_branch .LBB116_7
.LBB116_6:                              ;   in Loop: Header=BB116_7 Depth=1
	s_or_b64 exec, exec, s[18:19]
	s_waitcnt lgkmcnt(0)
	s_barrier
	ds_read_b32 v24, v3
	s_add_i32 s30, s31, s30
	s_waitcnt lgkmcnt(0)
	s_barrier
	v_cmp_gt_i32_e32 vcc, s20, v24
	s_cbranch_vccz .LBB116_49
.LBB116_7:                              ; =>This Loop Header: Depth=1
                                        ;     Child Loop BB116_10 Depth 2
	v_add_u32_e32 v22, v33, v27
	v_cmp_lt_i32_e32 vcc, v22, v26
	v_mov_b32_e32 v36, s20
	v_mov_b32_e32 v33, v26
	ds_write_b8 v3, v29 offset:16384
	ds_write2_b64 v32, v[20:21], v[20:21] offset1:8
	ds_write2_b64 v32, v[20:21], v[20:21] offset0:16 offset1:24
	ds_write2_b64 v32, v[20:21], v[20:21] offset0:32 offset1:40
	;; [unrolled: 1-line block ×3, first 2 shown]
	s_waitcnt lgkmcnt(0)
	s_barrier
	s_and_saveexec_b64 s[62:63], vcc
	s_cbranch_execz .LBB116_15
; %bb.8:                                ;   in Loop: Header=BB116_7 Depth=1
	v_mul_lo_u32 v25, v24, s22
	s_mov_b64 s[64:65], 0
	v_mov_b32_e32 v36, s20
	v_mov_b32_e32 v33, v26
	s_branch .LBB116_10
.LBB116_9:                              ;   in Loop: Header=BB116_10 Depth=2
	s_or_b64 exec, exec, s[18:19]
	v_add_u32_e32 v22, 8, v22
	v_cmp_ge_i32_e64 s[18:19], v22, v26
	s_xor_b64 s[70:71], vcc, -1
	s_or_b64 s[18:19], s[70:71], s[18:19]
	s_and_b64 s[18:19], exec, s[18:19]
	s_or_b64 s[64:65], s[18:19], s[64:65]
	s_andn2_b64 exec, exec, s[64:65]
	s_cbranch_execz .LBB116_14
.LBB116_10:                             ;   Parent Loop BB116_7 Depth=1
                                        ; =>  This Inner Loop Header: Depth=2
	v_ashrrev_i32_e32 v23, 31, v22
	v_lshl_add_u64 v[38:39], v[22:23], 2, s[28:29]
	global_load_dword v37, v[38:39], off
	s_waitcnt vmcnt(0)
	v_subrev_u32_e32 v37, s23, v37
	v_sub_u32_e32 v39, 0, v37
	v_max_i32_e32 v39, v37, v39
	v_mul_hi_u32 v40, v39, v34
	v_mul_lo_u32 v41, v40, s21
	v_sub_u32_e32 v39, v39, v41
	v_add_u32_e32 v42, 1, v40
	v_cmp_le_u32_e32 vcc, s21, v39
	v_subrev_u32_e32 v41, s21, v39
	v_ashrrev_i32_e32 v38, 31, v37
	v_cndmask_b32_e32 v40, v40, v42, vcc
	v_cndmask_b32_e32 v39, v39, v41, vcc
	v_add_u32_e32 v41, 1, v40
	v_cmp_le_u32_e32 vcc, s21, v39
	v_xor_b32_e32 v38, s66, v38
	s_nop 0
	v_cndmask_b32_e32 v39, v40, v41, vcc
	v_xor_b32_e32 v39, v39, v38
	v_sub_u32_e32 v39, v39, v38
	v_cmp_eq_u32_e32 vcc, v39, v24
	v_cmp_ne_u32_e64 s[18:19], v39, v24
	v_mov_b32_e32 v38, v33
	s_and_saveexec_b64 s[70:71], s[18:19]
	s_xor_b64 s[18:19], exec, s[70:71]
; %bb.11:                               ;   in Loop: Header=BB116_10 Depth=2
	v_min_i32_e32 v36, v39, v36
                                        ; implicit-def: $vgpr37
                                        ; implicit-def: $vgpr38
; %bb.12:                               ;   in Loop: Header=BB116_10 Depth=2
	s_or_saveexec_b64 s[18:19], s[18:19]
	v_mov_b32_e32 v33, v22
	s_xor_b64 exec, exec, s[18:19]
	s_cbranch_execz .LBB116_9
; %bb.13:                               ;   in Loop: Header=BB116_10 Depth=2
	v_lshl_add_u64 v[40:41], v[22:23], 3, s[26:27]
	global_load_dwordx2 v[40:41], v[40:41], off
	v_sub_u32_e32 v23, v37, v25
	v_add_lshl_u32 v23, v23, v28, 3
	v_mov_b32_e32 v33, v38
	ds_write_b8 v3, v35 offset:16384
	s_waitcnt vmcnt(0)
	ds_write_b64 v23, v[40:41]
	s_branch .LBB116_9
.LBB116_14:                             ;   in Loop: Header=BB116_7 Depth=1
	s_or_b64 exec, exec, s[64:65]
.LBB116_15:                             ;   in Loop: Header=BB116_7 Depth=1
	s_or_b64 exec, exec, s[62:63]
	v_mov_b32_dpp v22, v33 row_shr:1 row_mask:0xf bank_mask:0xf
	v_min_i32_e32 v22, v22, v33
	s_waitcnt lgkmcnt(0)
	s_barrier
	v_mov_b32_dpp v23, v22 row_shr:2 row_mask:0xf bank_mask:0xf
	v_min_i32_e32 v22, v23, v22
	ds_read_u8 v23, v3 offset:16384
	s_nop 0
	v_mov_b32_dpp v25, v22 row_shr:4 row_mask:0xf bank_mask:0xe
	v_min_i32_e32 v22, v25, v22
	ds_bpermute_b32 v33, v30, v22
	s_mov_b32 s31, 0
	s_waitcnt lgkmcnt(1)
	v_cmp_eq_u32_e32 vcc, 0, v23
	s_cbranch_vccnz .LBB116_26
; %bb.16:                               ;   in Loop: Header=BB116_7 Depth=1
	s_ashr_i32 s31, s30, 31
	s_lshl_b64 s[18:19], s[30:31], 2
	s_add_u32 s18, s24, s18
	v_add_u32_e32 v22, s33, v24
	s_addc_u32 s19, s25, s19
	global_store_dword v3, v22, s[18:19]
	s_mul_hi_u32 s18, s68, s30
	s_mul_i32 s19, s68, s31
	s_add_i32 s18, s18, s19
	s_mul_i32 s19, s67, s30
	s_add_i32 s19, s18, s19
	s_mul_i32 s18, s68, s30
	s_lshl_b64 s[18:19], s[18:19], 3
	v_lshl_add_u64 v[22:23], v[4:5], 0, s[18:19]
	v_lshl_add_u64 v[24:25], v[6:7], 0, s[18:19]
	s_and_saveexec_b64 s[18:19], s[34:35]
	s_cbranch_execnz .LBB116_42
; %bb.17:                               ;   in Loop: Header=BB116_7 Depth=1
	s_or_b64 exec, exec, s[18:19]
	s_and_saveexec_b64 s[18:19], s[36:37]
	s_cbranch_execnz .LBB116_43
.LBB116_18:                             ;   in Loop: Header=BB116_7 Depth=1
	s_or_b64 exec, exec, s[18:19]
	s_and_saveexec_b64 s[18:19], s[38:39]
	s_cbranch_execnz .LBB116_44
.LBB116_19:                             ;   in Loop: Header=BB116_7 Depth=1
	s_or_b64 exec, exec, s[18:19]
	s_and_saveexec_b64 s[18:19], s[40:41]
	s_cbranch_execnz .LBB116_45
.LBB116_20:                             ;   in Loop: Header=BB116_7 Depth=1
	s_or_b64 exec, exec, s[18:19]
	s_and_saveexec_b64 s[18:19], s[42:43]
	s_cbranch_execnz .LBB116_46
.LBB116_21:                             ;   in Loop: Header=BB116_7 Depth=1
	s_or_b64 exec, exec, s[18:19]
	s_and_saveexec_b64 s[18:19], s[44:45]
	s_cbranch_execnz .LBB116_47
.LBB116_22:                             ;   in Loop: Header=BB116_7 Depth=1
	s_or_b64 exec, exec, s[18:19]
	s_and_saveexec_b64 s[18:19], s[46:47]
	s_cbranch_execnz .LBB116_48
.LBB116_23:                             ;   in Loop: Header=BB116_7 Depth=1
	s_or_b64 exec, exec, s[18:19]
	s_and_saveexec_b64 s[18:19], s[48:49]
	s_cbranch_execz .LBB116_25
.LBB116_24:                             ;   in Loop: Header=BB116_7 Depth=1
	ds_read_b64 v[38:39], v32 offset:448
	v_lshl_add_u64 v[24:25], v[24:25], 0, s[60:61]
	v_lshl_add_u64 v[22:23], v[18:19], 3, v[22:23]
	v_cndmask_b32_e64 v23, v23, v25, s[0:1]
	v_cndmask_b32_e64 v22, v22, v24, s[0:1]
	s_waitcnt lgkmcnt(0)
	global_store_dwordx2 v[22:23], v[38:39], off
.LBB116_25:                             ;   in Loop: Header=BB116_7 Depth=1
	s_or_b64 exec, exec, s[18:19]
	s_mov_b32 s31, 1
.LBB116_26:                             ;   in Loop: Header=BB116_7 Depth=1
	s_waitcnt lgkmcnt(0)
	s_barrier
	ds_write_b32 v31, v36
	s_waitcnt lgkmcnt(0)
	s_barrier
	s_and_saveexec_b64 s[18:19], s[2:3]
	s_cbranch_execz .LBB116_28
; %bb.27:                               ;   in Loop: Header=BB116_7 Depth=1
	ds_read2st64_b32 v[22:23], v31 offset1:2
	s_waitcnt lgkmcnt(0)
	v_min_i32_e32 v22, v23, v22
	ds_write_b32 v31, v22
.LBB116_28:                             ;   in Loop: Header=BB116_7 Depth=1
	s_or_b64 exec, exec, s[18:19]
	s_waitcnt lgkmcnt(0)
	s_barrier
	s_and_saveexec_b64 s[18:19], s[4:5]
	s_cbranch_execz .LBB116_30
; %bb.29:                               ;   in Loop: Header=BB116_7 Depth=1
	ds_read2st64_b32 v[22:23], v31 offset1:1
	s_waitcnt lgkmcnt(0)
	v_min_i32_e32 v22, v23, v22
	ds_write_b32 v31, v22
.LBB116_30:                             ;   in Loop: Header=BB116_7 Depth=1
	s_or_b64 exec, exec, s[18:19]
	s_waitcnt lgkmcnt(0)
	s_barrier
	s_and_saveexec_b64 s[18:19], s[6:7]
	s_cbranch_execz .LBB116_32
; %bb.31:                               ;   in Loop: Header=BB116_7 Depth=1
	ds_read2_b32 v[22:23], v31 offset1:32
	s_waitcnt lgkmcnt(0)
	v_min_i32_e32 v22, v23, v22
	ds_write_b32 v31, v22
.LBB116_32:                             ;   in Loop: Header=BB116_7 Depth=1
	s_or_b64 exec, exec, s[18:19]
	s_waitcnt lgkmcnt(0)
	s_barrier
	s_and_saveexec_b64 s[18:19], s[8:9]
	s_cbranch_execz .LBB116_34
; %bb.33:                               ;   in Loop: Header=BB116_7 Depth=1
	ds_read2_b32 v[22:23], v31 offset1:16
	s_waitcnt lgkmcnt(0)
	v_min_i32_e32 v22, v23, v22
	ds_write_b32 v31, v22
.LBB116_34:                             ;   in Loop: Header=BB116_7 Depth=1
	;; [unrolled: 11-line block ×5, first 2 shown]
	s_or_b64 exec, exec, s[18:19]
	s_waitcnt lgkmcnt(0)
	s_barrier
	s_and_saveexec_b64 s[18:19], s[16:17]
	s_cbranch_execz .LBB116_6
; %bb.41:                               ;   in Loop: Header=BB116_7 Depth=1
	ds_read_b64 v[22:23], v3
	s_waitcnt lgkmcnt(0)
	v_min_i32_e32 v22, v23, v22
	ds_write_b32 v3, v22
	s_branch .LBB116_6
.LBB116_42:                             ;   in Loop: Header=BB116_7 Depth=1
	ds_read_b64 v[38:39], v32
	v_lshl_add_u64 v[40:41], v[2:3], 3, v[22:23]
	v_cndmask_b32_e64 v41, v41, v25, s[0:1]
	v_cndmask_b32_e64 v40, v40, v24, s[0:1]
	s_waitcnt lgkmcnt(0)
	global_store_dwordx2 v[40:41], v[38:39], off
	s_or_b64 exec, exec, s[18:19]
	s_and_saveexec_b64 s[18:19], s[36:37]
	s_cbranch_execz .LBB116_18
.LBB116_43:                             ;   in Loop: Header=BB116_7 Depth=1
	ds_read_b64 v[38:39], v32 offset:64
	v_lshl_add_u64 v[40:41], v[24:25], 0, 64
	v_lshl_add_u64 v[42:43], v[0:1], 3, v[22:23]
	v_cndmask_b32_e64 v41, v43, v41, s[0:1]
	v_cndmask_b32_e64 v40, v42, v40, s[0:1]
	s_waitcnt lgkmcnt(0)
	global_store_dwordx2 v[40:41], v[38:39], off
	s_or_b64 exec, exec, s[18:19]
	s_and_saveexec_b64 s[18:19], s[38:39]
	s_cbranch_execz .LBB116_19
.LBB116_44:                             ;   in Loop: Header=BB116_7 Depth=1
	ds_read_b64 v[38:39], v32 offset:128
	v_lshl_add_u64 v[40:41], v[24:25], 0, s[50:51]
	v_lshl_add_u64 v[42:43], v[8:9], 3, v[22:23]
	v_cndmask_b32_e64 v41, v43, v41, s[0:1]
	v_cndmask_b32_e64 v40, v42, v40, s[0:1]
	s_waitcnt lgkmcnt(0)
	global_store_dwordx2 v[40:41], v[38:39], off
	s_or_b64 exec, exec, s[18:19]
	s_and_saveexec_b64 s[18:19], s[40:41]
	s_cbranch_execz .LBB116_20
.LBB116_45:                             ;   in Loop: Header=BB116_7 Depth=1
	ds_read_b64 v[38:39], v32 offset:192
	v_lshl_add_u64 v[40:41], v[24:25], 0, s[52:53]
	v_lshl_add_u64 v[42:43], v[10:11], 3, v[22:23]
	v_cndmask_b32_e64 v41, v43, v41, s[0:1]
	v_cndmask_b32_e64 v40, v42, v40, s[0:1]
	s_waitcnt lgkmcnt(0)
	global_store_dwordx2 v[40:41], v[38:39], off
	s_or_b64 exec, exec, s[18:19]
	s_and_saveexec_b64 s[18:19], s[42:43]
	s_cbranch_execz .LBB116_21
.LBB116_46:                             ;   in Loop: Header=BB116_7 Depth=1
	ds_read_b64 v[38:39], v32 offset:256
	v_lshl_add_u64 v[40:41], v[24:25], 0, s[54:55]
	v_lshl_add_u64 v[42:43], v[12:13], 3, v[22:23]
	v_cndmask_b32_e64 v41, v43, v41, s[0:1]
	v_cndmask_b32_e64 v40, v42, v40, s[0:1]
	s_waitcnt lgkmcnt(0)
	global_store_dwordx2 v[40:41], v[38:39], off
	s_or_b64 exec, exec, s[18:19]
	s_and_saveexec_b64 s[18:19], s[44:45]
	s_cbranch_execz .LBB116_22
.LBB116_47:                             ;   in Loop: Header=BB116_7 Depth=1
	ds_read_b64 v[38:39], v32 offset:320
	v_lshl_add_u64 v[40:41], v[24:25], 0, s[56:57]
	v_lshl_add_u64 v[42:43], v[14:15], 3, v[22:23]
	v_cndmask_b32_e64 v41, v43, v41, s[0:1]
	v_cndmask_b32_e64 v40, v42, v40, s[0:1]
	s_waitcnt lgkmcnt(0)
	global_store_dwordx2 v[40:41], v[38:39], off
	s_or_b64 exec, exec, s[18:19]
	s_and_saveexec_b64 s[18:19], s[46:47]
	s_cbranch_execz .LBB116_23
.LBB116_48:                             ;   in Loop: Header=BB116_7 Depth=1
	ds_read_b64 v[38:39], v32 offset:384
	v_lshl_add_u64 v[40:41], v[24:25], 0, s[58:59]
	v_lshl_add_u64 v[42:43], v[16:17], 3, v[22:23]
	v_cndmask_b32_e64 v41, v43, v41, s[0:1]
	v_cndmask_b32_e64 v40, v42, v40, s[0:1]
	s_waitcnt lgkmcnt(0)
	global_store_dwordx2 v[40:41], v[38:39], off
	s_or_b64 exec, exec, s[18:19]
	s_and_saveexec_b64 s[18:19], s[48:49]
	s_cbranch_execnz .LBB116_24
	s_branch .LBB116_25
.LBB116_49:
	s_endpgm
	.section	.rodata,"a",@progbits
	.p2align	6, 0x0
	.amdhsa_kernel _ZN9rocsparseL40csr2gebsr_block_per_row_multipass_kernelILj256ELj32ELj64EdEEv20rocsparse_direction_iiiiii21rocsparse_index_base_PKT2_PKiS7_S2_PS3_PiS9_
		.amdhsa_group_segment_fixed_size 16392
		.amdhsa_private_segment_fixed_size 0
		.amdhsa_kernarg_size 88
		.amdhsa_user_sgpr_count 2
		.amdhsa_user_sgpr_dispatch_ptr 0
		.amdhsa_user_sgpr_queue_ptr 0
		.amdhsa_user_sgpr_kernarg_segment_ptr 1
		.amdhsa_user_sgpr_dispatch_id 0
		.amdhsa_user_sgpr_kernarg_preload_length 0
		.amdhsa_user_sgpr_kernarg_preload_offset 0
		.amdhsa_user_sgpr_private_segment_size 0
		.amdhsa_uses_dynamic_stack 0
		.amdhsa_enable_private_segment 0
		.amdhsa_system_sgpr_workgroup_id_x 1
		.amdhsa_system_sgpr_workgroup_id_y 0
		.amdhsa_system_sgpr_workgroup_id_z 0
		.amdhsa_system_sgpr_workgroup_info 0
		.amdhsa_system_vgpr_workitem_id 0
		.amdhsa_next_free_vgpr 44
		.amdhsa_next_free_sgpr 72
		.amdhsa_accum_offset 44
		.amdhsa_reserve_vcc 1
		.amdhsa_float_round_mode_32 0
		.amdhsa_float_round_mode_16_64 0
		.amdhsa_float_denorm_mode_32 3
		.amdhsa_float_denorm_mode_16_64 3
		.amdhsa_dx10_clamp 1
		.amdhsa_ieee_mode 1
		.amdhsa_fp16_overflow 0
		.amdhsa_tg_split 0
		.amdhsa_exception_fp_ieee_invalid_op 0
		.amdhsa_exception_fp_denorm_src 0
		.amdhsa_exception_fp_ieee_div_zero 0
		.amdhsa_exception_fp_ieee_overflow 0
		.amdhsa_exception_fp_ieee_underflow 0
		.amdhsa_exception_fp_ieee_inexact 0
		.amdhsa_exception_int_div_zero 0
	.end_amdhsa_kernel
	.section	.text._ZN9rocsparseL40csr2gebsr_block_per_row_multipass_kernelILj256ELj32ELj64EdEEv20rocsparse_direction_iiiiii21rocsparse_index_base_PKT2_PKiS7_S2_PS3_PiS9_,"axG",@progbits,_ZN9rocsparseL40csr2gebsr_block_per_row_multipass_kernelILj256ELj32ELj64EdEEv20rocsparse_direction_iiiiii21rocsparse_index_base_PKT2_PKiS7_S2_PS3_PiS9_,comdat
.Lfunc_end116:
	.size	_ZN9rocsparseL40csr2gebsr_block_per_row_multipass_kernelILj256ELj32ELj64EdEEv20rocsparse_direction_iiiiii21rocsparse_index_base_PKT2_PKiS7_S2_PS3_PiS9_, .Lfunc_end116-_ZN9rocsparseL40csr2gebsr_block_per_row_multipass_kernelILj256ELj32ELj64EdEEv20rocsparse_direction_iiiiii21rocsparse_index_base_PKT2_PKiS7_S2_PS3_PiS9_
                                        ; -- End function
	.section	.AMDGPU.csdata,"",@progbits
; Kernel info:
; codeLenInByte = 2272
; NumSgprs: 78
; NumVgprs: 44
; NumAgprs: 0
; TotalNumVgprs: 44
; ScratchSize: 0
; MemoryBound: 0
; FloatMode: 240
; IeeeMode: 1
; LDSByteSize: 16392 bytes/workgroup (compile time only)
; SGPRBlocks: 9
; VGPRBlocks: 5
; NumSGPRsForWavesPerEU: 78
; NumVGPRsForWavesPerEU: 44
; AccumOffset: 44
; Occupancy: 3
; WaveLimiterHint : 0
; COMPUTE_PGM_RSRC2:SCRATCH_EN: 0
; COMPUTE_PGM_RSRC2:USER_SGPR: 2
; COMPUTE_PGM_RSRC2:TRAP_HANDLER: 0
; COMPUTE_PGM_RSRC2:TGID_X_EN: 1
; COMPUTE_PGM_RSRC2:TGID_Y_EN: 0
; COMPUTE_PGM_RSRC2:TGID_Z_EN: 0
; COMPUTE_PGM_RSRC2:TIDIG_COMP_CNT: 0
; COMPUTE_PGM_RSRC3_GFX90A:ACCUM_OFFSET: 10
; COMPUTE_PGM_RSRC3_GFX90A:TG_SPLIT: 0
	.section	.text._ZN9rocsparseL40csr2gebsr_block_per_row_multipass_kernelILj128ELj64ELj2EdEEv20rocsparse_direction_iiiiii21rocsparse_index_base_PKT2_PKiS7_S2_PS3_PiS9_,"axG",@progbits,_ZN9rocsparseL40csr2gebsr_block_per_row_multipass_kernelILj128ELj64ELj2EdEEv20rocsparse_direction_iiiiii21rocsparse_index_base_PKT2_PKiS7_S2_PS3_PiS9_,comdat
	.globl	_ZN9rocsparseL40csr2gebsr_block_per_row_multipass_kernelILj128ELj64ELj2EdEEv20rocsparse_direction_iiiiii21rocsparse_index_base_PKT2_PKiS7_S2_PS3_PiS9_ ; -- Begin function _ZN9rocsparseL40csr2gebsr_block_per_row_multipass_kernelILj128ELj64ELj2EdEEv20rocsparse_direction_iiiiii21rocsparse_index_base_PKT2_PKiS7_S2_PS3_PiS9_
	.p2align	8
	.type	_ZN9rocsparseL40csr2gebsr_block_per_row_multipass_kernelILj128ELj64ELj2EdEEv20rocsparse_direction_iiiiii21rocsparse_index_base_PKT2_PKiS7_S2_PS3_PiS9_,@function
_ZN9rocsparseL40csr2gebsr_block_per_row_multipass_kernelILj128ELj64ELj2EdEEv20rocsparse_direction_iiiiii21rocsparse_index_base_PKT2_PKiS7_S2_PS3_PiS9_: ; @_ZN9rocsparseL40csr2gebsr_block_per_row_multipass_kernelILj128ELj64ELj2EdEEv20rocsparse_direction_iiiiii21rocsparse_index_base_PKT2_PKiS7_S2_PS3_PiS9_
; %bb.0:
	s_load_dwordx4 s[16:19], s[0:1], 0x10
	s_load_dwordx2 s[8:9], s[0:1], 0x0
	s_load_dwordx2 s[6:7], s[0:1], 0x28
	v_lshrrev_b32_e32 v1, 1, v0
	v_mov_b32_e32 v6, 0
	s_waitcnt lgkmcnt(0)
	s_mul_i32 s3, s2, s17
	v_add_u32_e32 v2, s3, v1
	v_cmp_gt_i32_e64 s[4:5], s9, v2
	v_cmp_gt_i32_e32 vcc, s17, v1
	s_and_b64 s[4:5], vcc, s[4:5]
	v_mov_b32_e32 v4, 0
	s_and_saveexec_b64 s[10:11], s[4:5]
	s_cbranch_execnz .LBB117_3
; %bb.1:
	s_or_b64 exec, exec, s[10:11]
	s_and_saveexec_b64 s[10:11], s[4:5]
	s_cbranch_execnz .LBB117_4
.LBB117_2:
	s_or_b64 exec, exec, s[10:11]
	s_cmp_lt_i32 s16, 1
	s_cbranch_scc0 .LBB117_5
	s_branch .LBB117_33
.LBB117_3:
	v_ashrrev_i32_e32 v3, 31, v2
	v_lshl_add_u64 v[4:5], v[2:3], 2, s[6:7]
	global_load_dword v3, v[4:5], off
	s_waitcnt vmcnt(0)
	v_subrev_u32_e32 v4, s19, v3
	s_or_b64 exec, exec, s[10:11]
	s_and_saveexec_b64 s[10:11], s[4:5]
	s_cbranch_execz .LBB117_2
.LBB117_4:
	v_ashrrev_i32_e32 v3, 31, v2
	v_lshl_add_u64 v[2:3], v[2:3], 2, s[6:7]
	global_load_dword v2, v[2:3], off offset:4
	s_waitcnt vmcnt(0)
	v_subrev_u32_e32 v6, s19, v2
	s_or_b64 exec, exec, s[10:11]
	s_cmp_lt_i32 s16, 1
	s_cbranch_scc1 .LBB117_33
.LBB117_5:
	s_load_dwordx4 s[4:7], s[0:1], 0x40
	s_load_dwordx2 s[20:21], s[0:1], 0x50
	s_load_dword s33, s[0:1], 0x38
	s_ashr_i32 s3, s2, 31
	s_lshl_b64 s[2:3], s[2:3], 2
	s_waitcnt lgkmcnt(0)
	s_add_u32 s2, s6, s2
	s_addc_u32 s3, s7, s3
	s_load_dword s6, s[2:3], 0x0
	s_load_dwordx2 s[22:23], s[0:1], 0x20
	s_load_dwordx2 s[24:25], s[0:1], 0x30
	v_and_b32_e32 v7, 1, v0
	v_mov_b32_e32 v2, 0
	v_cmp_gt_u32_e64 s[0:1], s18, v7
	s_waitcnt lgkmcnt(0)
	s_sub_i32 s26, s6, s33
	s_and_b64 s[28:29], vcc, s[0:1]
	v_mul_lo_u32 v12, v7, s17
	v_mov_b32_e32 v13, v2
	s_cmp_eq_u32 s8, 0
	v_lshl_add_u64 v[12:13], v[12:13], 3, s[4:5]
	v_lshlrev_b32_e32 v14, 3, v1
	v_mov_b32_e32 v15, v2
	v_lshl_add_u64 v[12:13], v[12:13], 0, v[14:15]
	v_mul_lo_u32 v14, v1, s18
	s_cselect_b64 vcc, -1, 0
	v_lshlrev_b32_e32 v1, 2, v0
	s_abs_i32 s38, s18
	v_sub_u32_e32 v5, 0, v1
	v_cvt_f32_u32_e32 v1, s38
	s_ashr_i32 s36, s18, 31
	v_mbcnt_lo_u32_b32 v3, -1, 0
	v_ashrrev_i32_e32 v15, 31, v14
	v_rcp_iflag_f32_e32 v1, v1
	s_mul_hi_u32 s0, s18, s17
	s_mul_i32 s1, s36, s17
	v_lshlrev_b32_e32 v8, 3, v0
	v_and_b32_e32 v9, 0x7e, v0
	v_mbcnt_hi_u32_b32 v3, -1, v3
	v_lshl_add_u64 v[14:15], v[14:15], 3, s[4:5]
	s_add_i32 s37, s0, s1
	v_cmp_gt_u32_e64 s[0:1], 64, v0
	v_cmp_gt_u32_e64 s[2:3], 32, v0
	;; [unrolled: 1-line block ×6, first 2 shown]
	v_cmp_eq_u32_e64 s[12:13], 0, v0
	v_mul_f32_e32 v0, 0x4f7ffffe, v1
	v_lshl_or_b32 v10, v3, 2, 4
	v_cvt_u32_f32_e32 v3, v0
	s_sub_i32 s14, 0, s38
	v_lshlrev_b32_e32 v16, 3, v7
	v_mov_b32_e32 v17, v2
	v_mul_lo_u32 v11, s14, v3
	v_lshl_add_u64 v[14:15], v[14:15], 0, v[16:17]
	v_mul_hi_u32 v11, v3, v11
	s_mul_i32 s17, s18, s17
	v_cndmask_b32_e32 v1, v13, v15, vcc
	v_cndmask_b32_e32 v0, v12, v14, vcc
	v_add_u32_e32 v11, v3, v11
	v_mov_b32_e32 v3, v2
	v_add_u32_e32 v12, v8, v5
	v_mov_b32_e32 v13, 1
	v_mov_b32_e32 v15, v2
	s_branch .LBB117_7
.LBB117_6:                              ;   in Loop: Header=BB117_7 Depth=1
	s_or_b64 exec, exec, s[14:15]
	s_waitcnt lgkmcnt(0)
	s_barrier
	ds_read_b32 v15, v2
	s_add_i32 s26, s27, s26
	s_waitcnt lgkmcnt(0)
	s_barrier
	v_cmp_gt_i32_e32 vcc, s16, v15
	s_cbranch_vccz .LBB117_33
.LBB117_7:                              ; =>This Loop Header: Depth=1
                                        ;     Child Loop BB117_10 Depth 2
	v_add_u32_e32 v4, v4, v7
	v_cmp_lt_i32_e32 vcc, v4, v6
	v_mov_b32_e32 v14, s16
	v_mov_b32_e32 v17, v6
	ds_write_b8 v2, v2 offset:1024
	ds_write_b64 v8, v[2:3]
	s_waitcnt lgkmcnt(0)
	s_barrier
	s_and_saveexec_b64 s[30:31], vcc
	s_cbranch_execz .LBB117_15
; %bb.8:                                ;   in Loop: Header=BB117_7 Depth=1
	v_mul_lo_u32 v16, v15, s18
	s_mov_b64 s[34:35], 0
	v_mov_b32_e32 v14, s16
	v_mov_b32_e32 v17, v6
	s_branch .LBB117_10
.LBB117_9:                              ;   in Loop: Header=BB117_10 Depth=2
	s_or_b64 exec, exec, s[14:15]
	v_add_u32_e32 v4, 2, v4
	v_cmp_ge_i32_e64 s[14:15], v4, v6
	s_xor_b64 s[40:41], vcc, -1
	s_or_b64 s[14:15], s[40:41], s[14:15]
	s_and_b64 s[14:15], exec, s[14:15]
	s_or_b64 s[34:35], s[14:15], s[34:35]
	s_andn2_b64 exec, exec, s[34:35]
	s_cbranch_execz .LBB117_14
.LBB117_10:                             ;   Parent Loop BB117_7 Depth=1
                                        ; =>  This Inner Loop Header: Depth=2
	v_ashrrev_i32_e32 v5, 31, v4
	v_lshl_add_u64 v[18:19], v[4:5], 2, s[24:25]
	global_load_dword v18, v[18:19], off
	s_waitcnt vmcnt(0)
	v_subrev_u32_e32 v18, s19, v18
	v_sub_u32_e32 v20, 0, v18
	v_max_i32_e32 v20, v18, v20
	v_mul_hi_u32 v21, v20, v11
	v_mul_lo_u32 v22, v21, s38
	v_sub_u32_e32 v20, v20, v22
	v_add_u32_e32 v23, 1, v21
	v_cmp_le_u32_e32 vcc, s38, v20
	v_subrev_u32_e32 v22, s38, v20
	v_ashrrev_i32_e32 v19, 31, v18
	v_cndmask_b32_e32 v21, v21, v23, vcc
	v_cndmask_b32_e32 v20, v20, v22, vcc
	v_add_u32_e32 v22, 1, v21
	v_cmp_le_u32_e32 vcc, s38, v20
	v_xor_b32_e32 v19, s36, v19
	s_nop 0
	v_cndmask_b32_e32 v20, v21, v22, vcc
	v_xor_b32_e32 v20, v20, v19
	v_sub_u32_e32 v20, v20, v19
	v_cmp_eq_u32_e32 vcc, v20, v15
	v_cmp_ne_u32_e64 s[14:15], v20, v15
	v_mov_b32_e32 v19, v17
	s_and_saveexec_b64 s[40:41], s[14:15]
	s_xor_b64 s[14:15], exec, s[40:41]
; %bb.11:                               ;   in Loop: Header=BB117_10 Depth=2
	v_min_i32_e32 v14, v20, v14
                                        ; implicit-def: $vgpr18
                                        ; implicit-def: $vgpr19
; %bb.12:                               ;   in Loop: Header=BB117_10 Depth=2
	s_or_saveexec_b64 s[14:15], s[14:15]
	v_mov_b32_e32 v17, v4
	s_xor_b64 exec, exec, s[14:15]
	s_cbranch_execz .LBB117_9
; %bb.13:                               ;   in Loop: Header=BB117_10 Depth=2
	v_lshl_add_u64 v[20:21], v[4:5], 3, s[22:23]
	global_load_dwordx2 v[20:21], v[20:21], off
	v_sub_u32_e32 v5, v18, v16
	v_add_lshl_u32 v5, v5, v9, 3
	v_mov_b32_e32 v17, v19
	ds_write_b8 v2, v13 offset:1024
	s_waitcnt vmcnt(0)
	ds_write_b64 v5, v[20:21]
	s_branch .LBB117_9
.LBB117_14:                             ;   in Loop: Header=BB117_7 Depth=1
	s_or_b64 exec, exec, s[34:35]
.LBB117_15:                             ;   in Loop: Header=BB117_7 Depth=1
	s_or_b64 exec, exec, s[30:31]
	s_waitcnt lgkmcnt(0)
	s_barrier
	ds_read_u8 v5, v2 offset:1024
	v_mov_b32_dpp v4, v17 row_shr:1 row_mask:0xf bank_mask:0xf
	v_min_i32_e32 v4, v4, v17
	ds_bpermute_b32 v4, v10, v4
	s_mov_b32 s27, 0
	s_waitcnt lgkmcnt(1)
	v_cmp_eq_u32_e32 vcc, 0, v5
	s_cbranch_vccnz .LBB117_19
; %bb.16:                               ;   in Loop: Header=BB117_7 Depth=1
	s_ashr_i32 s27, s26, 31
	s_lshl_b64 s[14:15], s[26:27], 2
	s_add_u32 s14, s20, s14
	v_add_u32_e32 v5, s33, v15
	s_addc_u32 s15, s21, s15
	global_store_dword v2, v5, s[14:15]
	s_and_saveexec_b64 s[14:15], s[28:29]
	s_cbranch_execz .LBB117_18
; %bb.17:                               ;   in Loop: Header=BB117_7 Depth=1
	ds_read_b64 v[16:17], v8
	s_mul_i32 s27, s17, s27
	s_mul_hi_u32 s30, s17, s26
	s_add_i32 s27, s30, s27
	s_mul_i32 s30, s37, s26
	s_add_i32 s31, s27, s30
	s_mul_i32 s30, s17, s26
	v_lshl_add_u64 v[18:19], s[30:31], 3, v[0:1]
	s_waitcnt lgkmcnt(0)
	global_store_dwordx2 v[18:19], v[16:17], off
.LBB117_18:                             ;   in Loop: Header=BB117_7 Depth=1
	s_or_b64 exec, exec, s[14:15]
	s_mov_b32 s27, 1
.LBB117_19:                             ;   in Loop: Header=BB117_7 Depth=1
	s_waitcnt lgkmcnt(0)
	s_barrier
	ds_write_b32 v12, v14
	s_waitcnt lgkmcnt(0)
	s_barrier
	s_and_saveexec_b64 s[14:15], s[0:1]
	s_cbranch_execz .LBB117_21
; %bb.20:                               ;   in Loop: Header=BB117_7 Depth=1
	ds_read2st64_b32 v[14:15], v12 offset1:1
	s_waitcnt lgkmcnt(0)
	v_min_i32_e32 v5, v15, v14
	ds_write_b32 v12, v5
.LBB117_21:                             ;   in Loop: Header=BB117_7 Depth=1
	s_or_b64 exec, exec, s[14:15]
	s_waitcnt lgkmcnt(0)
	s_barrier
	s_and_saveexec_b64 s[14:15], s[2:3]
	s_cbranch_execz .LBB117_23
; %bb.22:                               ;   in Loop: Header=BB117_7 Depth=1
	ds_read2_b32 v[14:15], v12 offset1:32
	s_waitcnt lgkmcnt(0)
	v_min_i32_e32 v5, v15, v14
	ds_write_b32 v12, v5
.LBB117_23:                             ;   in Loop: Header=BB117_7 Depth=1
	s_or_b64 exec, exec, s[14:15]
	s_waitcnt lgkmcnt(0)
	s_barrier
	s_and_saveexec_b64 s[14:15], s[4:5]
	s_cbranch_execz .LBB117_25
; %bb.24:                               ;   in Loop: Header=BB117_7 Depth=1
	ds_read2_b32 v[14:15], v12 offset1:16
	s_waitcnt lgkmcnt(0)
	v_min_i32_e32 v5, v15, v14
	ds_write_b32 v12, v5
.LBB117_25:                             ;   in Loop: Header=BB117_7 Depth=1
	;; [unrolled: 11-line block ×5, first 2 shown]
	s_or_b64 exec, exec, s[14:15]
	s_waitcnt lgkmcnt(0)
	s_barrier
	s_and_saveexec_b64 s[14:15], s[12:13]
	s_cbranch_execz .LBB117_6
; %bb.32:                               ;   in Loop: Header=BB117_7 Depth=1
	ds_read_b64 v[14:15], v2
	s_waitcnt lgkmcnt(0)
	v_min_i32_e32 v5, v15, v14
	ds_write_b32 v2, v5
	s_branch .LBB117_6
.LBB117_33:
	s_endpgm
	.section	.rodata,"a",@progbits
	.p2align	6, 0x0
	.amdhsa_kernel _ZN9rocsparseL40csr2gebsr_block_per_row_multipass_kernelILj128ELj64ELj2EdEEv20rocsparse_direction_iiiiii21rocsparse_index_base_PKT2_PKiS7_S2_PS3_PiS9_
		.amdhsa_group_segment_fixed_size 1032
		.amdhsa_private_segment_fixed_size 0
		.amdhsa_kernarg_size 88
		.amdhsa_user_sgpr_count 2
		.amdhsa_user_sgpr_dispatch_ptr 0
		.amdhsa_user_sgpr_queue_ptr 0
		.amdhsa_user_sgpr_kernarg_segment_ptr 1
		.amdhsa_user_sgpr_dispatch_id 0
		.amdhsa_user_sgpr_kernarg_preload_length 0
		.amdhsa_user_sgpr_kernarg_preload_offset 0
		.amdhsa_user_sgpr_private_segment_size 0
		.amdhsa_uses_dynamic_stack 0
		.amdhsa_enable_private_segment 0
		.amdhsa_system_sgpr_workgroup_id_x 1
		.amdhsa_system_sgpr_workgroup_id_y 0
		.amdhsa_system_sgpr_workgroup_id_z 0
		.amdhsa_system_sgpr_workgroup_info 0
		.amdhsa_system_vgpr_workitem_id 0
		.amdhsa_next_free_vgpr 24
		.amdhsa_next_free_sgpr 42
		.amdhsa_accum_offset 24
		.amdhsa_reserve_vcc 1
		.amdhsa_float_round_mode_32 0
		.amdhsa_float_round_mode_16_64 0
		.amdhsa_float_denorm_mode_32 3
		.amdhsa_float_denorm_mode_16_64 3
		.amdhsa_dx10_clamp 1
		.amdhsa_ieee_mode 1
		.amdhsa_fp16_overflow 0
		.amdhsa_tg_split 0
		.amdhsa_exception_fp_ieee_invalid_op 0
		.amdhsa_exception_fp_denorm_src 0
		.amdhsa_exception_fp_ieee_div_zero 0
		.amdhsa_exception_fp_ieee_overflow 0
		.amdhsa_exception_fp_ieee_underflow 0
		.amdhsa_exception_fp_ieee_inexact 0
		.amdhsa_exception_int_div_zero 0
	.end_amdhsa_kernel
	.section	.text._ZN9rocsparseL40csr2gebsr_block_per_row_multipass_kernelILj128ELj64ELj2EdEEv20rocsparse_direction_iiiiii21rocsparse_index_base_PKT2_PKiS7_S2_PS3_PiS9_,"axG",@progbits,_ZN9rocsparseL40csr2gebsr_block_per_row_multipass_kernelILj128ELj64ELj2EdEEv20rocsparse_direction_iiiiii21rocsparse_index_base_PKT2_PKiS7_S2_PS3_PiS9_,comdat
.Lfunc_end117:
	.size	_ZN9rocsparseL40csr2gebsr_block_per_row_multipass_kernelILj128ELj64ELj2EdEEv20rocsparse_direction_iiiiii21rocsparse_index_base_PKT2_PKiS7_S2_PS3_PiS9_, .Lfunc_end117-_ZN9rocsparseL40csr2gebsr_block_per_row_multipass_kernelILj128ELj64ELj2EdEEv20rocsparse_direction_iiiiii21rocsparse_index_base_PKT2_PKiS7_S2_PS3_PiS9_
                                        ; -- End function
	.section	.AMDGPU.csdata,"",@progbits
; Kernel info:
; codeLenInByte = 1396
; NumSgprs: 48
; NumVgprs: 24
; NumAgprs: 0
; TotalNumVgprs: 24
; ScratchSize: 0
; MemoryBound: 0
; FloatMode: 240
; IeeeMode: 1
; LDSByteSize: 1032 bytes/workgroup (compile time only)
; SGPRBlocks: 5
; VGPRBlocks: 2
; NumSGPRsForWavesPerEU: 48
; NumVGPRsForWavesPerEU: 24
; AccumOffset: 24
; Occupancy: 8
; WaveLimiterHint : 0
; COMPUTE_PGM_RSRC2:SCRATCH_EN: 0
; COMPUTE_PGM_RSRC2:USER_SGPR: 2
; COMPUTE_PGM_RSRC2:TRAP_HANDLER: 0
; COMPUTE_PGM_RSRC2:TGID_X_EN: 1
; COMPUTE_PGM_RSRC2:TGID_Y_EN: 0
; COMPUTE_PGM_RSRC2:TGID_Z_EN: 0
; COMPUTE_PGM_RSRC2:TIDIG_COMP_CNT: 0
; COMPUTE_PGM_RSRC3_GFX90A:ACCUM_OFFSET: 5
; COMPUTE_PGM_RSRC3_GFX90A:TG_SPLIT: 0
	.section	.text._ZN9rocsparseL40csr2gebsr_block_per_row_multipass_kernelILj256ELj64ELj4EdEEv20rocsparse_direction_iiiiii21rocsparse_index_base_PKT2_PKiS7_S2_PS3_PiS9_,"axG",@progbits,_ZN9rocsparseL40csr2gebsr_block_per_row_multipass_kernelILj256ELj64ELj4EdEEv20rocsparse_direction_iiiiii21rocsparse_index_base_PKT2_PKiS7_S2_PS3_PiS9_,comdat
	.globl	_ZN9rocsparseL40csr2gebsr_block_per_row_multipass_kernelILj256ELj64ELj4EdEEv20rocsparse_direction_iiiiii21rocsparse_index_base_PKT2_PKiS7_S2_PS3_PiS9_ ; -- Begin function _ZN9rocsparseL40csr2gebsr_block_per_row_multipass_kernelILj256ELj64ELj4EdEEv20rocsparse_direction_iiiiii21rocsparse_index_base_PKT2_PKiS7_S2_PS3_PiS9_
	.p2align	8
	.type	_ZN9rocsparseL40csr2gebsr_block_per_row_multipass_kernelILj256ELj64ELj4EdEEv20rocsparse_direction_iiiiii21rocsparse_index_base_PKT2_PKiS7_S2_PS3_PiS9_,@function
_ZN9rocsparseL40csr2gebsr_block_per_row_multipass_kernelILj256ELj64ELj4EdEEv20rocsparse_direction_iiiiii21rocsparse_index_base_PKT2_PKiS7_S2_PS3_PiS9_: ; @_ZN9rocsparseL40csr2gebsr_block_per_row_multipass_kernelILj256ELj64ELj4EdEEv20rocsparse_direction_iiiiii21rocsparse_index_base_PKT2_PKiS7_S2_PS3_PiS9_
; %bb.0:
	s_load_dwordx4 s[20:23], s[0:1], 0x10
	s_load_dwordx2 s[8:9], s[0:1], 0x0
	s_load_dwordx2 s[6:7], s[0:1], 0x28
	v_lshrrev_b32_e32 v1, 2, v0
	v_mov_b32_e32 v6, 0
	s_waitcnt lgkmcnt(0)
	s_mul_i32 s3, s2, s21
	v_add_u32_e32 v2, s3, v1
	v_cmp_gt_i32_e64 s[4:5], s9, v2
	v_cmp_gt_i32_e32 vcc, s21, v1
	s_and_b64 s[4:5], vcc, s[4:5]
	v_mov_b32_e32 v4, 0
	s_and_saveexec_b64 s[10:11], s[4:5]
	s_cbranch_execnz .LBB118_3
; %bb.1:
	s_or_b64 exec, exec, s[10:11]
	s_and_saveexec_b64 s[10:11], s[4:5]
	s_cbranch_execnz .LBB118_4
.LBB118_2:
	s_or_b64 exec, exec, s[10:11]
	s_cmp_lt_i32 s20, 1
	s_cbranch_scc0 .LBB118_5
	s_branch .LBB118_35
.LBB118_3:
	v_ashrrev_i32_e32 v3, 31, v2
	v_lshl_add_u64 v[4:5], v[2:3], 2, s[6:7]
	global_load_dword v3, v[4:5], off
	s_waitcnt vmcnt(0)
	v_subrev_u32_e32 v4, s23, v3
	s_or_b64 exec, exec, s[10:11]
	s_and_saveexec_b64 s[10:11], s[4:5]
	s_cbranch_execz .LBB118_2
.LBB118_4:
	v_ashrrev_i32_e32 v3, 31, v2
	v_lshl_add_u64 v[2:3], v[2:3], 2, s[6:7]
	global_load_dword v2, v[2:3], off offset:4
	s_waitcnt vmcnt(0)
	v_subrev_u32_e32 v6, s23, v2
	s_or_b64 exec, exec, s[10:11]
	s_cmp_lt_i32 s20, 1
	s_cbranch_scc1 .LBB118_35
.LBB118_5:
	s_load_dwordx4 s[4:7], s[0:1], 0x40
	s_load_dwordx2 s[18:19], s[0:1], 0x50
	s_load_dword s33, s[0:1], 0x38
	s_ashr_i32 s3, s2, 31
	s_lshl_b64 s[2:3], s[2:3], 2
	s_waitcnt lgkmcnt(0)
	s_add_u32 s2, s6, s2
	s_addc_u32 s3, s7, s3
	s_load_dword s6, s[2:3], 0x0
	s_load_dwordx2 s[24:25], s[0:1], 0x20
	s_load_dwordx2 s[26:27], s[0:1], 0x30
	v_and_b32_e32 v7, 3, v0
	v_mov_b32_e32 v2, 0
	v_cmp_gt_u32_e64 s[0:1], s22, v7
	s_waitcnt lgkmcnt(0)
	s_sub_i32 s28, s6, s33
	s_and_b64 s[30:31], vcc, s[0:1]
	v_mul_lo_u32 v12, v7, s21
	v_mov_b32_e32 v13, v2
	s_cmp_eq_u32 s8, 0
	v_lshl_add_u64 v[12:13], v[12:13], 3, s[4:5]
	v_lshlrev_b32_e32 v14, 3, v1
	v_mov_b32_e32 v15, v2
	v_lshl_add_u64 v[12:13], v[12:13], 0, v[14:15]
	v_mul_lo_u32 v14, v1, s22
	s_cselect_b64 vcc, -1, 0
	v_lshlrev_b32_e32 v1, 2, v0
	s_abs_i32 s40, s22
	v_sub_u32_e32 v5, 0, v1
	v_cvt_f32_u32_e32 v1, s40
	s_ashr_i32 s38, s22, 31
	s_mul_hi_u32 s0, s22, s21
	s_mul_i32 s1, s38, s21
	v_rcp_iflag_f32_e32 v1, v1
	v_mbcnt_lo_u32_b32 v3, -1, 0
	v_ashrrev_i32_e32 v15, 31, v14
	s_add_i32 s39, s0, s1
	s_movk_i32 s0, 0x80
	v_lshlrev_b32_e32 v8, 3, v0
	v_and_b32_e32 v9, 0xfc, v0
	v_mbcnt_hi_u32_b32 v3, -1, v3
	v_lshl_add_u64 v[14:15], v[14:15], 3, s[4:5]
	v_cmp_gt_u32_e64 s[0:1], s0, v0
	v_cmp_gt_u32_e64 s[2:3], 64, v0
	;; [unrolled: 1-line block ×7, first 2 shown]
	v_cmp_eq_u32_e64 s[14:15], 0, v0
	v_mul_f32_e32 v0, 0x4f7ffffe, v1
	v_lshl_or_b32 v10, v3, 2, 12
	v_cvt_u32_f32_e32 v3, v0
	s_sub_i32 s16, 0, s40
	v_lshlrev_b32_e32 v16, 3, v7
	v_mov_b32_e32 v17, v2
	v_mul_lo_u32 v11, s16, v3
	v_lshl_add_u64 v[14:15], v[14:15], 0, v[16:17]
	v_mul_hi_u32 v11, v3, v11
	s_mul_i32 s21, s22, s21
	v_cndmask_b32_e32 v1, v13, v15, vcc
	v_cndmask_b32_e32 v0, v12, v14, vcc
	v_add_u32_e32 v11, v3, v11
	v_mov_b32_e32 v3, v2
	v_add_u32_e32 v12, v8, v5
	v_mov_b32_e32 v13, 1
	v_mov_b32_e32 v15, v2
	s_branch .LBB118_7
.LBB118_6:                              ;   in Loop: Header=BB118_7 Depth=1
	s_or_b64 exec, exec, s[16:17]
	s_waitcnt lgkmcnt(0)
	s_barrier
	ds_read_b32 v15, v2
	s_add_i32 s28, s29, s28
	s_waitcnt lgkmcnt(0)
	s_barrier
	v_cmp_gt_i32_e32 vcc, s20, v15
	s_cbranch_vccz .LBB118_35
.LBB118_7:                              ; =>This Loop Header: Depth=1
                                        ;     Child Loop BB118_10 Depth 2
	v_add_u32_e32 v4, v4, v7
	v_cmp_lt_i32_e32 vcc, v4, v6
	v_mov_b32_e32 v14, s20
	v_mov_b32_e32 v17, v6
	ds_write_b8 v2, v2 offset:2048
	ds_write_b64 v8, v[2:3]
	s_waitcnt lgkmcnt(0)
	s_barrier
	s_and_saveexec_b64 s[34:35], vcc
	s_cbranch_execz .LBB118_15
; %bb.8:                                ;   in Loop: Header=BB118_7 Depth=1
	v_mul_lo_u32 v16, v15, s22
	s_mov_b64 s[36:37], 0
	v_mov_b32_e32 v14, s20
	v_mov_b32_e32 v17, v6
	s_branch .LBB118_10
.LBB118_9:                              ;   in Loop: Header=BB118_10 Depth=2
	s_or_b64 exec, exec, s[16:17]
	v_add_u32_e32 v4, 4, v4
	v_cmp_ge_i32_e64 s[16:17], v4, v6
	s_xor_b64 s[42:43], vcc, -1
	s_or_b64 s[16:17], s[42:43], s[16:17]
	s_and_b64 s[16:17], exec, s[16:17]
	s_or_b64 s[36:37], s[16:17], s[36:37]
	s_andn2_b64 exec, exec, s[36:37]
	s_cbranch_execz .LBB118_14
.LBB118_10:                             ;   Parent Loop BB118_7 Depth=1
                                        ; =>  This Inner Loop Header: Depth=2
	v_ashrrev_i32_e32 v5, 31, v4
	v_lshl_add_u64 v[18:19], v[4:5], 2, s[26:27]
	global_load_dword v18, v[18:19], off
	s_waitcnt vmcnt(0)
	v_subrev_u32_e32 v18, s23, v18
	v_sub_u32_e32 v20, 0, v18
	v_max_i32_e32 v20, v18, v20
	v_mul_hi_u32 v21, v20, v11
	v_mul_lo_u32 v22, v21, s40
	v_sub_u32_e32 v20, v20, v22
	v_add_u32_e32 v23, 1, v21
	v_cmp_le_u32_e32 vcc, s40, v20
	v_subrev_u32_e32 v22, s40, v20
	v_ashrrev_i32_e32 v19, 31, v18
	v_cndmask_b32_e32 v21, v21, v23, vcc
	v_cndmask_b32_e32 v20, v20, v22, vcc
	v_add_u32_e32 v22, 1, v21
	v_cmp_le_u32_e32 vcc, s40, v20
	v_xor_b32_e32 v19, s38, v19
	s_nop 0
	v_cndmask_b32_e32 v20, v21, v22, vcc
	v_xor_b32_e32 v20, v20, v19
	v_sub_u32_e32 v20, v20, v19
	v_cmp_eq_u32_e32 vcc, v20, v15
	v_cmp_ne_u32_e64 s[16:17], v20, v15
	v_mov_b32_e32 v19, v17
	s_and_saveexec_b64 s[42:43], s[16:17]
	s_xor_b64 s[16:17], exec, s[42:43]
; %bb.11:                               ;   in Loop: Header=BB118_10 Depth=2
	v_min_i32_e32 v14, v20, v14
                                        ; implicit-def: $vgpr18
                                        ; implicit-def: $vgpr19
; %bb.12:                               ;   in Loop: Header=BB118_10 Depth=2
	s_or_saveexec_b64 s[16:17], s[16:17]
	v_mov_b32_e32 v17, v4
	s_xor_b64 exec, exec, s[16:17]
	s_cbranch_execz .LBB118_9
; %bb.13:                               ;   in Loop: Header=BB118_10 Depth=2
	v_lshl_add_u64 v[20:21], v[4:5], 3, s[24:25]
	global_load_dwordx2 v[20:21], v[20:21], off
	v_sub_u32_e32 v5, v18, v16
	v_add_lshl_u32 v5, v5, v9, 3
	v_mov_b32_e32 v17, v19
	ds_write_b8 v2, v13 offset:2048
	s_waitcnt vmcnt(0)
	ds_write_b64 v5, v[20:21]
	s_branch .LBB118_9
.LBB118_14:                             ;   in Loop: Header=BB118_7 Depth=1
	s_or_b64 exec, exec, s[36:37]
.LBB118_15:                             ;   in Loop: Header=BB118_7 Depth=1
	s_or_b64 exec, exec, s[34:35]
	v_mov_b32_dpp v4, v17 row_shr:1 row_mask:0xf bank_mask:0xf
	v_min_i32_e32 v4, v4, v17
	s_waitcnt lgkmcnt(0)
	s_barrier
	ds_read_u8 v5, v2 offset:2048
	v_mov_b32_dpp v16, v4 row_shr:2 row_mask:0xf bank_mask:0xf
	v_min_i32_e32 v4, v16, v4
	ds_bpermute_b32 v4, v10, v4
	s_mov_b32 s29, 0
	s_waitcnt lgkmcnt(1)
	v_cmp_eq_u32_e32 vcc, 0, v5
	s_cbranch_vccnz .LBB118_19
; %bb.16:                               ;   in Loop: Header=BB118_7 Depth=1
	s_ashr_i32 s29, s28, 31
	s_lshl_b64 s[16:17], s[28:29], 2
	s_add_u32 s16, s18, s16
	v_add_u32_e32 v5, s33, v15
	s_addc_u32 s17, s19, s17
	global_store_dword v2, v5, s[16:17]
	s_and_saveexec_b64 s[16:17], s[30:31]
	s_cbranch_execz .LBB118_18
; %bb.17:                               ;   in Loop: Header=BB118_7 Depth=1
	ds_read_b64 v[16:17], v8
	s_mul_i32 s29, s21, s29
	s_mul_hi_u32 s34, s21, s28
	s_add_i32 s29, s34, s29
	s_mul_i32 s34, s39, s28
	s_add_i32 s35, s29, s34
	s_mul_i32 s34, s21, s28
	v_lshl_add_u64 v[18:19], s[34:35], 3, v[0:1]
	s_waitcnt lgkmcnt(0)
	global_store_dwordx2 v[18:19], v[16:17], off
.LBB118_18:                             ;   in Loop: Header=BB118_7 Depth=1
	s_or_b64 exec, exec, s[16:17]
	s_mov_b32 s29, 1
.LBB118_19:                             ;   in Loop: Header=BB118_7 Depth=1
	s_waitcnt lgkmcnt(0)
	s_barrier
	ds_write_b32 v12, v14
	s_waitcnt lgkmcnt(0)
	s_barrier
	s_and_saveexec_b64 s[16:17], s[0:1]
	s_cbranch_execz .LBB118_21
; %bb.20:                               ;   in Loop: Header=BB118_7 Depth=1
	ds_read2st64_b32 v[14:15], v12 offset1:2
	s_waitcnt lgkmcnt(0)
	v_min_i32_e32 v5, v15, v14
	ds_write_b32 v12, v5
.LBB118_21:                             ;   in Loop: Header=BB118_7 Depth=1
	s_or_b64 exec, exec, s[16:17]
	s_waitcnt lgkmcnt(0)
	s_barrier
	s_and_saveexec_b64 s[16:17], s[2:3]
	s_cbranch_execz .LBB118_23
; %bb.22:                               ;   in Loop: Header=BB118_7 Depth=1
	ds_read2st64_b32 v[14:15], v12 offset1:1
	s_waitcnt lgkmcnt(0)
	v_min_i32_e32 v5, v15, v14
	ds_write_b32 v12, v5
.LBB118_23:                             ;   in Loop: Header=BB118_7 Depth=1
	s_or_b64 exec, exec, s[16:17]
	s_waitcnt lgkmcnt(0)
	s_barrier
	s_and_saveexec_b64 s[16:17], s[4:5]
	s_cbranch_execz .LBB118_25
; %bb.24:                               ;   in Loop: Header=BB118_7 Depth=1
	ds_read2_b32 v[14:15], v12 offset1:32
	s_waitcnt lgkmcnt(0)
	v_min_i32_e32 v5, v15, v14
	ds_write_b32 v12, v5
.LBB118_25:                             ;   in Loop: Header=BB118_7 Depth=1
	s_or_b64 exec, exec, s[16:17]
	s_waitcnt lgkmcnt(0)
	s_barrier
	s_and_saveexec_b64 s[16:17], s[6:7]
	s_cbranch_execz .LBB118_27
; %bb.26:                               ;   in Loop: Header=BB118_7 Depth=1
	ds_read2_b32 v[14:15], v12 offset1:16
	s_waitcnt lgkmcnt(0)
	v_min_i32_e32 v5, v15, v14
	ds_write_b32 v12, v5
.LBB118_27:                             ;   in Loop: Header=BB118_7 Depth=1
	;; [unrolled: 11-line block ×5, first 2 shown]
	s_or_b64 exec, exec, s[16:17]
	s_waitcnt lgkmcnt(0)
	s_barrier
	s_and_saveexec_b64 s[16:17], s[14:15]
	s_cbranch_execz .LBB118_6
; %bb.34:                               ;   in Loop: Header=BB118_7 Depth=1
	ds_read_b64 v[14:15], v2
	s_waitcnt lgkmcnt(0)
	v_min_i32_e32 v5, v15, v14
	ds_write_b32 v2, v5
	s_branch .LBB118_6
.LBB118_35:
	s_endpgm
	.section	.rodata,"a",@progbits
	.p2align	6, 0x0
	.amdhsa_kernel _ZN9rocsparseL40csr2gebsr_block_per_row_multipass_kernelILj256ELj64ELj4EdEEv20rocsparse_direction_iiiiii21rocsparse_index_base_PKT2_PKiS7_S2_PS3_PiS9_
		.amdhsa_group_segment_fixed_size 2056
		.amdhsa_private_segment_fixed_size 0
		.amdhsa_kernarg_size 88
		.amdhsa_user_sgpr_count 2
		.amdhsa_user_sgpr_dispatch_ptr 0
		.amdhsa_user_sgpr_queue_ptr 0
		.amdhsa_user_sgpr_kernarg_segment_ptr 1
		.amdhsa_user_sgpr_dispatch_id 0
		.amdhsa_user_sgpr_kernarg_preload_length 0
		.amdhsa_user_sgpr_kernarg_preload_offset 0
		.amdhsa_user_sgpr_private_segment_size 0
		.amdhsa_uses_dynamic_stack 0
		.amdhsa_enable_private_segment 0
		.amdhsa_system_sgpr_workgroup_id_x 1
		.amdhsa_system_sgpr_workgroup_id_y 0
		.amdhsa_system_sgpr_workgroup_id_z 0
		.amdhsa_system_sgpr_workgroup_info 0
		.amdhsa_system_vgpr_workitem_id 0
		.amdhsa_next_free_vgpr 24
		.amdhsa_next_free_sgpr 44
		.amdhsa_accum_offset 24
		.amdhsa_reserve_vcc 1
		.amdhsa_float_round_mode_32 0
		.amdhsa_float_round_mode_16_64 0
		.amdhsa_float_denorm_mode_32 3
		.amdhsa_float_denorm_mode_16_64 3
		.amdhsa_dx10_clamp 1
		.amdhsa_ieee_mode 1
		.amdhsa_fp16_overflow 0
		.amdhsa_tg_split 0
		.amdhsa_exception_fp_ieee_invalid_op 0
		.amdhsa_exception_fp_denorm_src 0
		.amdhsa_exception_fp_ieee_div_zero 0
		.amdhsa_exception_fp_ieee_overflow 0
		.amdhsa_exception_fp_ieee_underflow 0
		.amdhsa_exception_fp_ieee_inexact 0
		.amdhsa_exception_int_div_zero 0
	.end_amdhsa_kernel
	.section	.text._ZN9rocsparseL40csr2gebsr_block_per_row_multipass_kernelILj256ELj64ELj4EdEEv20rocsparse_direction_iiiiii21rocsparse_index_base_PKT2_PKiS7_S2_PS3_PiS9_,"axG",@progbits,_ZN9rocsparseL40csr2gebsr_block_per_row_multipass_kernelILj256ELj64ELj4EdEEv20rocsparse_direction_iiiiii21rocsparse_index_base_PKT2_PKiS7_S2_PS3_PiS9_,comdat
.Lfunc_end118:
	.size	_ZN9rocsparseL40csr2gebsr_block_per_row_multipass_kernelILj256ELj64ELj4EdEEv20rocsparse_direction_iiiiii21rocsparse_index_base_PKT2_PKiS7_S2_PS3_PiS9_, .Lfunc_end118-_ZN9rocsparseL40csr2gebsr_block_per_row_multipass_kernelILj256ELj64ELj4EdEEv20rocsparse_direction_iiiiii21rocsparse_index_base_PKT2_PKiS7_S2_PS3_PiS9_
                                        ; -- End function
	.section	.AMDGPU.csdata,"",@progbits
; Kernel info:
; codeLenInByte = 1464
; NumSgprs: 50
; NumVgprs: 24
; NumAgprs: 0
; TotalNumVgprs: 24
; ScratchSize: 0
; MemoryBound: 0
; FloatMode: 240
; IeeeMode: 1
; LDSByteSize: 2056 bytes/workgroup (compile time only)
; SGPRBlocks: 6
; VGPRBlocks: 2
; NumSGPRsForWavesPerEU: 50
; NumVGPRsForWavesPerEU: 24
; AccumOffset: 24
; Occupancy: 8
; WaveLimiterHint : 0
; COMPUTE_PGM_RSRC2:SCRATCH_EN: 0
; COMPUTE_PGM_RSRC2:USER_SGPR: 2
; COMPUTE_PGM_RSRC2:TRAP_HANDLER: 0
; COMPUTE_PGM_RSRC2:TGID_X_EN: 1
; COMPUTE_PGM_RSRC2:TGID_Y_EN: 0
; COMPUTE_PGM_RSRC2:TGID_Z_EN: 0
; COMPUTE_PGM_RSRC2:TIDIG_COMP_CNT: 0
; COMPUTE_PGM_RSRC3_GFX90A:ACCUM_OFFSET: 5
; COMPUTE_PGM_RSRC3_GFX90A:TG_SPLIT: 0
	.section	.text._ZN9rocsparseL40csr2gebsr_block_per_row_multipass_kernelILj256ELj64ELj8EdEEv20rocsparse_direction_iiiiii21rocsparse_index_base_PKT2_PKiS7_S2_PS3_PiS9_,"axG",@progbits,_ZN9rocsparseL40csr2gebsr_block_per_row_multipass_kernelILj256ELj64ELj8EdEEv20rocsparse_direction_iiiiii21rocsparse_index_base_PKT2_PKiS7_S2_PS3_PiS9_,comdat
	.globl	_ZN9rocsparseL40csr2gebsr_block_per_row_multipass_kernelILj256ELj64ELj8EdEEv20rocsparse_direction_iiiiii21rocsparse_index_base_PKT2_PKiS7_S2_PS3_PiS9_ ; -- Begin function _ZN9rocsparseL40csr2gebsr_block_per_row_multipass_kernelILj256ELj64ELj8EdEEv20rocsparse_direction_iiiiii21rocsparse_index_base_PKT2_PKiS7_S2_PS3_PiS9_
	.p2align	8
	.type	_ZN9rocsparseL40csr2gebsr_block_per_row_multipass_kernelILj256ELj64ELj8EdEEv20rocsparse_direction_iiiiii21rocsparse_index_base_PKT2_PKiS7_S2_PS3_PiS9_,@function
_ZN9rocsparseL40csr2gebsr_block_per_row_multipass_kernelILj256ELj64ELj8EdEEv20rocsparse_direction_iiiiii21rocsparse_index_base_PKT2_PKiS7_S2_PS3_PiS9_: ; @_ZN9rocsparseL40csr2gebsr_block_per_row_multipass_kernelILj256ELj64ELj8EdEEv20rocsparse_direction_iiiiii21rocsparse_index_base_PKT2_PKiS7_S2_PS3_PiS9_
; %bb.0:
	s_load_dwordx4 s[20:23], s[0:1], 0x10
	s_load_dwordx2 s[6:7], s[0:1], 0x0
	s_load_dwordx2 s[8:9], s[0:1], 0x28
	v_lshrrev_b32_e32 v1, 2, v0
	v_mov_b32_e32 v16, 0
	s_waitcnt lgkmcnt(0)
	s_mul_i32 s3, s2, s21
	v_add_u32_e32 v2, s3, v1
	v_cmp_gt_i32_e64 s[4:5], s7, v2
	v_cmp_gt_i32_e32 vcc, s21, v1
	s_and_b64 s[4:5], vcc, s[4:5]
	v_mov_b32_e32 v23, 0
	s_and_saveexec_b64 s[10:11], s[4:5]
	s_cbranch_execnz .LBB119_3
; %bb.1:
	s_or_b64 exec, exec, s[10:11]
	s_and_saveexec_b64 s[10:11], s[4:5]
	s_cbranch_execnz .LBB119_4
.LBB119_2:
	s_or_b64 exec, exec, s[10:11]
	s_cmp_lt_i32 s20, 1
	s_cbranch_scc0 .LBB119_5
	s_branch .LBB119_37
.LBB119_3:
	v_ashrrev_i32_e32 v3, 31, v2
	v_lshl_add_u64 v[4:5], v[2:3], 2, s[8:9]
	global_load_dword v3, v[4:5], off
	s_waitcnt vmcnt(0)
	v_subrev_u32_e32 v23, s23, v3
	s_or_b64 exec, exec, s[10:11]
	s_and_saveexec_b64 s[10:11], s[4:5]
	s_cbranch_execz .LBB119_2
.LBB119_4:
	v_ashrrev_i32_e32 v3, 31, v2
	v_lshl_add_u64 v[2:3], v[2:3], 2, s[8:9]
	global_load_dword v2, v[2:3], off offset:4
	s_waitcnt vmcnt(0)
	v_subrev_u32_e32 v16, s23, v2
	s_or_b64 exec, exec, s[10:11]
	s_cmp_lt_i32 s20, 1
	s_cbranch_scc1 .LBB119_37
.LBB119_5:
	s_load_dwordx4 s[8:11], s[0:1], 0x40
	s_load_dwordx2 s[24:25], s[0:1], 0x50
	s_load_dword s33, s[0:1], 0x38
	s_ashr_i32 s3, s2, 31
	s_lshl_b64 s[2:3], s[2:3], 2
	s_waitcnt lgkmcnt(0)
	s_add_u32 s2, s10, s2
	s_addc_u32 s3, s11, s3
	s_load_dword s4, s[2:3], 0x0
	s_load_dwordx2 s[26:27], s[0:1], 0x20
	s_load_dwordx2 s[28:29], s[0:1], 0x30
	v_mbcnt_lo_u32_b32 v3, -1, 0
	v_mbcnt_hi_u32_b32 v3, -1, v3
	s_waitcnt lgkmcnt(0)
	s_sub_i32 s30, s4, s33
	s_cmp_eq_u32 s6, 0
	s_cselect_b64 s[0:1], -1, 0
	s_ashr_i32 s42, s22, 31
	s_mul_hi_u32 s2, s22, s21
	s_mul_i32 s3, s42, s21
	v_mov_b32_e32 v5, 0
	v_mul_lo_u32 v8, v1, s22
	v_and_b32_e32 v17, 3, v0
	v_lshlrev_b32_e32 v2, 3, v1
	v_lshl_or_b32 v19, v3, 2, 12
	s_add_i32 s43, s2, s3
	v_mov_b32_e32 v3, v5
	v_ashrrev_i32_e32 v9, 31, v8
	s_movk_i32 s2, 0x80
	v_lshl_add_u64 v[6:7], s[8:9], 0, v[2:3]
	v_lshl_add_u64 v[8:9], v[8:9], 3, s[8:9]
	v_lshlrev_b32_e32 v3, 2, v0
	v_cmp_gt_u32_e64 s[2:3], s2, v0
	v_cmp_gt_u32_e64 s[4:5], 64, v0
	;; [unrolled: 1-line block ×7, first 2 shown]
	v_cmp_eq_u32_e64 s[16:17], 0, v0
	v_or_b32_e32 v0, v2, v17
	s_abs_i32 s45, s22
	v_lshlrev_b32_e32 v20, 3, v0
	v_cvt_f32_u32_e32 v0, s45
	v_cmp_gt_u32_e64 s[18:19], s22, v17
	v_or_b32_e32 v1, 4, v17
	s_and_b64 s[34:35], vcc, s[18:19]
	v_rcp_iflag_f32_e32 v0, v0
	v_cmp_gt_u32_e64 s[18:19], s22, v1
	s_and_b64 s[36:37], vcc, s[18:19]
	s_sub_i32 s18, 0, s45
	v_mul_f32_e32 v0, 0x4f7ffffe, v0
	v_cvt_u32_f32_e32 v10, v0
	s_mov_b32 s38, 0
	v_lshlrev_b32_e32 v4, 3, v17
	v_lshl_add_u64 v[8:9], v[8:9], 0, v[4:5]
	v_mul_lo_u32 v11, s18, v10
	v_mul_lo_u32 v4, v17, s21
	v_mul_hi_u32 v11, v10, v11
	s_mov_b32 s39, s38
	v_mov_b32_e32 v18, 0
	s_mul_i32 s44, s22, s21
	v_lshl_add_u32 v0, s21, 2, v4
	v_mov_b32_e32 v1, v5
	v_add_u32_e32 v21, v10, v11
	v_mov_b64_e32 v[10:11], s[38:39]
	v_mov_b32_e32 v22, 1
	v_mov_b32_e32 v14, 0
	s_branch .LBB119_7
.LBB119_6:                              ;   in Loop: Header=BB119_7 Depth=1
	s_or_b64 exec, exec, s[18:19]
	s_waitcnt lgkmcnt(0)
	s_barrier
	ds_read_b32 v14, v5
	s_add_i32 s30, s21, s30
	s_waitcnt lgkmcnt(0)
	s_barrier
	v_cmp_gt_i32_e32 vcc, s20, v14
	s_cbranch_vccz .LBB119_37
.LBB119_7:                              ; =>This Loop Header: Depth=1
                                        ;     Child Loop BB119_10 Depth 2
	v_add_u32_e32 v12, v23, v17
	v_cmp_lt_i32_e32 vcc, v12, v16
	v_mov_b32_e32 v24, s20
	v_mov_b32_e32 v23, v16
	ds_write_b8 v5, v18 offset:4096
	ds_write2_b64 v20, v[10:11], v[10:11] offset1:4
	s_waitcnt lgkmcnt(0)
	s_barrier
	s_and_saveexec_b64 s[38:39], vcc
	s_cbranch_execz .LBB119_15
; %bb.8:                                ;   in Loop: Header=BB119_7 Depth=1
	v_mul_lo_u32 v15, v14, s22
	s_mov_b64 s[40:41], 0
	v_mov_b32_e32 v24, s20
	v_mov_b32_e32 v23, v16
	s_branch .LBB119_10
.LBB119_9:                              ;   in Loop: Header=BB119_10 Depth=2
	s_or_b64 exec, exec, s[18:19]
	v_add_u32_e32 v12, 4, v12
	v_cmp_ge_i32_e64 s[18:19], v12, v16
	s_xor_b64 s[46:47], vcc, -1
	s_or_b64 s[18:19], s[46:47], s[18:19]
	s_and_b64 s[18:19], exec, s[18:19]
	s_or_b64 s[40:41], s[18:19], s[40:41]
	s_andn2_b64 exec, exec, s[40:41]
	s_cbranch_execz .LBB119_14
.LBB119_10:                             ;   Parent Loop BB119_7 Depth=1
                                        ; =>  This Inner Loop Header: Depth=2
	v_ashrrev_i32_e32 v13, 31, v12
	v_lshl_add_u64 v[26:27], v[12:13], 2, s[28:29]
	global_load_dword v25, v[26:27], off
	s_waitcnt vmcnt(0)
	v_subrev_u32_e32 v25, s23, v25
	v_sub_u32_e32 v27, 0, v25
	v_max_i32_e32 v27, v25, v27
	v_mul_hi_u32 v28, v27, v21
	v_mul_lo_u32 v29, v28, s45
	v_sub_u32_e32 v27, v27, v29
	v_add_u32_e32 v30, 1, v28
	v_cmp_le_u32_e32 vcc, s45, v27
	v_subrev_u32_e32 v29, s45, v27
	v_ashrrev_i32_e32 v26, 31, v25
	v_cndmask_b32_e32 v28, v28, v30, vcc
	v_cndmask_b32_e32 v27, v27, v29, vcc
	v_add_u32_e32 v29, 1, v28
	v_cmp_le_u32_e32 vcc, s45, v27
	v_xor_b32_e32 v26, s42, v26
	s_nop 0
	v_cndmask_b32_e32 v27, v28, v29, vcc
	v_xor_b32_e32 v27, v27, v26
	v_sub_u32_e32 v27, v27, v26
	v_cmp_eq_u32_e32 vcc, v27, v14
	v_cmp_ne_u32_e64 s[18:19], v27, v14
	v_mov_b32_e32 v26, v23
	s_and_saveexec_b64 s[46:47], s[18:19]
	s_xor_b64 s[18:19], exec, s[46:47]
; %bb.11:                               ;   in Loop: Header=BB119_10 Depth=2
	v_min_i32_e32 v24, v27, v24
                                        ; implicit-def: $vgpr25
                                        ; implicit-def: $vgpr26
; %bb.12:                               ;   in Loop: Header=BB119_10 Depth=2
	s_or_saveexec_b64 s[18:19], s[18:19]
	v_mov_b32_e32 v23, v12
	s_xor_b64 exec, exec, s[18:19]
	s_cbranch_execz .LBB119_9
; %bb.13:                               ;   in Loop: Header=BB119_10 Depth=2
	v_lshl_add_u64 v[28:29], v[12:13], 3, s[26:27]
	global_load_dwordx2 v[28:29], v[28:29], off
	v_sub_u32_e32 v13, v25, v15
	v_add_lshl_u32 v13, v13, v2, 3
	v_mov_b32_e32 v23, v26
	ds_write_b8 v5, v22 offset:4096
	s_waitcnt vmcnt(0)
	ds_write_b64 v13, v[28:29]
	s_branch .LBB119_9
.LBB119_14:                             ;   in Loop: Header=BB119_7 Depth=1
	s_or_b64 exec, exec, s[40:41]
.LBB119_15:                             ;   in Loop: Header=BB119_7 Depth=1
	s_or_b64 exec, exec, s[38:39]
	v_mov_b32_dpp v12, v23 row_shr:1 row_mask:0xf bank_mask:0xf
	v_min_i32_e32 v12, v12, v23
	s_waitcnt lgkmcnt(0)
	s_barrier
	ds_read_u8 v13, v5 offset:4096
	v_mov_b32_dpp v15, v12 row_shr:2 row_mask:0xf bank_mask:0xf
	v_min_i32_e32 v12, v15, v12
	ds_bpermute_b32 v23, v19, v12
	s_mov_b32 s21, 0
	s_waitcnt lgkmcnt(1)
	v_cmp_eq_u32_e32 vcc, 0, v13
	s_cbranch_vccnz .LBB119_21
; %bb.16:                               ;   in Loop: Header=BB119_7 Depth=1
	s_ashr_i32 s31, s30, 31
	s_lshl_b64 s[18:19], s[30:31], 2
	s_add_u32 s18, s24, s18
	v_add_u32_e32 v12, s33, v14
	s_addc_u32 s19, s25, s19
	global_store_dword v5, v12, s[18:19]
	s_mul_hi_u32 s18, s44, s30
	s_mul_i32 s19, s44, s31
	s_add_i32 s18, s18, s19
	s_mul_i32 s19, s43, s30
	s_add_i32 s19, s18, s19
	s_mul_i32 s18, s44, s30
	s_lshl_b64 s[18:19], s[18:19], 3
	v_lshl_add_u64 v[12:13], v[6:7], 0, s[18:19]
	v_lshl_add_u64 v[14:15], v[8:9], 0, s[18:19]
	s_and_saveexec_b64 s[18:19], s[34:35]
	s_cbranch_execz .LBB119_18
; %bb.17:                               ;   in Loop: Header=BB119_7 Depth=1
	ds_read_b64 v[26:27], v20
	v_lshl_add_u64 v[28:29], v[4:5], 3, v[12:13]
	v_cndmask_b32_e64 v29, v29, v15, s[0:1]
	v_cndmask_b32_e64 v28, v28, v14, s[0:1]
	s_waitcnt lgkmcnt(0)
	global_store_dwordx2 v[28:29], v[26:27], off
.LBB119_18:                             ;   in Loop: Header=BB119_7 Depth=1
	s_or_b64 exec, exec, s[18:19]
	s_and_saveexec_b64 s[18:19], s[36:37]
	s_cbranch_execz .LBB119_20
; %bb.19:                               ;   in Loop: Header=BB119_7 Depth=1
	ds_read_b64 v[26:27], v20 offset:32
	v_lshl_add_u64 v[14:15], v[14:15], 0, 32
	v_lshl_add_u64 v[12:13], v[0:1], 3, v[12:13]
	v_cndmask_b32_e64 v13, v13, v15, s[0:1]
	v_cndmask_b32_e64 v12, v12, v14, s[0:1]
	s_waitcnt lgkmcnt(0)
	global_store_dwordx2 v[12:13], v[26:27], off
.LBB119_20:                             ;   in Loop: Header=BB119_7 Depth=1
	s_or_b64 exec, exec, s[18:19]
	s_mov_b32 s21, 1
.LBB119_21:                             ;   in Loop: Header=BB119_7 Depth=1
	s_waitcnt lgkmcnt(0)
	s_barrier
	ds_write_b32 v3, v24
	s_waitcnt lgkmcnt(0)
	s_barrier
	s_and_saveexec_b64 s[18:19], s[2:3]
	s_cbranch_execz .LBB119_23
; %bb.22:                               ;   in Loop: Header=BB119_7 Depth=1
	ds_read2st64_b32 v[12:13], v3 offset1:2
	s_waitcnt lgkmcnt(0)
	v_min_i32_e32 v12, v13, v12
	ds_write_b32 v3, v12
.LBB119_23:                             ;   in Loop: Header=BB119_7 Depth=1
	s_or_b64 exec, exec, s[18:19]
	s_waitcnt lgkmcnt(0)
	s_barrier
	s_and_saveexec_b64 s[18:19], s[4:5]
	s_cbranch_execz .LBB119_25
; %bb.24:                               ;   in Loop: Header=BB119_7 Depth=1
	ds_read2st64_b32 v[12:13], v3 offset1:1
	s_waitcnt lgkmcnt(0)
	v_min_i32_e32 v12, v13, v12
	ds_write_b32 v3, v12
.LBB119_25:                             ;   in Loop: Header=BB119_7 Depth=1
	s_or_b64 exec, exec, s[18:19]
	s_waitcnt lgkmcnt(0)
	s_barrier
	s_and_saveexec_b64 s[18:19], s[6:7]
	s_cbranch_execz .LBB119_27
; %bb.26:                               ;   in Loop: Header=BB119_7 Depth=1
	ds_read2_b32 v[12:13], v3 offset1:32
	s_waitcnt lgkmcnt(0)
	v_min_i32_e32 v12, v13, v12
	ds_write_b32 v3, v12
.LBB119_27:                             ;   in Loop: Header=BB119_7 Depth=1
	s_or_b64 exec, exec, s[18:19]
	s_waitcnt lgkmcnt(0)
	s_barrier
	s_and_saveexec_b64 s[18:19], s[8:9]
	s_cbranch_execz .LBB119_29
; %bb.28:                               ;   in Loop: Header=BB119_7 Depth=1
	ds_read2_b32 v[12:13], v3 offset1:16
	s_waitcnt lgkmcnt(0)
	v_min_i32_e32 v12, v13, v12
	ds_write_b32 v3, v12
.LBB119_29:                             ;   in Loop: Header=BB119_7 Depth=1
	;; [unrolled: 11-line block ×5, first 2 shown]
	s_or_b64 exec, exec, s[18:19]
	s_waitcnt lgkmcnt(0)
	s_barrier
	s_and_saveexec_b64 s[18:19], s[16:17]
	s_cbranch_execz .LBB119_6
; %bb.36:                               ;   in Loop: Header=BB119_7 Depth=1
	ds_read_b64 v[12:13], v5
	s_waitcnt lgkmcnt(0)
	v_min_i32_e32 v12, v13, v12
	ds_write_b32 v5, v12
	s_branch .LBB119_6
.LBB119_37:
	s_endpgm
	.section	.rodata,"a",@progbits
	.p2align	6, 0x0
	.amdhsa_kernel _ZN9rocsparseL40csr2gebsr_block_per_row_multipass_kernelILj256ELj64ELj8EdEEv20rocsparse_direction_iiiiii21rocsparse_index_base_PKT2_PKiS7_S2_PS3_PiS9_
		.amdhsa_group_segment_fixed_size 4104
		.amdhsa_private_segment_fixed_size 0
		.amdhsa_kernarg_size 88
		.amdhsa_user_sgpr_count 2
		.amdhsa_user_sgpr_dispatch_ptr 0
		.amdhsa_user_sgpr_queue_ptr 0
		.amdhsa_user_sgpr_kernarg_segment_ptr 1
		.amdhsa_user_sgpr_dispatch_id 0
		.amdhsa_user_sgpr_kernarg_preload_length 0
		.amdhsa_user_sgpr_kernarg_preload_offset 0
		.amdhsa_user_sgpr_private_segment_size 0
		.amdhsa_uses_dynamic_stack 0
		.amdhsa_enable_private_segment 0
		.amdhsa_system_sgpr_workgroup_id_x 1
		.amdhsa_system_sgpr_workgroup_id_y 0
		.amdhsa_system_sgpr_workgroup_id_z 0
		.amdhsa_system_sgpr_workgroup_info 0
		.amdhsa_system_vgpr_workitem_id 0
		.amdhsa_next_free_vgpr 31
		.amdhsa_next_free_sgpr 48
		.amdhsa_accum_offset 32
		.amdhsa_reserve_vcc 1
		.amdhsa_float_round_mode_32 0
		.amdhsa_float_round_mode_16_64 0
		.amdhsa_float_denorm_mode_32 3
		.amdhsa_float_denorm_mode_16_64 3
		.amdhsa_dx10_clamp 1
		.amdhsa_ieee_mode 1
		.amdhsa_fp16_overflow 0
		.amdhsa_tg_split 0
		.amdhsa_exception_fp_ieee_invalid_op 0
		.amdhsa_exception_fp_denorm_src 0
		.amdhsa_exception_fp_ieee_div_zero 0
		.amdhsa_exception_fp_ieee_overflow 0
		.amdhsa_exception_fp_ieee_underflow 0
		.amdhsa_exception_fp_ieee_inexact 0
		.amdhsa_exception_int_div_zero 0
	.end_amdhsa_kernel
	.section	.text._ZN9rocsparseL40csr2gebsr_block_per_row_multipass_kernelILj256ELj64ELj8EdEEv20rocsparse_direction_iiiiii21rocsparse_index_base_PKT2_PKiS7_S2_PS3_PiS9_,"axG",@progbits,_ZN9rocsparseL40csr2gebsr_block_per_row_multipass_kernelILj256ELj64ELj8EdEEv20rocsparse_direction_iiiiii21rocsparse_index_base_PKT2_PKiS7_S2_PS3_PiS9_,comdat
.Lfunc_end119:
	.size	_ZN9rocsparseL40csr2gebsr_block_per_row_multipass_kernelILj256ELj64ELj8EdEEv20rocsparse_direction_iiiiii21rocsparse_index_base_PKT2_PKiS7_S2_PS3_PiS9_, .Lfunc_end119-_ZN9rocsparseL40csr2gebsr_block_per_row_multipass_kernelILj256ELj64ELj8EdEEv20rocsparse_direction_iiiiii21rocsparse_index_base_PKT2_PKiS7_S2_PS3_PiS9_
                                        ; -- End function
	.section	.AMDGPU.csdata,"",@progbits
; Kernel info:
; codeLenInByte = 1568
; NumSgprs: 54
; NumVgprs: 31
; NumAgprs: 0
; TotalNumVgprs: 31
; ScratchSize: 0
; MemoryBound: 0
; FloatMode: 240
; IeeeMode: 1
; LDSByteSize: 4104 bytes/workgroup (compile time only)
; SGPRBlocks: 6
; VGPRBlocks: 3
; NumSGPRsForWavesPerEU: 54
; NumVGPRsForWavesPerEU: 31
; AccumOffset: 32
; Occupancy: 8
; WaveLimiterHint : 0
; COMPUTE_PGM_RSRC2:SCRATCH_EN: 0
; COMPUTE_PGM_RSRC2:USER_SGPR: 2
; COMPUTE_PGM_RSRC2:TRAP_HANDLER: 0
; COMPUTE_PGM_RSRC2:TGID_X_EN: 1
; COMPUTE_PGM_RSRC2:TGID_Y_EN: 0
; COMPUTE_PGM_RSRC2:TGID_Z_EN: 0
; COMPUTE_PGM_RSRC2:TIDIG_COMP_CNT: 0
; COMPUTE_PGM_RSRC3_GFX90A:ACCUM_OFFSET: 7
; COMPUTE_PGM_RSRC3_GFX90A:TG_SPLIT: 0
	.section	.text._ZN9rocsparseL40csr2gebsr_block_per_row_multipass_kernelILj256ELj64ELj16EdEEv20rocsparse_direction_iiiiii21rocsparse_index_base_PKT2_PKiS7_S2_PS3_PiS9_,"axG",@progbits,_ZN9rocsparseL40csr2gebsr_block_per_row_multipass_kernelILj256ELj64ELj16EdEEv20rocsparse_direction_iiiiii21rocsparse_index_base_PKT2_PKiS7_S2_PS3_PiS9_,comdat
	.globl	_ZN9rocsparseL40csr2gebsr_block_per_row_multipass_kernelILj256ELj64ELj16EdEEv20rocsparse_direction_iiiiii21rocsparse_index_base_PKT2_PKiS7_S2_PS3_PiS9_ ; -- Begin function _ZN9rocsparseL40csr2gebsr_block_per_row_multipass_kernelILj256ELj64ELj16EdEEv20rocsparse_direction_iiiiii21rocsparse_index_base_PKT2_PKiS7_S2_PS3_PiS9_
	.p2align	8
	.type	_ZN9rocsparseL40csr2gebsr_block_per_row_multipass_kernelILj256ELj64ELj16EdEEv20rocsparse_direction_iiiiii21rocsparse_index_base_PKT2_PKiS7_S2_PS3_PiS9_,@function
_ZN9rocsparseL40csr2gebsr_block_per_row_multipass_kernelILj256ELj64ELj16EdEEv20rocsparse_direction_iiiiii21rocsparse_index_base_PKT2_PKiS7_S2_PS3_PiS9_: ; @_ZN9rocsparseL40csr2gebsr_block_per_row_multipass_kernelILj256ELj64ELj16EdEEv20rocsparse_direction_iiiiii21rocsparse_index_base_PKT2_PKiS7_S2_PS3_PiS9_
; %bb.0:
	s_load_dwordx4 s[20:23], s[0:1], 0x10
	s_load_dwordx2 s[6:7], s[0:1], 0x0
	s_load_dwordx2 s[8:9], s[0:1], 0x28
	v_lshrrev_b32_e32 v1, 2, v0
	v_mov_b32_e32 v18, 0
	s_waitcnt lgkmcnt(0)
	s_mul_i32 s3, s2, s21
	v_add_u32_e32 v2, s3, v1
	v_cmp_gt_i32_e64 s[4:5], s7, v2
	v_cmp_gt_i32_e32 vcc, s21, v1
	s_and_b64 s[4:5], vcc, s[4:5]
	v_mov_b32_e32 v26, 0
	s_and_saveexec_b64 s[10:11], s[4:5]
	s_cbranch_execnz .LBB120_3
; %bb.1:
	s_or_b64 exec, exec, s[10:11]
	s_and_saveexec_b64 s[10:11], s[4:5]
	s_cbranch_execnz .LBB120_4
.LBB120_2:
	s_or_b64 exec, exec, s[10:11]
	s_cmp_lt_i32 s20, 1
	s_cbranch_scc0 .LBB120_5
	s_branch .LBB120_41
.LBB120_3:
	v_ashrrev_i32_e32 v3, 31, v2
	v_lshl_add_u64 v[4:5], v[2:3], 2, s[8:9]
	global_load_dword v3, v[4:5], off
	s_waitcnt vmcnt(0)
	v_subrev_u32_e32 v26, s23, v3
	s_or_b64 exec, exec, s[10:11]
	s_and_saveexec_b64 s[10:11], s[4:5]
	s_cbranch_execz .LBB120_2
.LBB120_4:
	v_ashrrev_i32_e32 v3, 31, v2
	v_lshl_add_u64 v[2:3], v[2:3], 2, s[8:9]
	global_load_dword v2, v[2:3], off offset:4
	s_waitcnt vmcnt(0)
	v_subrev_u32_e32 v18, s23, v2
	s_or_b64 exec, exec, s[10:11]
	s_cmp_lt_i32 s20, 1
	s_cbranch_scc1 .LBB120_41
.LBB120_5:
	s_load_dwordx4 s[8:11], s[0:1], 0x40
	s_load_dwordx2 s[24:25], s[0:1], 0x50
	s_load_dword s33, s[0:1], 0x38
	s_ashr_i32 s3, s2, 31
	s_lshl_b64 s[2:3], s[2:3], 2
	s_waitcnt lgkmcnt(0)
	s_add_u32 s2, s10, s2
	s_addc_u32 s3, s11, s3
	s_load_dword s4, s[2:3], 0x0
	s_load_dwordx2 s[26:27], s[0:1], 0x20
	s_load_dwordx2 s[28:29], s[0:1], 0x30
	v_mbcnt_lo_u32_b32 v2, -1, 0
	v_mbcnt_hi_u32_b32 v2, -1, v2
	s_waitcnt lgkmcnt(0)
	s_sub_i32 s30, s4, s33
	v_mul_lo_u32 v6, v1, s22
	v_and_b32_e32 v19, 3, v0
	v_lshl_or_b32 v22, v2, 2, 12
	s_cmp_eq_u32 s6, 0
	v_lshlrev_b32_e32 v2, 3, v1
	v_mov_b32_e32 v3, 0
	v_ashrrev_i32_e32 v7, 31, v6
	s_cselect_b64 s[0:1], -1, 0
	s_ashr_i32 s48, s22, 31
	v_lshl_add_u64 v[4:5], s[8:9], 0, v[2:3]
	v_lshl_add_u64 v[6:7], v[6:7], 3, s[8:9]
	v_lshlrev_b32_e32 v2, 3, v19
	s_mul_hi_u32 s2, s22, s21
	s_mul_i32 s3, s48, s21
	s_mul_i32 s50, s22, s21
	v_lshl_add_u64 v[6:7], v[6:7], 0, v[2:3]
	v_mul_lo_u32 v2, v19, s21
	s_lshl_b32 s31, s21, 2
	s_abs_i32 s21, s22
	v_cvt_f32_u32_e32 v10, s21
	v_lshlrev_b32_e32 v20, 4, v1
	s_add_i32 s49, s2, s3
	s_movk_i32 s2, 0x80
	v_rcp_iflag_f32_e32 v10, v10
	v_lshlrev_b32_e32 v23, 2, v0
	v_cmp_gt_u32_e64 s[2:3], s2, v0
	v_cmp_gt_u32_e64 s[4:5], 64, v0
	v_cmp_gt_u32_e64 s[6:7], 32, v0
	v_cmp_gt_u32_e64 s[8:9], 16, v0
	v_cmp_gt_u32_e64 s[10:11], 8, v0
	v_cmp_gt_u32_e64 s[12:13], 4, v0
	v_cmp_gt_u32_e64 s[14:15], 2, v0
	v_cmp_eq_u32_e64 s[16:17], 0, v0
	v_or_b32_e32 v0, v20, v19
	v_lshlrev_b32_e32 v24, 3, v0
	v_cmp_gt_u32_e64 s[18:19], s22, v19
	v_or_b32_e32 v0, 4, v19
	v_mul_f32_e32 v10, 0x4f7ffffe, v10
	s_and_b64 s[34:35], vcc, s[18:19]
	v_cmp_gt_u32_e64 s[18:19], s22, v0
	v_or_b32_e32 v8, 8, v19
	v_cvt_u32_f32_e32 v12, v10
	s_and_b64 s[36:37], vcc, s[18:19]
	v_cmp_gt_u32_e64 s[18:19], s22, v8
	v_or_b32_e32 v11, 12, v19
	s_and_b64 s[38:39], vcc, s[18:19]
	v_cmp_gt_u32_e64 s[18:19], s22, v11
	s_and_b64 s[40:41], vcc, s[18:19]
	s_sub_i32 s18, 0, s21
	s_mov_b32 s42, 0
	v_add_u32_e32 v0, s31, v2
	v_mul_lo_u32 v13, s18, v12
	v_add_u32_e32 v8, s31, v0
	v_mul_hi_u32 v13, v12, v13
	s_mov_b32 s43, s42
	v_mov_b32_e32 v21, 0
	v_mov_b32_e32 v1, v3
	;; [unrolled: 1-line block ×3, first 2 shown]
	v_add_u32_e32 v10, s31, v8
	v_mov_b32_e32 v11, v3
	v_add_u32_e32 v25, v12, v13
	v_mov_b64_e32 v[12:13], s[42:43]
	s_mov_b64 s[42:43], 0x60
	v_mov_b32_e32 v27, 1
	v_mov_b32_e32 v16, 0
	s_branch .LBB120_7
.LBB120_6:                              ;   in Loop: Header=BB120_7 Depth=1
	s_or_b64 exec, exec, s[18:19]
	s_waitcnt lgkmcnt(0)
	s_barrier
	ds_read_b32 v16, v3
	s_add_i32 s30, s31, s30
	s_waitcnt lgkmcnt(0)
	s_barrier
	v_cmp_gt_i32_e32 vcc, s20, v16
	s_cbranch_vccz .LBB120_41
.LBB120_7:                              ; =>This Loop Header: Depth=1
                                        ;     Child Loop BB120_10 Depth 2
	v_add_u32_e32 v14, v26, v19
	v_cmp_lt_i32_e32 vcc, v14, v18
	v_mov_b32_e32 v28, s20
	v_mov_b32_e32 v26, v18
	ds_write_b8 v3, v21 offset:8192
	ds_write2_b64 v24, v[12:13], v[12:13] offset1:4
	ds_write2_b64 v24, v[12:13], v[12:13] offset0:8 offset1:12
	s_waitcnt lgkmcnt(0)
	s_barrier
	s_and_saveexec_b64 s[44:45], vcc
	s_cbranch_execz .LBB120_15
; %bb.8:                                ;   in Loop: Header=BB120_7 Depth=1
	v_mul_lo_u32 v17, v16, s22
	s_mov_b64 s[46:47], 0
	v_mov_b32_e32 v28, s20
	v_mov_b32_e32 v26, v18
	s_branch .LBB120_10
.LBB120_9:                              ;   in Loop: Header=BB120_10 Depth=2
	s_or_b64 exec, exec, s[18:19]
	v_add_u32_e32 v14, 4, v14
	v_cmp_ge_i32_e64 s[18:19], v14, v18
	s_xor_b64 s[52:53], vcc, -1
	s_or_b64 s[18:19], s[52:53], s[18:19]
	s_and_b64 s[18:19], exec, s[18:19]
	s_or_b64 s[46:47], s[18:19], s[46:47]
	s_andn2_b64 exec, exec, s[46:47]
	s_cbranch_execz .LBB120_14
.LBB120_10:                             ;   Parent Loop BB120_7 Depth=1
                                        ; =>  This Inner Loop Header: Depth=2
	v_ashrrev_i32_e32 v15, 31, v14
	v_lshl_add_u64 v[30:31], v[14:15], 2, s[28:29]
	global_load_dword v29, v[30:31], off
	s_waitcnt vmcnt(0)
	v_subrev_u32_e32 v29, s23, v29
	v_sub_u32_e32 v31, 0, v29
	v_max_i32_e32 v31, v29, v31
	v_mul_hi_u32 v32, v31, v25
	v_mul_lo_u32 v33, v32, s21
	v_sub_u32_e32 v31, v31, v33
	v_add_u32_e32 v34, 1, v32
	v_cmp_le_u32_e32 vcc, s21, v31
	v_subrev_u32_e32 v33, s21, v31
	v_ashrrev_i32_e32 v30, 31, v29
	v_cndmask_b32_e32 v32, v32, v34, vcc
	v_cndmask_b32_e32 v31, v31, v33, vcc
	v_add_u32_e32 v33, 1, v32
	v_cmp_le_u32_e32 vcc, s21, v31
	v_xor_b32_e32 v30, s48, v30
	s_nop 0
	v_cndmask_b32_e32 v31, v32, v33, vcc
	v_xor_b32_e32 v31, v31, v30
	v_sub_u32_e32 v31, v31, v30
	v_cmp_eq_u32_e32 vcc, v31, v16
	v_cmp_ne_u32_e64 s[18:19], v31, v16
	v_mov_b32_e32 v30, v26
	s_and_saveexec_b64 s[52:53], s[18:19]
	s_xor_b64 s[18:19], exec, s[52:53]
; %bb.11:                               ;   in Loop: Header=BB120_10 Depth=2
	v_min_i32_e32 v28, v31, v28
                                        ; implicit-def: $vgpr29
                                        ; implicit-def: $vgpr30
; %bb.12:                               ;   in Loop: Header=BB120_10 Depth=2
	s_or_saveexec_b64 s[18:19], s[18:19]
	v_mov_b32_e32 v26, v14
	s_xor_b64 exec, exec, s[18:19]
	s_cbranch_execz .LBB120_9
; %bb.13:                               ;   in Loop: Header=BB120_10 Depth=2
	v_lshl_add_u64 v[32:33], v[14:15], 3, s[26:27]
	global_load_dwordx2 v[32:33], v[32:33], off
	v_sub_u32_e32 v15, v29, v17
	v_add_lshl_u32 v15, v15, v20, 3
	v_mov_b32_e32 v26, v30
	ds_write_b8 v3, v27 offset:8192
	s_waitcnt vmcnt(0)
	ds_write_b64 v15, v[32:33]
	s_branch .LBB120_9
.LBB120_14:                             ;   in Loop: Header=BB120_7 Depth=1
	s_or_b64 exec, exec, s[46:47]
.LBB120_15:                             ;   in Loop: Header=BB120_7 Depth=1
	s_or_b64 exec, exec, s[44:45]
	v_mov_b32_dpp v14, v26 row_shr:1 row_mask:0xf bank_mask:0xf
	v_min_i32_e32 v14, v14, v26
	s_waitcnt lgkmcnt(0)
	s_barrier
	ds_read_u8 v15, v3 offset:8192
	v_mov_b32_dpp v17, v14 row_shr:2 row_mask:0xf bank_mask:0xf
	v_min_i32_e32 v14, v17, v14
	ds_bpermute_b32 v26, v22, v14
	s_mov_b32 s31, 0
	s_waitcnt lgkmcnt(1)
	v_cmp_eq_u32_e32 vcc, 0, v15
	s_cbranch_vccnz .LBB120_22
; %bb.16:                               ;   in Loop: Header=BB120_7 Depth=1
	s_ashr_i32 s31, s30, 31
	s_lshl_b64 s[18:19], s[30:31], 2
	s_add_u32 s18, s24, s18
	v_add_u32_e32 v14, s33, v16
	s_addc_u32 s19, s25, s19
	global_store_dword v3, v14, s[18:19]
	s_mul_hi_u32 s18, s50, s30
	s_mul_i32 s19, s50, s31
	s_add_i32 s18, s18, s19
	s_mul_i32 s19, s49, s30
	s_add_i32 s19, s18, s19
	s_mul_i32 s18, s50, s30
	s_lshl_b64 s[18:19], s[18:19], 3
	v_lshl_add_u64 v[14:15], v[4:5], 0, s[18:19]
	v_lshl_add_u64 v[16:17], v[6:7], 0, s[18:19]
	s_and_saveexec_b64 s[18:19], s[34:35]
	s_cbranch_execnz .LBB120_38
; %bb.17:                               ;   in Loop: Header=BB120_7 Depth=1
	s_or_b64 exec, exec, s[18:19]
	s_and_saveexec_b64 s[18:19], s[36:37]
	s_cbranch_execnz .LBB120_39
.LBB120_18:                             ;   in Loop: Header=BB120_7 Depth=1
	s_or_b64 exec, exec, s[18:19]
	s_and_saveexec_b64 s[18:19], s[38:39]
	s_cbranch_execnz .LBB120_40
.LBB120_19:                             ;   in Loop: Header=BB120_7 Depth=1
	s_or_b64 exec, exec, s[18:19]
	s_and_saveexec_b64 s[18:19], s[40:41]
	s_cbranch_execz .LBB120_21
.LBB120_20:                             ;   in Loop: Header=BB120_7 Depth=1
	ds_read_b64 v[30:31], v24 offset:96
	v_lshl_add_u64 v[16:17], v[16:17], 0, s[42:43]
	v_lshl_add_u64 v[14:15], v[10:11], 3, v[14:15]
	v_cndmask_b32_e64 v15, v15, v17, s[0:1]
	v_cndmask_b32_e64 v14, v14, v16, s[0:1]
	s_waitcnt lgkmcnt(0)
	global_store_dwordx2 v[14:15], v[30:31], off
.LBB120_21:                             ;   in Loop: Header=BB120_7 Depth=1
	s_or_b64 exec, exec, s[18:19]
	s_mov_b32 s31, 1
.LBB120_22:                             ;   in Loop: Header=BB120_7 Depth=1
	s_waitcnt lgkmcnt(0)
	s_barrier
	ds_write_b32 v23, v28
	s_waitcnt lgkmcnt(0)
	s_barrier
	s_and_saveexec_b64 s[18:19], s[2:3]
	s_cbranch_execz .LBB120_24
; %bb.23:                               ;   in Loop: Header=BB120_7 Depth=1
	ds_read2st64_b32 v[14:15], v23 offset1:2
	s_waitcnt lgkmcnt(0)
	v_min_i32_e32 v14, v15, v14
	ds_write_b32 v23, v14
.LBB120_24:                             ;   in Loop: Header=BB120_7 Depth=1
	s_or_b64 exec, exec, s[18:19]
	s_waitcnt lgkmcnt(0)
	s_barrier
	s_and_saveexec_b64 s[18:19], s[4:5]
	s_cbranch_execz .LBB120_26
; %bb.25:                               ;   in Loop: Header=BB120_7 Depth=1
	ds_read2st64_b32 v[14:15], v23 offset1:1
	s_waitcnt lgkmcnt(0)
	v_min_i32_e32 v14, v15, v14
	ds_write_b32 v23, v14
.LBB120_26:                             ;   in Loop: Header=BB120_7 Depth=1
	s_or_b64 exec, exec, s[18:19]
	s_waitcnt lgkmcnt(0)
	s_barrier
	s_and_saveexec_b64 s[18:19], s[6:7]
	s_cbranch_execz .LBB120_28
; %bb.27:                               ;   in Loop: Header=BB120_7 Depth=1
	ds_read2_b32 v[14:15], v23 offset1:32
	s_waitcnt lgkmcnt(0)
	v_min_i32_e32 v14, v15, v14
	ds_write_b32 v23, v14
.LBB120_28:                             ;   in Loop: Header=BB120_7 Depth=1
	s_or_b64 exec, exec, s[18:19]
	s_waitcnt lgkmcnt(0)
	s_barrier
	s_and_saveexec_b64 s[18:19], s[8:9]
	s_cbranch_execz .LBB120_30
; %bb.29:                               ;   in Loop: Header=BB120_7 Depth=1
	ds_read2_b32 v[14:15], v23 offset1:16
	s_waitcnt lgkmcnt(0)
	v_min_i32_e32 v14, v15, v14
	ds_write_b32 v23, v14
.LBB120_30:                             ;   in Loop: Header=BB120_7 Depth=1
	;; [unrolled: 11-line block ×5, first 2 shown]
	s_or_b64 exec, exec, s[18:19]
	s_waitcnt lgkmcnt(0)
	s_barrier
	s_and_saveexec_b64 s[18:19], s[16:17]
	s_cbranch_execz .LBB120_6
; %bb.37:                               ;   in Loop: Header=BB120_7 Depth=1
	ds_read_b64 v[14:15], v3
	s_waitcnt lgkmcnt(0)
	v_min_i32_e32 v14, v15, v14
	ds_write_b32 v3, v14
	s_branch .LBB120_6
.LBB120_38:                             ;   in Loop: Header=BB120_7 Depth=1
	ds_read_b64 v[30:31], v24
	v_lshl_add_u64 v[32:33], v[2:3], 3, v[14:15]
	v_cndmask_b32_e64 v33, v33, v17, s[0:1]
	v_cndmask_b32_e64 v32, v32, v16, s[0:1]
	s_waitcnt lgkmcnt(0)
	global_store_dwordx2 v[32:33], v[30:31], off
	s_or_b64 exec, exec, s[18:19]
	s_and_saveexec_b64 s[18:19], s[36:37]
	s_cbranch_execz .LBB120_18
.LBB120_39:                             ;   in Loop: Header=BB120_7 Depth=1
	ds_read_b64 v[30:31], v24 offset:32
	v_lshl_add_u64 v[32:33], v[16:17], 0, 32
	v_lshl_add_u64 v[34:35], v[0:1], 3, v[14:15]
	v_cndmask_b32_e64 v33, v35, v33, s[0:1]
	v_cndmask_b32_e64 v32, v34, v32, s[0:1]
	s_waitcnt lgkmcnt(0)
	global_store_dwordx2 v[32:33], v[30:31], off
	s_or_b64 exec, exec, s[18:19]
	s_and_saveexec_b64 s[18:19], s[38:39]
	s_cbranch_execz .LBB120_19
.LBB120_40:                             ;   in Loop: Header=BB120_7 Depth=1
	ds_read_b64 v[30:31], v24 offset:64
	v_lshl_add_u64 v[32:33], v[16:17], 0, 64
	v_lshl_add_u64 v[34:35], v[8:9], 3, v[14:15]
	v_cndmask_b32_e64 v33, v35, v33, s[0:1]
	v_cndmask_b32_e64 v32, v34, v32, s[0:1]
	s_waitcnt lgkmcnt(0)
	global_store_dwordx2 v[32:33], v[30:31], off
	s_or_b64 exec, exec, s[18:19]
	s_and_saveexec_b64 s[18:19], s[40:41]
	s_cbranch_execnz .LBB120_20
	s_branch .LBB120_21
.LBB120_41:
	s_endpgm
	.section	.rodata,"a",@progbits
	.p2align	6, 0x0
	.amdhsa_kernel _ZN9rocsparseL40csr2gebsr_block_per_row_multipass_kernelILj256ELj64ELj16EdEEv20rocsparse_direction_iiiiii21rocsparse_index_base_PKT2_PKiS7_S2_PS3_PiS9_
		.amdhsa_group_segment_fixed_size 8200
		.amdhsa_private_segment_fixed_size 0
		.amdhsa_kernarg_size 88
		.amdhsa_user_sgpr_count 2
		.amdhsa_user_sgpr_dispatch_ptr 0
		.amdhsa_user_sgpr_queue_ptr 0
		.amdhsa_user_sgpr_kernarg_segment_ptr 1
		.amdhsa_user_sgpr_dispatch_id 0
		.amdhsa_user_sgpr_kernarg_preload_length 0
		.amdhsa_user_sgpr_kernarg_preload_offset 0
		.amdhsa_user_sgpr_private_segment_size 0
		.amdhsa_uses_dynamic_stack 0
		.amdhsa_enable_private_segment 0
		.amdhsa_system_sgpr_workgroup_id_x 1
		.amdhsa_system_sgpr_workgroup_id_y 0
		.amdhsa_system_sgpr_workgroup_id_z 0
		.amdhsa_system_sgpr_workgroup_info 0
		.amdhsa_system_vgpr_workitem_id 0
		.amdhsa_next_free_vgpr 36
		.amdhsa_next_free_sgpr 54
		.amdhsa_accum_offset 36
		.amdhsa_reserve_vcc 1
		.amdhsa_float_round_mode_32 0
		.amdhsa_float_round_mode_16_64 0
		.amdhsa_float_denorm_mode_32 3
		.amdhsa_float_denorm_mode_16_64 3
		.amdhsa_dx10_clamp 1
		.amdhsa_ieee_mode 1
		.amdhsa_fp16_overflow 0
		.amdhsa_tg_split 0
		.amdhsa_exception_fp_ieee_invalid_op 0
		.amdhsa_exception_fp_denorm_src 0
		.amdhsa_exception_fp_ieee_div_zero 0
		.amdhsa_exception_fp_ieee_overflow 0
		.amdhsa_exception_fp_ieee_underflow 0
		.amdhsa_exception_fp_ieee_inexact 0
		.amdhsa_exception_int_div_zero 0
	.end_amdhsa_kernel
	.section	.text._ZN9rocsparseL40csr2gebsr_block_per_row_multipass_kernelILj256ELj64ELj16EdEEv20rocsparse_direction_iiiiii21rocsparse_index_base_PKT2_PKiS7_S2_PS3_PiS9_,"axG",@progbits,_ZN9rocsparseL40csr2gebsr_block_per_row_multipass_kernelILj256ELj64ELj16EdEEv20rocsparse_direction_iiiiii21rocsparse_index_base_PKT2_PKiS7_S2_PS3_PiS9_,comdat
.Lfunc_end120:
	.size	_ZN9rocsparseL40csr2gebsr_block_per_row_multipass_kernelILj256ELj64ELj16EdEEv20rocsparse_direction_iiiiii21rocsparse_index_base_PKT2_PKiS7_S2_PS3_PiS9_, .Lfunc_end120-_ZN9rocsparseL40csr2gebsr_block_per_row_multipass_kernelILj256ELj64ELj16EdEEv20rocsparse_direction_iiiiii21rocsparse_index_base_PKT2_PKiS7_S2_PS3_PiS9_
                                        ; -- End function
	.section	.AMDGPU.csdata,"",@progbits
; Kernel info:
; codeLenInByte = 1800
; NumSgprs: 60
; NumVgprs: 36
; NumAgprs: 0
; TotalNumVgprs: 36
; ScratchSize: 0
; MemoryBound: 0
; FloatMode: 240
; IeeeMode: 1
; LDSByteSize: 8200 bytes/workgroup (compile time only)
; SGPRBlocks: 7
; VGPRBlocks: 4
; NumSGPRsForWavesPerEU: 60
; NumVGPRsForWavesPerEU: 36
; AccumOffset: 36
; Occupancy: 7
; WaveLimiterHint : 0
; COMPUTE_PGM_RSRC2:SCRATCH_EN: 0
; COMPUTE_PGM_RSRC2:USER_SGPR: 2
; COMPUTE_PGM_RSRC2:TRAP_HANDLER: 0
; COMPUTE_PGM_RSRC2:TGID_X_EN: 1
; COMPUTE_PGM_RSRC2:TGID_Y_EN: 0
; COMPUTE_PGM_RSRC2:TGID_Z_EN: 0
; COMPUTE_PGM_RSRC2:TIDIG_COMP_CNT: 0
; COMPUTE_PGM_RSRC3_GFX90A:ACCUM_OFFSET: 8
; COMPUTE_PGM_RSRC3_GFX90A:TG_SPLIT: 0
	.section	.text._ZN9rocsparseL40csr2gebsr_block_per_row_multipass_kernelILj256ELj64ELj32EdEEv20rocsparse_direction_iiiiii21rocsparse_index_base_PKT2_PKiS7_S2_PS3_PiS9_,"axG",@progbits,_ZN9rocsparseL40csr2gebsr_block_per_row_multipass_kernelILj256ELj64ELj32EdEEv20rocsparse_direction_iiiiii21rocsparse_index_base_PKT2_PKiS7_S2_PS3_PiS9_,comdat
	.globl	_ZN9rocsparseL40csr2gebsr_block_per_row_multipass_kernelILj256ELj64ELj32EdEEv20rocsparse_direction_iiiiii21rocsparse_index_base_PKT2_PKiS7_S2_PS3_PiS9_ ; -- Begin function _ZN9rocsparseL40csr2gebsr_block_per_row_multipass_kernelILj256ELj64ELj32EdEEv20rocsparse_direction_iiiiii21rocsparse_index_base_PKT2_PKiS7_S2_PS3_PiS9_
	.p2align	8
	.type	_ZN9rocsparseL40csr2gebsr_block_per_row_multipass_kernelILj256ELj64ELj32EdEEv20rocsparse_direction_iiiiii21rocsparse_index_base_PKT2_PKiS7_S2_PS3_PiS9_,@function
_ZN9rocsparseL40csr2gebsr_block_per_row_multipass_kernelILj256ELj64ELj32EdEEv20rocsparse_direction_iiiiii21rocsparse_index_base_PKT2_PKiS7_S2_PS3_PiS9_: ; @_ZN9rocsparseL40csr2gebsr_block_per_row_multipass_kernelILj256ELj64ELj32EdEEv20rocsparse_direction_iiiiii21rocsparse_index_base_PKT2_PKiS7_S2_PS3_PiS9_
; %bb.0:
	s_load_dwordx4 s[20:23], s[0:1], 0x10
	s_load_dwordx2 s[6:7], s[0:1], 0x0
	s_load_dwordx2 s[8:9], s[0:1], 0x28
	v_lshrrev_b32_e32 v1, 2, v0
	v_mov_b32_e32 v26, 0
	s_waitcnt lgkmcnt(0)
	s_mul_i32 s3, s2, s21
	v_add_u32_e32 v2, s3, v1
	v_cmp_gt_i32_e64 s[4:5], s7, v2
	v_cmp_gt_i32_e32 vcc, s21, v1
	s_and_b64 s[4:5], vcc, s[4:5]
	v_mov_b32_e32 v33, 0
	s_and_saveexec_b64 s[10:11], s[4:5]
	s_cbranch_execnz .LBB121_3
; %bb.1:
	s_or_b64 exec, exec, s[10:11]
	s_and_saveexec_b64 s[10:11], s[4:5]
	s_cbranch_execnz .LBB121_4
.LBB121_2:
	s_or_b64 exec, exec, s[10:11]
	s_cmp_lt_i32 s20, 1
	s_cbranch_scc0 .LBB121_5
	s_branch .LBB121_49
.LBB121_3:
	v_ashrrev_i32_e32 v3, 31, v2
	v_lshl_add_u64 v[4:5], v[2:3], 2, s[8:9]
	global_load_dword v3, v[4:5], off
	s_waitcnt vmcnt(0)
	v_subrev_u32_e32 v33, s23, v3
	s_or_b64 exec, exec, s[10:11]
	s_and_saveexec_b64 s[10:11], s[4:5]
	s_cbranch_execz .LBB121_2
.LBB121_4:
	v_ashrrev_i32_e32 v3, 31, v2
	v_lshl_add_u64 v[2:3], v[2:3], 2, s[8:9]
	global_load_dword v2, v[2:3], off offset:4
	s_waitcnt vmcnt(0)
	v_subrev_u32_e32 v26, s23, v2
	s_or_b64 exec, exec, s[10:11]
	s_cmp_lt_i32 s20, 1
	s_cbranch_scc1 .LBB121_49
.LBB121_5:
	s_load_dwordx4 s[8:11], s[0:1], 0x40
	s_load_dwordx2 s[24:25], s[0:1], 0x50
	s_load_dword s33, s[0:1], 0x38
	s_ashr_i32 s3, s2, 31
	s_lshl_b64 s[2:3], s[2:3], 2
	s_waitcnt lgkmcnt(0)
	s_add_u32 s2, s10, s2
	s_addc_u32 s3, s11, s3
	s_load_dword s4, s[2:3], 0x0
	s_load_dwordx2 s[26:27], s[0:1], 0x20
	s_load_dwordx2 s[28:29], s[0:1], 0x30
	v_mbcnt_lo_u32_b32 v2, -1, 0
	v_mbcnt_hi_u32_b32 v2, -1, v2
	s_waitcnt lgkmcnt(0)
	s_sub_i32 s30, s4, s33
	v_mul_lo_u32 v6, v1, s22
	v_and_b32_e32 v27, 3, v0
	v_lshl_or_b32 v30, v2, 2, 12
	s_cmp_eq_u32 s6, 0
	v_lshlrev_b32_e32 v2, 3, v1
	v_mov_b32_e32 v3, 0
	v_ashrrev_i32_e32 v7, 31, v6
	s_cselect_b64 s[0:1], -1, 0
	s_ashr_i32 s64, s22, 31
	v_lshl_add_u64 v[4:5], s[8:9], 0, v[2:3]
	v_lshl_add_u64 v[6:7], v[6:7], 3, s[8:9]
	v_lshlrev_b32_e32 v2, 3, v27
	s_mul_hi_u32 s2, s22, s21
	s_mul_i32 s3, s64, s21
	s_mul_i32 s66, s22, s21
	v_lshl_add_u64 v[6:7], v[6:7], 0, v[2:3]
	v_mul_lo_u32 v2, v27, s21
	s_lshl_b32 s31, s21, 2
	s_abs_i32 s21, s22
	v_cvt_f32_u32_e32 v18, s21
	v_lshlrev_b32_e32 v28, 5, v1
	s_add_i32 s65, s2, s3
	s_movk_i32 s2, 0x80
	v_lshlrev_b32_e32 v31, 2, v0
	v_cmp_gt_u32_e64 s[2:3], s2, v0
	v_cmp_gt_u32_e64 s[4:5], 64, v0
	v_cmp_gt_u32_e64 s[6:7], 32, v0
	v_cmp_gt_u32_e64 s[8:9], 16, v0
	v_cmp_gt_u32_e64 s[10:11], 8, v0
	v_cmp_gt_u32_e64 s[12:13], 4, v0
	v_cmp_gt_u32_e64 s[14:15], 2, v0
	v_cmp_eq_u32_e64 s[16:17], 0, v0
	v_or_b32_e32 v0, v28, v27
	v_lshlrev_b32_e32 v32, 3, v0
	v_cmp_gt_u32_e64 s[18:19], s22, v27
	v_or_b32_e32 v0, 4, v27
	v_rcp_iflag_f32_e32 v18, v18
	s_and_b64 s[34:35], vcc, s[18:19]
	v_cmp_gt_u32_e64 s[18:19], s22, v0
	v_or_b32_e32 v8, 8, v27
	s_and_b64 s[36:37], vcc, s[18:19]
	v_cmp_gt_u32_e64 s[18:19], s22, v8
	v_or_b32_e32 v10, 12, v27
	;; [unrolled: 3-line block ×4, first 2 shown]
	v_mul_f32_e32 v18, 0x4f7ffffe, v18
	v_add_u32_e32 v0, s31, v2
	s_and_b64 s[42:43], vcc, s[18:19]
	v_cmp_gt_u32_e64 s[18:19], s22, v14
	v_or_b32_e32 v16, 24, v27
	v_cvt_u32_f32_e32 v20, v18
	v_add_u32_e32 v8, s31, v0
	s_and_b64 s[44:45], vcc, s[18:19]
	v_cmp_gt_u32_e64 s[18:19], s22, v16
	v_or_b32_e32 v19, 28, v27
	v_add_u32_e32 v10, s31, v8
	s_and_b64 s[46:47], vcc, s[18:19]
	v_cmp_gt_u32_e64 s[18:19], s22, v19
	v_add_u32_e32 v12, s31, v10
	s_and_b64 s[48:49], vcc, s[18:19]
	s_sub_i32 s18, 0, s21
	s_mov_b32 s50, 0
	v_add_u32_e32 v14, s31, v12
	v_mul_lo_u32 v21, s18, v20
	v_add_u32_e32 v16, s31, v14
	v_mul_hi_u32 v21, v20, v21
	s_mov_b32 s51, s50
	v_mov_b32_e32 v29, 0
	v_mov_b32_e32 v1, v3
	v_mov_b32_e32 v9, v3
	v_mov_b32_e32 v11, v3
	v_mov_b32_e32 v13, v3
	v_mov_b32_e32 v15, v3
	v_mov_b32_e32 v17, v3
	v_add_u32_e32 v18, s31, v16
	v_mov_b32_e32 v19, v3
	v_add_u32_e32 v34, v20, v21
	v_mov_b64_e32 v[20:21], s[50:51]
	s_mov_b64 s[50:51], 0x60
	s_mov_b64 s[52:53], 0x80
	;; [unrolled: 1-line block ×5, first 2 shown]
	v_mov_b32_e32 v35, 1
	v_mov_b32_e32 v24, 0
	s_branch .LBB121_7
.LBB121_6:                              ;   in Loop: Header=BB121_7 Depth=1
	s_or_b64 exec, exec, s[18:19]
	s_waitcnt lgkmcnt(0)
	s_barrier
	ds_read_b32 v24, v3
	s_add_i32 s30, s31, s30
	s_waitcnt lgkmcnt(0)
	s_barrier
	v_cmp_gt_i32_e32 vcc, s20, v24
	s_cbranch_vccz .LBB121_49
.LBB121_7:                              ; =>This Loop Header: Depth=1
                                        ;     Child Loop BB121_10 Depth 2
	v_add_u32_e32 v22, v33, v27
	v_cmp_lt_i32_e32 vcc, v22, v26
	v_mov_b32_e32 v36, s20
	v_mov_b32_e32 v33, v26
	ds_write_b8 v3, v29 offset:16384
	ds_write2_b64 v32, v[20:21], v[20:21] offset1:4
	ds_write2_b64 v32, v[20:21], v[20:21] offset0:8 offset1:12
	ds_write2_b64 v32, v[20:21], v[20:21] offset0:16 offset1:20
	;; [unrolled: 1-line block ×3, first 2 shown]
	s_waitcnt lgkmcnt(0)
	s_barrier
	s_and_saveexec_b64 s[60:61], vcc
	s_cbranch_execz .LBB121_15
; %bb.8:                                ;   in Loop: Header=BB121_7 Depth=1
	v_mul_lo_u32 v25, v24, s22
	s_mov_b64 s[62:63], 0
	v_mov_b32_e32 v36, s20
	v_mov_b32_e32 v33, v26
	s_branch .LBB121_10
.LBB121_9:                              ;   in Loop: Header=BB121_10 Depth=2
	s_or_b64 exec, exec, s[18:19]
	v_add_u32_e32 v22, 4, v22
	v_cmp_ge_i32_e64 s[18:19], v22, v26
	s_xor_b64 s[68:69], vcc, -1
	s_or_b64 s[18:19], s[68:69], s[18:19]
	s_and_b64 s[18:19], exec, s[18:19]
	s_or_b64 s[62:63], s[18:19], s[62:63]
	s_andn2_b64 exec, exec, s[62:63]
	s_cbranch_execz .LBB121_14
.LBB121_10:                             ;   Parent Loop BB121_7 Depth=1
                                        ; =>  This Inner Loop Header: Depth=2
	v_ashrrev_i32_e32 v23, 31, v22
	v_lshl_add_u64 v[38:39], v[22:23], 2, s[28:29]
	global_load_dword v37, v[38:39], off
	s_waitcnt vmcnt(0)
	v_subrev_u32_e32 v37, s23, v37
	v_sub_u32_e32 v39, 0, v37
	v_max_i32_e32 v39, v37, v39
	v_mul_hi_u32 v40, v39, v34
	v_mul_lo_u32 v41, v40, s21
	v_sub_u32_e32 v39, v39, v41
	v_add_u32_e32 v42, 1, v40
	v_cmp_le_u32_e32 vcc, s21, v39
	v_subrev_u32_e32 v41, s21, v39
	v_ashrrev_i32_e32 v38, 31, v37
	v_cndmask_b32_e32 v40, v40, v42, vcc
	v_cndmask_b32_e32 v39, v39, v41, vcc
	v_add_u32_e32 v41, 1, v40
	v_cmp_le_u32_e32 vcc, s21, v39
	v_xor_b32_e32 v38, s64, v38
	s_nop 0
	v_cndmask_b32_e32 v39, v40, v41, vcc
	v_xor_b32_e32 v39, v39, v38
	v_sub_u32_e32 v39, v39, v38
	v_cmp_eq_u32_e32 vcc, v39, v24
	v_cmp_ne_u32_e64 s[18:19], v39, v24
	v_mov_b32_e32 v38, v33
	s_and_saveexec_b64 s[68:69], s[18:19]
	s_xor_b64 s[18:19], exec, s[68:69]
; %bb.11:                               ;   in Loop: Header=BB121_10 Depth=2
	v_min_i32_e32 v36, v39, v36
                                        ; implicit-def: $vgpr37
                                        ; implicit-def: $vgpr38
; %bb.12:                               ;   in Loop: Header=BB121_10 Depth=2
	s_or_saveexec_b64 s[18:19], s[18:19]
	v_mov_b32_e32 v33, v22
	s_xor_b64 exec, exec, s[18:19]
	s_cbranch_execz .LBB121_9
; %bb.13:                               ;   in Loop: Header=BB121_10 Depth=2
	v_lshl_add_u64 v[40:41], v[22:23], 3, s[26:27]
	global_load_dwordx2 v[40:41], v[40:41], off
	v_sub_u32_e32 v23, v37, v25
	v_add_lshl_u32 v23, v23, v28, 3
	v_mov_b32_e32 v33, v38
	ds_write_b8 v3, v35 offset:16384
	s_waitcnt vmcnt(0)
	ds_write_b64 v23, v[40:41]
	s_branch .LBB121_9
.LBB121_14:                             ;   in Loop: Header=BB121_7 Depth=1
	s_or_b64 exec, exec, s[62:63]
.LBB121_15:                             ;   in Loop: Header=BB121_7 Depth=1
	s_or_b64 exec, exec, s[60:61]
	v_mov_b32_dpp v22, v33 row_shr:1 row_mask:0xf bank_mask:0xf
	v_min_i32_e32 v22, v22, v33
	s_waitcnt lgkmcnt(0)
	s_barrier
	ds_read_u8 v23, v3 offset:16384
	v_mov_b32_dpp v25, v22 row_shr:2 row_mask:0xf bank_mask:0xf
	v_min_i32_e32 v22, v25, v22
	ds_bpermute_b32 v33, v30, v22
	s_mov_b32 s31, 0
	s_waitcnt lgkmcnt(1)
	v_cmp_eq_u32_e32 vcc, 0, v23
	s_cbranch_vccnz .LBB121_26
; %bb.16:                               ;   in Loop: Header=BB121_7 Depth=1
	s_ashr_i32 s31, s30, 31
	s_lshl_b64 s[18:19], s[30:31], 2
	s_add_u32 s18, s24, s18
	v_add_u32_e32 v22, s33, v24
	s_addc_u32 s19, s25, s19
	global_store_dword v3, v22, s[18:19]
	s_mul_hi_u32 s18, s66, s30
	s_mul_i32 s19, s66, s31
	s_add_i32 s18, s18, s19
	s_mul_i32 s19, s65, s30
	s_add_i32 s19, s18, s19
	s_mul_i32 s18, s66, s30
	s_lshl_b64 s[18:19], s[18:19], 3
	v_lshl_add_u64 v[22:23], v[4:5], 0, s[18:19]
	v_lshl_add_u64 v[24:25], v[6:7], 0, s[18:19]
	s_and_saveexec_b64 s[18:19], s[34:35]
	s_cbranch_execnz .LBB121_42
; %bb.17:                               ;   in Loop: Header=BB121_7 Depth=1
	s_or_b64 exec, exec, s[18:19]
	s_and_saveexec_b64 s[18:19], s[36:37]
	s_cbranch_execnz .LBB121_43
.LBB121_18:                             ;   in Loop: Header=BB121_7 Depth=1
	s_or_b64 exec, exec, s[18:19]
	s_and_saveexec_b64 s[18:19], s[38:39]
	s_cbranch_execnz .LBB121_44
.LBB121_19:                             ;   in Loop: Header=BB121_7 Depth=1
	s_or_b64 exec, exec, s[18:19]
	s_and_saveexec_b64 s[18:19], s[40:41]
	s_cbranch_execnz .LBB121_45
.LBB121_20:                             ;   in Loop: Header=BB121_7 Depth=1
	s_or_b64 exec, exec, s[18:19]
	s_and_saveexec_b64 s[18:19], s[42:43]
	s_cbranch_execnz .LBB121_46
.LBB121_21:                             ;   in Loop: Header=BB121_7 Depth=1
	s_or_b64 exec, exec, s[18:19]
	s_and_saveexec_b64 s[18:19], s[44:45]
	s_cbranch_execnz .LBB121_47
.LBB121_22:                             ;   in Loop: Header=BB121_7 Depth=1
	s_or_b64 exec, exec, s[18:19]
	s_and_saveexec_b64 s[18:19], s[46:47]
	s_cbranch_execnz .LBB121_48
.LBB121_23:                             ;   in Loop: Header=BB121_7 Depth=1
	s_or_b64 exec, exec, s[18:19]
	s_and_saveexec_b64 s[18:19], s[48:49]
	s_cbranch_execz .LBB121_25
.LBB121_24:                             ;   in Loop: Header=BB121_7 Depth=1
	ds_read_b64 v[38:39], v32 offset:224
	v_lshl_add_u64 v[24:25], v[24:25], 0, s[58:59]
	v_lshl_add_u64 v[22:23], v[18:19], 3, v[22:23]
	v_cndmask_b32_e64 v23, v23, v25, s[0:1]
	v_cndmask_b32_e64 v22, v22, v24, s[0:1]
	s_waitcnt lgkmcnt(0)
	global_store_dwordx2 v[22:23], v[38:39], off
.LBB121_25:                             ;   in Loop: Header=BB121_7 Depth=1
	s_or_b64 exec, exec, s[18:19]
	s_mov_b32 s31, 1
.LBB121_26:                             ;   in Loop: Header=BB121_7 Depth=1
	s_waitcnt lgkmcnt(0)
	s_barrier
	ds_write_b32 v31, v36
	s_waitcnt lgkmcnt(0)
	s_barrier
	s_and_saveexec_b64 s[18:19], s[2:3]
	s_cbranch_execz .LBB121_28
; %bb.27:                               ;   in Loop: Header=BB121_7 Depth=1
	ds_read2st64_b32 v[22:23], v31 offset1:2
	s_waitcnt lgkmcnt(0)
	v_min_i32_e32 v22, v23, v22
	ds_write_b32 v31, v22
.LBB121_28:                             ;   in Loop: Header=BB121_7 Depth=1
	s_or_b64 exec, exec, s[18:19]
	s_waitcnt lgkmcnt(0)
	s_barrier
	s_and_saveexec_b64 s[18:19], s[4:5]
	s_cbranch_execz .LBB121_30
; %bb.29:                               ;   in Loop: Header=BB121_7 Depth=1
	ds_read2st64_b32 v[22:23], v31 offset1:1
	s_waitcnt lgkmcnt(0)
	v_min_i32_e32 v22, v23, v22
	ds_write_b32 v31, v22
.LBB121_30:                             ;   in Loop: Header=BB121_7 Depth=1
	s_or_b64 exec, exec, s[18:19]
	s_waitcnt lgkmcnt(0)
	s_barrier
	s_and_saveexec_b64 s[18:19], s[6:7]
	s_cbranch_execz .LBB121_32
; %bb.31:                               ;   in Loop: Header=BB121_7 Depth=1
	ds_read2_b32 v[22:23], v31 offset1:32
	s_waitcnt lgkmcnt(0)
	v_min_i32_e32 v22, v23, v22
	ds_write_b32 v31, v22
.LBB121_32:                             ;   in Loop: Header=BB121_7 Depth=1
	s_or_b64 exec, exec, s[18:19]
	s_waitcnt lgkmcnt(0)
	s_barrier
	s_and_saveexec_b64 s[18:19], s[8:9]
	s_cbranch_execz .LBB121_34
; %bb.33:                               ;   in Loop: Header=BB121_7 Depth=1
	ds_read2_b32 v[22:23], v31 offset1:16
	s_waitcnt lgkmcnt(0)
	v_min_i32_e32 v22, v23, v22
	ds_write_b32 v31, v22
.LBB121_34:                             ;   in Loop: Header=BB121_7 Depth=1
	;; [unrolled: 11-line block ×5, first 2 shown]
	s_or_b64 exec, exec, s[18:19]
	s_waitcnt lgkmcnt(0)
	s_barrier
	s_and_saveexec_b64 s[18:19], s[16:17]
	s_cbranch_execz .LBB121_6
; %bb.41:                               ;   in Loop: Header=BB121_7 Depth=1
	ds_read_b64 v[22:23], v3
	s_waitcnt lgkmcnt(0)
	v_min_i32_e32 v22, v23, v22
	ds_write_b32 v3, v22
	s_branch .LBB121_6
.LBB121_42:                             ;   in Loop: Header=BB121_7 Depth=1
	ds_read_b64 v[38:39], v32
	v_lshl_add_u64 v[40:41], v[2:3], 3, v[22:23]
	v_cndmask_b32_e64 v41, v41, v25, s[0:1]
	v_cndmask_b32_e64 v40, v40, v24, s[0:1]
	s_waitcnt lgkmcnt(0)
	global_store_dwordx2 v[40:41], v[38:39], off
	s_or_b64 exec, exec, s[18:19]
	s_and_saveexec_b64 s[18:19], s[36:37]
	s_cbranch_execz .LBB121_18
.LBB121_43:                             ;   in Loop: Header=BB121_7 Depth=1
	ds_read_b64 v[38:39], v32 offset:32
	v_lshl_add_u64 v[40:41], v[24:25], 0, 32
	v_lshl_add_u64 v[42:43], v[0:1], 3, v[22:23]
	v_cndmask_b32_e64 v41, v43, v41, s[0:1]
	v_cndmask_b32_e64 v40, v42, v40, s[0:1]
	s_waitcnt lgkmcnt(0)
	global_store_dwordx2 v[40:41], v[38:39], off
	s_or_b64 exec, exec, s[18:19]
	s_and_saveexec_b64 s[18:19], s[38:39]
	s_cbranch_execz .LBB121_19
.LBB121_44:                             ;   in Loop: Header=BB121_7 Depth=1
	ds_read_b64 v[38:39], v32 offset:64
	v_lshl_add_u64 v[40:41], v[24:25], 0, 64
	v_lshl_add_u64 v[42:43], v[8:9], 3, v[22:23]
	v_cndmask_b32_e64 v41, v43, v41, s[0:1]
	v_cndmask_b32_e64 v40, v42, v40, s[0:1]
	s_waitcnt lgkmcnt(0)
	global_store_dwordx2 v[40:41], v[38:39], off
	s_or_b64 exec, exec, s[18:19]
	s_and_saveexec_b64 s[18:19], s[40:41]
	s_cbranch_execz .LBB121_20
.LBB121_45:                             ;   in Loop: Header=BB121_7 Depth=1
	ds_read_b64 v[38:39], v32 offset:96
	v_lshl_add_u64 v[40:41], v[24:25], 0, s[50:51]
	v_lshl_add_u64 v[42:43], v[10:11], 3, v[22:23]
	v_cndmask_b32_e64 v41, v43, v41, s[0:1]
	v_cndmask_b32_e64 v40, v42, v40, s[0:1]
	s_waitcnt lgkmcnt(0)
	global_store_dwordx2 v[40:41], v[38:39], off
	s_or_b64 exec, exec, s[18:19]
	s_and_saveexec_b64 s[18:19], s[42:43]
	s_cbranch_execz .LBB121_21
.LBB121_46:                             ;   in Loop: Header=BB121_7 Depth=1
	ds_read_b64 v[38:39], v32 offset:128
	v_lshl_add_u64 v[40:41], v[24:25], 0, s[52:53]
	v_lshl_add_u64 v[42:43], v[12:13], 3, v[22:23]
	v_cndmask_b32_e64 v41, v43, v41, s[0:1]
	v_cndmask_b32_e64 v40, v42, v40, s[0:1]
	s_waitcnt lgkmcnt(0)
	global_store_dwordx2 v[40:41], v[38:39], off
	s_or_b64 exec, exec, s[18:19]
	s_and_saveexec_b64 s[18:19], s[44:45]
	s_cbranch_execz .LBB121_22
.LBB121_47:                             ;   in Loop: Header=BB121_7 Depth=1
	ds_read_b64 v[38:39], v32 offset:160
	v_lshl_add_u64 v[40:41], v[24:25], 0, s[54:55]
	v_lshl_add_u64 v[42:43], v[14:15], 3, v[22:23]
	v_cndmask_b32_e64 v41, v43, v41, s[0:1]
	v_cndmask_b32_e64 v40, v42, v40, s[0:1]
	s_waitcnt lgkmcnt(0)
	global_store_dwordx2 v[40:41], v[38:39], off
	s_or_b64 exec, exec, s[18:19]
	s_and_saveexec_b64 s[18:19], s[46:47]
	s_cbranch_execz .LBB121_23
.LBB121_48:                             ;   in Loop: Header=BB121_7 Depth=1
	ds_read_b64 v[38:39], v32 offset:192
	v_lshl_add_u64 v[40:41], v[24:25], 0, s[56:57]
	v_lshl_add_u64 v[42:43], v[16:17], 3, v[22:23]
	v_cndmask_b32_e64 v41, v43, v41, s[0:1]
	v_cndmask_b32_e64 v40, v42, v40, s[0:1]
	s_waitcnt lgkmcnt(0)
	global_store_dwordx2 v[40:41], v[38:39], off
	s_or_b64 exec, exec, s[18:19]
	s_and_saveexec_b64 s[18:19], s[48:49]
	s_cbranch_execnz .LBB121_24
	s_branch .LBB121_25
.LBB121_49:
	s_endpgm
	.section	.rodata,"a",@progbits
	.p2align	6, 0x0
	.amdhsa_kernel _ZN9rocsparseL40csr2gebsr_block_per_row_multipass_kernelILj256ELj64ELj32EdEEv20rocsparse_direction_iiiiii21rocsparse_index_base_PKT2_PKiS7_S2_PS3_PiS9_
		.amdhsa_group_segment_fixed_size 16392
		.amdhsa_private_segment_fixed_size 0
		.amdhsa_kernarg_size 88
		.amdhsa_user_sgpr_count 2
		.amdhsa_user_sgpr_dispatch_ptr 0
		.amdhsa_user_sgpr_queue_ptr 0
		.amdhsa_user_sgpr_kernarg_segment_ptr 1
		.amdhsa_user_sgpr_dispatch_id 0
		.amdhsa_user_sgpr_kernarg_preload_length 0
		.amdhsa_user_sgpr_kernarg_preload_offset 0
		.amdhsa_user_sgpr_private_segment_size 0
		.amdhsa_uses_dynamic_stack 0
		.amdhsa_enable_private_segment 0
		.amdhsa_system_sgpr_workgroup_id_x 1
		.amdhsa_system_sgpr_workgroup_id_y 0
		.amdhsa_system_sgpr_workgroup_id_z 0
		.amdhsa_system_sgpr_workgroup_info 0
		.amdhsa_system_vgpr_workitem_id 0
		.amdhsa_next_free_vgpr 44
		.amdhsa_next_free_sgpr 70
		.amdhsa_accum_offset 44
		.amdhsa_reserve_vcc 1
		.amdhsa_float_round_mode_32 0
		.amdhsa_float_round_mode_16_64 0
		.amdhsa_float_denorm_mode_32 3
		.amdhsa_float_denorm_mode_16_64 3
		.amdhsa_dx10_clamp 1
		.amdhsa_ieee_mode 1
		.amdhsa_fp16_overflow 0
		.amdhsa_tg_split 0
		.amdhsa_exception_fp_ieee_invalid_op 0
		.amdhsa_exception_fp_denorm_src 0
		.amdhsa_exception_fp_ieee_div_zero 0
		.amdhsa_exception_fp_ieee_overflow 0
		.amdhsa_exception_fp_ieee_underflow 0
		.amdhsa_exception_fp_ieee_inexact 0
		.amdhsa_exception_int_div_zero 0
	.end_amdhsa_kernel
	.section	.text._ZN9rocsparseL40csr2gebsr_block_per_row_multipass_kernelILj256ELj64ELj32EdEEv20rocsparse_direction_iiiiii21rocsparse_index_base_PKT2_PKiS7_S2_PS3_PiS9_,"axG",@progbits,_ZN9rocsparseL40csr2gebsr_block_per_row_multipass_kernelILj256ELj64ELj32EdEEv20rocsparse_direction_iiiiii21rocsparse_index_base_PKT2_PKiS7_S2_PS3_PiS9_,comdat
.Lfunc_end121:
	.size	_ZN9rocsparseL40csr2gebsr_block_per_row_multipass_kernelILj256ELj64ELj32EdEEv20rocsparse_direction_iiiiii21rocsparse_index_base_PKT2_PKiS7_S2_PS3_PiS9_, .Lfunc_end121-_ZN9rocsparseL40csr2gebsr_block_per_row_multipass_kernelILj256ELj64ELj32EdEEv20rocsparse_direction_iiiiii21rocsparse_index_base_PKT2_PKiS7_S2_PS3_PiS9_
                                        ; -- End function
	.section	.AMDGPU.csdata,"",@progbits
; Kernel info:
; codeLenInByte = 2248
; NumSgprs: 76
; NumVgprs: 44
; NumAgprs: 0
; TotalNumVgprs: 44
; ScratchSize: 0
; MemoryBound: 0
; FloatMode: 240
; IeeeMode: 1
; LDSByteSize: 16392 bytes/workgroup (compile time only)
; SGPRBlocks: 9
; VGPRBlocks: 5
; NumSGPRsForWavesPerEU: 76
; NumVGPRsForWavesPerEU: 44
; AccumOffset: 44
; Occupancy: 3
; WaveLimiterHint : 0
; COMPUTE_PGM_RSRC2:SCRATCH_EN: 0
; COMPUTE_PGM_RSRC2:USER_SGPR: 2
; COMPUTE_PGM_RSRC2:TRAP_HANDLER: 0
; COMPUTE_PGM_RSRC2:TGID_X_EN: 1
; COMPUTE_PGM_RSRC2:TGID_Y_EN: 0
; COMPUTE_PGM_RSRC2:TGID_Z_EN: 0
; COMPUTE_PGM_RSRC2:TIDIG_COMP_CNT: 0
; COMPUTE_PGM_RSRC3_GFX90A:ACCUM_OFFSET: 10
; COMPUTE_PGM_RSRC3_GFX90A:TG_SPLIT: 0
	.section	.text._ZN9rocsparseL40csr2gebsr_block_per_row_multipass_kernelILj256ELj64ELj64EdEEv20rocsparse_direction_iiiiii21rocsparse_index_base_PKT2_PKiS7_S2_PS3_PiS9_,"axG",@progbits,_ZN9rocsparseL40csr2gebsr_block_per_row_multipass_kernelILj256ELj64ELj64EdEEv20rocsparse_direction_iiiiii21rocsparse_index_base_PKT2_PKiS7_S2_PS3_PiS9_,comdat
	.globl	_ZN9rocsparseL40csr2gebsr_block_per_row_multipass_kernelILj256ELj64ELj64EdEEv20rocsparse_direction_iiiiii21rocsparse_index_base_PKT2_PKiS7_S2_PS3_PiS9_ ; -- Begin function _ZN9rocsparseL40csr2gebsr_block_per_row_multipass_kernelILj256ELj64ELj64EdEEv20rocsparse_direction_iiiiii21rocsparse_index_base_PKT2_PKiS7_S2_PS3_PiS9_
	.p2align	8
	.type	_ZN9rocsparseL40csr2gebsr_block_per_row_multipass_kernelILj256ELj64ELj64EdEEv20rocsparse_direction_iiiiii21rocsparse_index_base_PKT2_PKiS7_S2_PS3_PiS9_,@function
_ZN9rocsparseL40csr2gebsr_block_per_row_multipass_kernelILj256ELj64ELj64EdEEv20rocsparse_direction_iiiiii21rocsparse_index_base_PKT2_PKiS7_S2_PS3_PiS9_: ; @_ZN9rocsparseL40csr2gebsr_block_per_row_multipass_kernelILj256ELj64ELj64EdEEv20rocsparse_direction_iiiiii21rocsparse_index_base_PKT2_PKiS7_S2_PS3_PiS9_
; %bb.0:
	s_load_dwordx4 s[20:23], s[0:1], 0x10
	s_load_dwordx2 s[6:7], s[0:1], 0x0
	s_load_dwordx2 s[8:9], s[0:1], 0x28
	v_lshrrev_b32_e32 v1, 2, v0
	v_mov_b32_e32 v42, 0
	s_waitcnt lgkmcnt(0)
	s_mul_i32 s3, s2, s21
	v_add_u32_e32 v2, s3, v1
	v_cmp_gt_i32_e64 s[4:5], s7, v2
	v_cmp_gt_i32_e32 vcc, s21, v1
	s_and_b64 s[4:5], vcc, s[4:5]
	v_mov_b32_e32 v49, 0
	s_and_saveexec_b64 s[10:11], s[4:5]
	s_cbranch_execnz .LBB122_3
; %bb.1:
	s_or_b64 exec, exec, s[10:11]
	s_and_saveexec_b64 s[10:11], s[4:5]
	s_cbranch_execnz .LBB122_4
.LBB122_2:
	s_or_b64 exec, exec, s[10:11]
	s_cmp_lt_i32 s20, 1
	s_cbranch_scc0 .LBB122_5
	s_branch .LBB122_65
.LBB122_3:
	v_ashrrev_i32_e32 v3, 31, v2
	v_lshl_add_u64 v[4:5], v[2:3], 2, s[8:9]
	global_load_dword v3, v[4:5], off
	s_waitcnt vmcnt(0)
	v_subrev_u32_e32 v49, s23, v3
	s_or_b64 exec, exec, s[10:11]
	s_and_saveexec_b64 s[10:11], s[4:5]
	s_cbranch_execz .LBB122_2
.LBB122_4:
	v_ashrrev_i32_e32 v3, 31, v2
	v_lshl_add_u64 v[2:3], v[2:3], 2, s[8:9]
	global_load_dword v2, v[2:3], off offset:4
	s_waitcnt vmcnt(0)
	v_subrev_u32_e32 v42, s23, v2
	s_or_b64 exec, exec, s[10:11]
	s_cmp_lt_i32 s20, 1
	s_cbranch_scc1 .LBB122_65
.LBB122_5:
	s_load_dwordx4 s[8:11], s[0:1], 0x40
	s_load_dwordx2 s[24:25], s[0:1], 0x50
	s_load_dword s33, s[0:1], 0x38
	s_ashr_i32 s3, s2, 31
	s_lshl_b64 s[2:3], s[2:3], 2
	s_waitcnt lgkmcnt(0)
	s_add_u32 s2, s10, s2
	s_addc_u32 s3, s11, s3
	s_load_dword s4, s[2:3], 0x0
	s_load_dwordx2 s[26:27], s[0:1], 0x20
	s_load_dwordx2 s[28:29], s[0:1], 0x30
	v_mbcnt_lo_u32_b32 v2, -1, 0
	v_mbcnt_hi_u32_b32 v2, -1, v2
	s_waitcnt lgkmcnt(0)
	s_sub_i32 s30, s4, s33
	s_cmp_eq_u32 s6, 0
	s_cselect_b64 s[0:1], -1, 0
	s_ashr_i32 s96, s22, 31
	s_mul_hi_u32 s2, s22, s21
	s_mul_i32 s3, s96, s21
	v_mul_lo_u32 v6, v1, s22
	v_and_b32_e32 v43, 3, v0
	v_lshlrev_b32_e32 v44, 6, v1
	v_lshl_or_b32 v46, v2, 2, 12
	s_add_i32 s97, s2, s3
	v_lshlrev_b32_e32 v2, 3, v1
	v_mov_b32_e32 v3, 0
	v_ashrrev_i32_e32 v7, 31, v6
	s_movk_i32 s2, 0x80
	v_lshl_add_u64 v[4:5], s[8:9], 0, v[2:3]
	v_lshl_add_u64 v[6:7], v[6:7], 3, s[8:9]
	v_lshlrev_b32_e32 v47, 2, v0
	v_cmp_gt_u32_e64 s[2:3], s2, v0
	v_cmp_gt_u32_e64 s[4:5], 64, v0
	;; [unrolled: 1-line block ×7, first 2 shown]
	v_cmp_eq_u32_e64 s[16:17], 0, v0
	v_or_b32_e32 v0, v44, v43
	v_lshlrev_b32_e32 v48, 3, v0
	v_cmp_gt_u32_e64 s[18:19], s22, v43
	v_or_b32_e32 v0, 4, v43
	s_and_b64 s[34:35], vcc, s[18:19]
	v_cmp_gt_u32_e64 s[18:19], s22, v0
	v_or_b32_e32 v8, 8, v43
	v_lshlrev_b32_e32 v2, 3, v43
	s_and_b64 s[36:37], vcc, s[18:19]
	v_cmp_gt_u32_e64 s[18:19], s22, v8
	v_or_b32_e32 v10, 12, v43
	s_mul_i32 s98, s22, s21
	v_lshl_add_u64 v[6:7], v[6:7], 0, v[2:3]
	v_mul_lo_u32 v2, v43, s21
	s_lshl_b32 s31, s21, 2
	s_and_b64 s[38:39], vcc, s[18:19]
	v_cmp_gt_u32_e64 s[18:19], s22, v10
	v_or_b32_e32 v12, 16, v43
	s_abs_i32 s21, s22
	s_and_b64 s[40:41], vcc, s[18:19]
	v_cmp_gt_u32_e64 s[18:19], s22, v12
	v_or_b32_e32 v14, 20, v43
	v_cvt_f32_u32_e32 v34, s21
	v_add_u32_e32 v0, s31, v2
	s_and_b64 s[42:43], vcc, s[18:19]
	v_cmp_gt_u32_e64 s[18:19], s22, v14
	v_or_b32_e32 v16, 24, v43
	v_add_u32_e32 v8, s31, v0
	s_and_b64 s[44:45], vcc, s[18:19]
	v_cmp_gt_u32_e64 s[18:19], s22, v16
	v_or_b32_e32 v18, 28, v43
	v_add_u32_e32 v10, s31, v8
	s_and_b64 s[46:47], vcc, s[18:19]
	v_cmp_gt_u32_e64 s[18:19], s22, v18
	v_or_b32_e32 v20, 32, v43
	v_add_u32_e32 v12, s31, v10
	s_and_b64 s[48:49], vcc, s[18:19]
	v_cmp_gt_u32_e64 s[18:19], s22, v20
	v_or_b32_e32 v22, 36, v43
	v_rcp_iflag_f32_e32 v34, v34
	v_add_u32_e32 v14, s31, v12
	s_and_b64 s[50:51], vcc, s[18:19]
	v_cmp_gt_u32_e64 s[18:19], s22, v22
	v_or_b32_e32 v24, 40, v43
	v_add_u32_e32 v16, s31, v14
	s_and_b64 s[52:53], vcc, s[18:19]
	v_cmp_gt_u32_e64 s[18:19], s22, v24
	v_or_b32_e32 v26, 44, v43
	;; [unrolled: 4-line block ×4, first 2 shown]
	v_mul_f32_e32 v34, 0x4f7ffffe, v34
	v_add_u32_e32 v22, s31, v20
	s_and_b64 s[58:59], vcc, s[18:19]
	v_cmp_gt_u32_e64 s[18:19], s22, v30
	v_or_b32_e32 v32, 56, v43
	v_cvt_u32_f32_e32 v36, v34
	v_add_u32_e32 v24, s31, v22
	s_and_b64 s[60:61], vcc, s[18:19]
	v_cmp_gt_u32_e64 s[18:19], s22, v32
	v_or_b32_e32 v35, 60, v43
	v_add_u32_e32 v26, s31, v24
	s_and_b64 s[62:63], vcc, s[18:19]
	v_cmp_gt_u32_e64 s[18:19], s22, v35
	v_add_u32_e32 v28, s31, v26
	s_and_b64 s[64:65], vcc, s[18:19]
	s_sub_i32 s18, 0, s21
	s_mov_b32 s66, 0
	v_add_u32_e32 v30, s31, v28
	v_mul_lo_u32 v37, s18, v36
	v_add_u32_e32 v32, s31, v30
	v_mul_hi_u32 v37, v36, v37
	s_mov_b32 s67, s66
	v_mov_b32_e32 v45, 0
	v_mov_b32_e32 v1, v3
	v_mov_b32_e32 v9, v3
	v_mov_b32_e32 v11, v3
	v_mov_b32_e32 v13, v3
	v_mov_b32_e32 v15, v3
	v_mov_b32_e32 v17, v3
	v_mov_b32_e32 v19, v3
	v_mov_b32_e32 v21, v3
	v_mov_b32_e32 v23, v3
	v_mov_b32_e32 v25, v3
	v_mov_b32_e32 v27, v3
	v_mov_b32_e32 v29, v3
	v_mov_b32_e32 v31, v3
	v_mov_b32_e32 v33, v3
	v_add_u32_e32 v34, s31, v32
	v_mov_b32_e32 v35, v3
	v_add_u32_e32 v50, v36, v37
	v_mov_b64_e32 v[36:37], s[66:67]
	s_mov_b64 s[70:71], 0xa0
	s_mov_b64 s[72:73], 0xc0
	;; [unrolled: 1-line block ×11, first 2 shown]
	v_mov_b32_e32 v51, 1
	v_mov_b32_e32 v40, 0
	s_branch .LBB122_7
.LBB122_6:                              ;   in Loop: Header=BB122_7 Depth=1
	s_or_b64 exec, exec, s[18:19]
	s_waitcnt lgkmcnt(0)
	s_barrier
	ds_read_b32 v40, v3
	s_add_i32 s30, s31, s30
	s_waitcnt lgkmcnt(0)
	s_barrier
	v_cmp_gt_i32_e32 vcc, s20, v40
	s_cbranch_vccz .LBB122_65
.LBB122_7:                              ; =>This Loop Header: Depth=1
                                        ;     Child Loop BB122_10 Depth 2
	v_add_u32_e32 v38, v49, v43
	v_cmp_lt_i32_e32 vcc, v38, v42
	v_mov_b32_e32 v52, s20
	v_mov_b32_e32 v49, v42
	ds_write_b8 v3, v45 offset:32768
	ds_write2_b64 v48, v[36:37], v[36:37] offset1:4
	ds_write2_b64 v48, v[36:37], v[36:37] offset0:8 offset1:12
	ds_write2_b64 v48, v[36:37], v[36:37] offset0:16 offset1:20
	;; [unrolled: 1-line block ×7, first 2 shown]
	s_waitcnt lgkmcnt(0)
	s_barrier
	s_and_saveexec_b64 s[92:93], vcc
	s_cbranch_execz .LBB122_15
; %bb.8:                                ;   in Loop: Header=BB122_7 Depth=1
	v_mul_lo_u32 v41, v40, s22
	s_mov_b64 s[94:95], 0
	v_mov_b32_e32 v52, s20
	v_mov_b32_e32 v49, v42
	s_branch .LBB122_10
.LBB122_9:                              ;   in Loop: Header=BB122_10 Depth=2
	s_or_b64 exec, exec, s[18:19]
	v_add_u32_e32 v38, 4, v38
	v_cmp_ge_i32_e64 s[18:19], v38, v42
	s_xor_b64 s[66:67], vcc, -1
	s_or_b64 s[18:19], s[66:67], s[18:19]
	s_and_b64 s[18:19], exec, s[18:19]
	s_or_b64 s[94:95], s[18:19], s[94:95]
	s_andn2_b64 exec, exec, s[94:95]
	s_cbranch_execz .LBB122_14
.LBB122_10:                             ;   Parent Loop BB122_7 Depth=1
                                        ; =>  This Inner Loop Header: Depth=2
	v_ashrrev_i32_e32 v39, 31, v38
	v_lshl_add_u64 v[54:55], v[38:39], 2, s[28:29]
	global_load_dword v53, v[54:55], off
	s_waitcnt vmcnt(0)
	v_subrev_u32_e32 v53, s23, v53
	v_sub_u32_e32 v55, 0, v53
	v_max_i32_e32 v55, v53, v55
	v_mul_hi_u32 v56, v55, v50
	v_mul_lo_u32 v57, v56, s21
	v_sub_u32_e32 v55, v55, v57
	v_add_u32_e32 v58, 1, v56
	v_cmp_le_u32_e32 vcc, s21, v55
	v_subrev_u32_e32 v57, s21, v55
	v_ashrrev_i32_e32 v54, 31, v53
	v_cndmask_b32_e32 v56, v56, v58, vcc
	v_cndmask_b32_e32 v55, v55, v57, vcc
	v_add_u32_e32 v57, 1, v56
	v_cmp_le_u32_e32 vcc, s21, v55
	v_xor_b32_e32 v54, s96, v54
	s_nop 0
	v_cndmask_b32_e32 v55, v56, v57, vcc
	v_xor_b32_e32 v55, v55, v54
	v_sub_u32_e32 v55, v55, v54
	v_cmp_eq_u32_e32 vcc, v55, v40
	v_cmp_ne_u32_e64 s[18:19], v55, v40
	v_mov_b32_e32 v54, v49
	s_and_saveexec_b64 s[66:67], s[18:19]
	s_xor_b64 s[18:19], exec, s[66:67]
; %bb.11:                               ;   in Loop: Header=BB122_10 Depth=2
	v_min_i32_e32 v52, v55, v52
                                        ; implicit-def: $vgpr53
                                        ; implicit-def: $vgpr54
; %bb.12:                               ;   in Loop: Header=BB122_10 Depth=2
	s_or_saveexec_b64 s[18:19], s[18:19]
	v_mov_b32_e32 v49, v38
	s_xor_b64 exec, exec, s[18:19]
	s_cbranch_execz .LBB122_9
; %bb.13:                               ;   in Loop: Header=BB122_10 Depth=2
	v_lshl_add_u64 v[56:57], v[38:39], 3, s[26:27]
	global_load_dwordx2 v[56:57], v[56:57], off
	v_sub_u32_e32 v39, v53, v41
	v_add_lshl_u32 v39, v39, v44, 3
	v_mov_b32_e32 v49, v54
	ds_write_b8 v3, v51 offset:32768
	s_waitcnt vmcnt(0)
	ds_write_b64 v39, v[56:57]
	s_branch .LBB122_9
.LBB122_14:                             ;   in Loop: Header=BB122_7 Depth=1
	s_or_b64 exec, exec, s[94:95]
.LBB122_15:                             ;   in Loop: Header=BB122_7 Depth=1
	s_or_b64 exec, exec, s[92:93]
	v_mov_b32_dpp v38, v49 row_shr:1 row_mask:0xf bank_mask:0xf
	v_min_i32_e32 v38, v38, v49
	s_waitcnt lgkmcnt(0)
	s_barrier
	ds_read_u8 v39, v3 offset:32768
	v_mov_b32_dpp v41, v38 row_shr:2 row_mask:0xf bank_mask:0xf
	v_min_i32_e32 v38, v41, v38
	ds_bpermute_b32 v49, v46, v38
	s_mov_b32 s31, 0
	s_waitcnt lgkmcnt(1)
	v_cmp_eq_u32_e32 vcc, 0, v39
	s_cbranch_vccnz .LBB122_34
; %bb.16:                               ;   in Loop: Header=BB122_7 Depth=1
	s_ashr_i32 s31, s30, 31
	s_lshl_b64 s[18:19], s[30:31], 2
	s_add_u32 s18, s24, s18
	v_add_u32_e32 v38, s33, v40
	s_addc_u32 s19, s25, s19
	global_store_dword v3, v38, s[18:19]
	s_mul_hi_u32 s18, s98, s30
	s_mul_i32 s19, s98, s31
	s_add_i32 s18, s18, s19
	s_mul_i32 s19, s97, s30
	s_add_i32 s19, s18, s19
	s_mul_i32 s18, s98, s30
	s_lshl_b64 s[18:19], s[18:19], 3
	v_lshl_add_u64 v[38:39], v[4:5], 0, s[18:19]
	v_lshl_add_u64 v[40:41], v[6:7], 0, s[18:19]
	s_and_saveexec_b64 s[18:19], s[34:35]
	s_cbranch_execnz .LBB122_50
; %bb.17:                               ;   in Loop: Header=BB122_7 Depth=1
	s_or_b64 exec, exec, s[18:19]
	s_and_saveexec_b64 s[18:19], s[36:37]
	s_cbranch_execnz .LBB122_51
.LBB122_18:                             ;   in Loop: Header=BB122_7 Depth=1
	s_or_b64 exec, exec, s[18:19]
	s_and_saveexec_b64 s[18:19], s[38:39]
	s_cbranch_execnz .LBB122_52
.LBB122_19:                             ;   in Loop: Header=BB122_7 Depth=1
	s_or_b64 exec, exec, s[18:19]
	s_and_saveexec_b64 s[18:19], s[40:41]
	s_cbranch_execnz .LBB122_53
.LBB122_20:                             ;   in Loop: Header=BB122_7 Depth=1
	s_or_b64 exec, exec, s[18:19]
	s_and_saveexec_b64 s[18:19], s[42:43]
	s_cbranch_execnz .LBB122_54
.LBB122_21:                             ;   in Loop: Header=BB122_7 Depth=1
	s_or_b64 exec, exec, s[18:19]
	s_and_saveexec_b64 s[18:19], s[44:45]
	s_cbranch_execnz .LBB122_55
.LBB122_22:                             ;   in Loop: Header=BB122_7 Depth=1
	s_or_b64 exec, exec, s[18:19]
	s_and_saveexec_b64 s[18:19], s[46:47]
	s_cbranch_execnz .LBB122_56
.LBB122_23:                             ;   in Loop: Header=BB122_7 Depth=1
	s_or_b64 exec, exec, s[18:19]
	s_and_saveexec_b64 s[18:19], s[48:49]
	s_cbranch_execnz .LBB122_57
.LBB122_24:                             ;   in Loop: Header=BB122_7 Depth=1
	s_or_b64 exec, exec, s[18:19]
	s_and_saveexec_b64 s[18:19], s[50:51]
	s_cbranch_execnz .LBB122_58
.LBB122_25:                             ;   in Loop: Header=BB122_7 Depth=1
	s_or_b64 exec, exec, s[18:19]
	s_and_saveexec_b64 s[18:19], s[52:53]
	s_cbranch_execnz .LBB122_59
.LBB122_26:                             ;   in Loop: Header=BB122_7 Depth=1
	s_or_b64 exec, exec, s[18:19]
	s_and_saveexec_b64 s[18:19], s[54:55]
	s_cbranch_execnz .LBB122_60
.LBB122_27:                             ;   in Loop: Header=BB122_7 Depth=1
	s_or_b64 exec, exec, s[18:19]
	s_and_saveexec_b64 s[18:19], s[56:57]
	s_cbranch_execnz .LBB122_61
.LBB122_28:                             ;   in Loop: Header=BB122_7 Depth=1
	s_or_b64 exec, exec, s[18:19]
	s_and_saveexec_b64 s[18:19], s[58:59]
	s_cbranch_execnz .LBB122_62
.LBB122_29:                             ;   in Loop: Header=BB122_7 Depth=1
	s_or_b64 exec, exec, s[18:19]
	s_and_saveexec_b64 s[18:19], s[60:61]
	s_cbranch_execnz .LBB122_63
.LBB122_30:                             ;   in Loop: Header=BB122_7 Depth=1
	s_or_b64 exec, exec, s[18:19]
	s_and_saveexec_b64 s[18:19], s[62:63]
	s_cbranch_execnz .LBB122_64
.LBB122_31:                             ;   in Loop: Header=BB122_7 Depth=1
	s_or_b64 exec, exec, s[18:19]
	s_and_saveexec_b64 s[18:19], s[64:65]
	s_cbranch_execz .LBB122_33
.LBB122_32:                             ;   in Loop: Header=BB122_7 Depth=1
	ds_read_b64 v[54:55], v48 offset:480
	v_lshl_add_u64 v[40:41], v[40:41], 0, s[90:91]
	v_lshl_add_u64 v[38:39], v[34:35], 3, v[38:39]
	v_cndmask_b32_e64 v39, v39, v41, s[0:1]
	v_cndmask_b32_e64 v38, v38, v40, s[0:1]
	s_waitcnt lgkmcnt(0)
	global_store_dwordx2 v[38:39], v[54:55], off
.LBB122_33:                             ;   in Loop: Header=BB122_7 Depth=1
	s_or_b64 exec, exec, s[18:19]
	s_mov_b32 s31, 1
.LBB122_34:                             ;   in Loop: Header=BB122_7 Depth=1
	s_waitcnt lgkmcnt(0)
	s_barrier
	ds_write_b32 v47, v52
	s_waitcnt lgkmcnt(0)
	s_barrier
	s_and_saveexec_b64 s[18:19], s[2:3]
	s_cbranch_execz .LBB122_36
; %bb.35:                               ;   in Loop: Header=BB122_7 Depth=1
	ds_read2st64_b32 v[38:39], v47 offset1:2
	s_waitcnt lgkmcnt(0)
	v_min_i32_e32 v38, v39, v38
	ds_write_b32 v47, v38
.LBB122_36:                             ;   in Loop: Header=BB122_7 Depth=1
	s_or_b64 exec, exec, s[18:19]
	s_waitcnt lgkmcnt(0)
	s_barrier
	s_and_saveexec_b64 s[18:19], s[4:5]
	s_cbranch_execz .LBB122_38
; %bb.37:                               ;   in Loop: Header=BB122_7 Depth=1
	ds_read2st64_b32 v[38:39], v47 offset1:1
	s_waitcnt lgkmcnt(0)
	v_min_i32_e32 v38, v39, v38
	ds_write_b32 v47, v38
.LBB122_38:                             ;   in Loop: Header=BB122_7 Depth=1
	s_or_b64 exec, exec, s[18:19]
	s_waitcnt lgkmcnt(0)
	s_barrier
	s_and_saveexec_b64 s[18:19], s[6:7]
	s_cbranch_execz .LBB122_40
; %bb.39:                               ;   in Loop: Header=BB122_7 Depth=1
	ds_read2_b32 v[38:39], v47 offset1:32
	s_waitcnt lgkmcnt(0)
	v_min_i32_e32 v38, v39, v38
	ds_write_b32 v47, v38
.LBB122_40:                             ;   in Loop: Header=BB122_7 Depth=1
	s_or_b64 exec, exec, s[18:19]
	s_waitcnt lgkmcnt(0)
	s_barrier
	s_and_saveexec_b64 s[18:19], s[8:9]
	s_cbranch_execz .LBB122_42
; %bb.41:                               ;   in Loop: Header=BB122_7 Depth=1
	ds_read2_b32 v[38:39], v47 offset1:16
	s_waitcnt lgkmcnt(0)
	v_min_i32_e32 v38, v39, v38
	ds_write_b32 v47, v38
.LBB122_42:                             ;   in Loop: Header=BB122_7 Depth=1
	;; [unrolled: 11-line block ×5, first 2 shown]
	s_or_b64 exec, exec, s[18:19]
	s_waitcnt lgkmcnt(0)
	s_barrier
	s_and_saveexec_b64 s[18:19], s[16:17]
	s_cbranch_execz .LBB122_6
; %bb.49:                               ;   in Loop: Header=BB122_7 Depth=1
	ds_read_b64 v[38:39], v3
	s_waitcnt lgkmcnt(0)
	v_min_i32_e32 v38, v39, v38
	ds_write_b32 v3, v38
	s_branch .LBB122_6
.LBB122_50:                             ;   in Loop: Header=BB122_7 Depth=1
	ds_read_b64 v[54:55], v48
	v_lshl_add_u64 v[56:57], v[2:3], 3, v[38:39]
	v_cndmask_b32_e64 v57, v57, v41, s[0:1]
	v_cndmask_b32_e64 v56, v56, v40, s[0:1]
	s_waitcnt lgkmcnt(0)
	global_store_dwordx2 v[56:57], v[54:55], off
	s_or_b64 exec, exec, s[18:19]
	s_and_saveexec_b64 s[18:19], s[36:37]
	s_cbranch_execz .LBB122_18
.LBB122_51:                             ;   in Loop: Header=BB122_7 Depth=1
	ds_read_b64 v[54:55], v48 offset:32
	v_lshl_add_u64 v[56:57], v[40:41], 0, 32
	v_lshl_add_u64 v[58:59], v[0:1], 3, v[38:39]
	v_cndmask_b32_e64 v57, v59, v57, s[0:1]
	v_cndmask_b32_e64 v56, v58, v56, s[0:1]
	s_waitcnt lgkmcnt(0)
	global_store_dwordx2 v[56:57], v[54:55], off
	s_or_b64 exec, exec, s[18:19]
	s_and_saveexec_b64 s[18:19], s[38:39]
	s_cbranch_execz .LBB122_19
.LBB122_52:                             ;   in Loop: Header=BB122_7 Depth=1
	ds_read_b64 v[54:55], v48 offset:64
	v_lshl_add_u64 v[56:57], v[40:41], 0, 64
	v_lshl_add_u64 v[58:59], v[8:9], 3, v[38:39]
	v_cndmask_b32_e64 v57, v59, v57, s[0:1]
	v_cndmask_b32_e64 v56, v58, v56, s[0:1]
	s_waitcnt lgkmcnt(0)
	global_store_dwordx2 v[56:57], v[54:55], off
	s_or_b64 exec, exec, s[18:19]
	s_and_saveexec_b64 s[18:19], s[40:41]
	s_cbranch_execz .LBB122_20
.LBB122_53:                             ;   in Loop: Header=BB122_7 Depth=1
	ds_read_b64 v[54:55], v48 offset:96
	s_mov_b64 s[66:67], 0x60
	v_lshl_add_u64 v[56:57], v[40:41], 0, s[66:67]
	v_lshl_add_u64 v[58:59], v[10:11], 3, v[38:39]
	v_cndmask_b32_e64 v57, v59, v57, s[0:1]
	v_cndmask_b32_e64 v56, v58, v56, s[0:1]
	s_waitcnt lgkmcnt(0)
	global_store_dwordx2 v[56:57], v[54:55], off
	s_or_b64 exec, exec, s[18:19]
	s_and_saveexec_b64 s[18:19], s[42:43]
	s_cbranch_execz .LBB122_21
.LBB122_54:                             ;   in Loop: Header=BB122_7 Depth=1
	ds_read_b64 v[54:55], v48 offset:128
	s_mov_b64 s[66:67], 0x80
	v_lshl_add_u64 v[56:57], v[40:41], 0, s[66:67]
	v_lshl_add_u64 v[58:59], v[12:13], 3, v[38:39]
	v_cndmask_b32_e64 v57, v59, v57, s[0:1]
	v_cndmask_b32_e64 v56, v58, v56, s[0:1]
	s_waitcnt lgkmcnt(0)
	global_store_dwordx2 v[56:57], v[54:55], off
	s_or_b64 exec, exec, s[18:19]
	s_and_saveexec_b64 s[18:19], s[44:45]
	s_cbranch_execz .LBB122_22
.LBB122_55:                             ;   in Loop: Header=BB122_7 Depth=1
	ds_read_b64 v[54:55], v48 offset:160
	v_lshl_add_u64 v[56:57], v[40:41], 0, s[70:71]
	v_lshl_add_u64 v[58:59], v[14:15], 3, v[38:39]
	v_cndmask_b32_e64 v57, v59, v57, s[0:1]
	v_cndmask_b32_e64 v56, v58, v56, s[0:1]
	s_waitcnt lgkmcnt(0)
	global_store_dwordx2 v[56:57], v[54:55], off
	s_or_b64 exec, exec, s[18:19]
	s_and_saveexec_b64 s[18:19], s[46:47]
	s_cbranch_execz .LBB122_23
.LBB122_56:                             ;   in Loop: Header=BB122_7 Depth=1
	ds_read_b64 v[54:55], v48 offset:192
	v_lshl_add_u64 v[56:57], v[40:41], 0, s[72:73]
	v_lshl_add_u64 v[58:59], v[16:17], 3, v[38:39]
	v_cndmask_b32_e64 v57, v59, v57, s[0:1]
	v_cndmask_b32_e64 v56, v58, v56, s[0:1]
	s_waitcnt lgkmcnt(0)
	global_store_dwordx2 v[56:57], v[54:55], off
	s_or_b64 exec, exec, s[18:19]
	s_and_saveexec_b64 s[18:19], s[48:49]
	s_cbranch_execz .LBB122_24
.LBB122_57:                             ;   in Loop: Header=BB122_7 Depth=1
	ds_read_b64 v[54:55], v48 offset:224
	v_lshl_add_u64 v[56:57], v[40:41], 0, s[74:75]
	v_lshl_add_u64 v[58:59], v[18:19], 3, v[38:39]
	v_cndmask_b32_e64 v57, v59, v57, s[0:1]
	v_cndmask_b32_e64 v56, v58, v56, s[0:1]
	s_waitcnt lgkmcnt(0)
	global_store_dwordx2 v[56:57], v[54:55], off
	s_or_b64 exec, exec, s[18:19]
	s_and_saveexec_b64 s[18:19], s[50:51]
	s_cbranch_execz .LBB122_25
.LBB122_58:                             ;   in Loop: Header=BB122_7 Depth=1
	ds_read_b64 v[54:55], v48 offset:256
	v_lshl_add_u64 v[56:57], v[40:41], 0, s[76:77]
	v_lshl_add_u64 v[58:59], v[20:21], 3, v[38:39]
	v_cndmask_b32_e64 v57, v59, v57, s[0:1]
	v_cndmask_b32_e64 v56, v58, v56, s[0:1]
	s_waitcnt lgkmcnt(0)
	global_store_dwordx2 v[56:57], v[54:55], off
	s_or_b64 exec, exec, s[18:19]
	s_and_saveexec_b64 s[18:19], s[52:53]
	s_cbranch_execz .LBB122_26
.LBB122_59:                             ;   in Loop: Header=BB122_7 Depth=1
	ds_read_b64 v[54:55], v48 offset:288
	v_lshl_add_u64 v[56:57], v[40:41], 0, s[78:79]
	v_lshl_add_u64 v[58:59], v[22:23], 3, v[38:39]
	v_cndmask_b32_e64 v57, v59, v57, s[0:1]
	v_cndmask_b32_e64 v56, v58, v56, s[0:1]
	s_waitcnt lgkmcnt(0)
	global_store_dwordx2 v[56:57], v[54:55], off
	s_or_b64 exec, exec, s[18:19]
	s_and_saveexec_b64 s[18:19], s[54:55]
	s_cbranch_execz .LBB122_27
.LBB122_60:                             ;   in Loop: Header=BB122_7 Depth=1
	ds_read_b64 v[54:55], v48 offset:320
	v_lshl_add_u64 v[56:57], v[40:41], 0, s[80:81]
	v_lshl_add_u64 v[58:59], v[24:25], 3, v[38:39]
	v_cndmask_b32_e64 v57, v59, v57, s[0:1]
	v_cndmask_b32_e64 v56, v58, v56, s[0:1]
	s_waitcnt lgkmcnt(0)
	global_store_dwordx2 v[56:57], v[54:55], off
	s_or_b64 exec, exec, s[18:19]
	s_and_saveexec_b64 s[18:19], s[56:57]
	s_cbranch_execz .LBB122_28
.LBB122_61:                             ;   in Loop: Header=BB122_7 Depth=1
	ds_read_b64 v[54:55], v48 offset:352
	v_lshl_add_u64 v[56:57], v[40:41], 0, s[82:83]
	v_lshl_add_u64 v[58:59], v[26:27], 3, v[38:39]
	v_cndmask_b32_e64 v57, v59, v57, s[0:1]
	v_cndmask_b32_e64 v56, v58, v56, s[0:1]
	s_waitcnt lgkmcnt(0)
	global_store_dwordx2 v[56:57], v[54:55], off
	s_or_b64 exec, exec, s[18:19]
	s_and_saveexec_b64 s[18:19], s[58:59]
	s_cbranch_execz .LBB122_29
.LBB122_62:                             ;   in Loop: Header=BB122_7 Depth=1
	ds_read_b64 v[54:55], v48 offset:384
	v_lshl_add_u64 v[56:57], v[40:41], 0, s[84:85]
	v_lshl_add_u64 v[58:59], v[28:29], 3, v[38:39]
	v_cndmask_b32_e64 v57, v59, v57, s[0:1]
	v_cndmask_b32_e64 v56, v58, v56, s[0:1]
	s_waitcnt lgkmcnt(0)
	global_store_dwordx2 v[56:57], v[54:55], off
	s_or_b64 exec, exec, s[18:19]
	s_and_saveexec_b64 s[18:19], s[60:61]
	s_cbranch_execz .LBB122_30
.LBB122_63:                             ;   in Loop: Header=BB122_7 Depth=1
	ds_read_b64 v[54:55], v48 offset:416
	v_lshl_add_u64 v[56:57], v[40:41], 0, s[86:87]
	v_lshl_add_u64 v[58:59], v[30:31], 3, v[38:39]
	v_cndmask_b32_e64 v57, v59, v57, s[0:1]
	v_cndmask_b32_e64 v56, v58, v56, s[0:1]
	s_waitcnt lgkmcnt(0)
	global_store_dwordx2 v[56:57], v[54:55], off
	s_or_b64 exec, exec, s[18:19]
	s_and_saveexec_b64 s[18:19], s[62:63]
	s_cbranch_execz .LBB122_31
.LBB122_64:                             ;   in Loop: Header=BB122_7 Depth=1
	ds_read_b64 v[54:55], v48 offset:448
	v_lshl_add_u64 v[56:57], v[40:41], 0, s[88:89]
	v_lshl_add_u64 v[58:59], v[32:33], 3, v[38:39]
	v_cndmask_b32_e64 v57, v59, v57, s[0:1]
	v_cndmask_b32_e64 v56, v58, v56, s[0:1]
	s_waitcnt lgkmcnt(0)
	global_store_dwordx2 v[56:57], v[54:55], off
	s_or_b64 exec, exec, s[18:19]
	s_and_saveexec_b64 s[18:19], s[64:65]
	s_cbranch_execnz .LBB122_32
	s_branch .LBB122_33
.LBB122_65:
	s_endpgm
	.section	.rodata,"a",@progbits
	.p2align	6, 0x0
	.amdhsa_kernel _ZN9rocsparseL40csr2gebsr_block_per_row_multipass_kernelILj256ELj64ELj64EdEEv20rocsparse_direction_iiiiii21rocsparse_index_base_PKT2_PKiS7_S2_PS3_PiS9_
		.amdhsa_group_segment_fixed_size 32776
		.amdhsa_private_segment_fixed_size 0
		.amdhsa_kernarg_size 88
		.amdhsa_user_sgpr_count 2
		.amdhsa_user_sgpr_dispatch_ptr 0
		.amdhsa_user_sgpr_queue_ptr 0
		.amdhsa_user_sgpr_kernarg_segment_ptr 1
		.amdhsa_user_sgpr_dispatch_id 0
		.amdhsa_user_sgpr_kernarg_preload_length 0
		.amdhsa_user_sgpr_kernarg_preload_offset 0
		.amdhsa_user_sgpr_private_segment_size 0
		.amdhsa_uses_dynamic_stack 0
		.amdhsa_enable_private_segment 0
		.amdhsa_system_sgpr_workgroup_id_x 1
		.amdhsa_system_sgpr_workgroup_id_y 0
		.amdhsa_system_sgpr_workgroup_id_z 0
		.amdhsa_system_sgpr_workgroup_info 0
		.amdhsa_system_vgpr_workitem_id 0
		.amdhsa_next_free_vgpr 60
		.amdhsa_next_free_sgpr 99
		.amdhsa_accum_offset 60
		.amdhsa_reserve_vcc 1
		.amdhsa_float_round_mode_32 0
		.amdhsa_float_round_mode_16_64 0
		.amdhsa_float_denorm_mode_32 3
		.amdhsa_float_denorm_mode_16_64 3
		.amdhsa_dx10_clamp 1
		.amdhsa_ieee_mode 1
		.amdhsa_fp16_overflow 0
		.amdhsa_tg_split 0
		.amdhsa_exception_fp_ieee_invalid_op 0
		.amdhsa_exception_fp_denorm_src 0
		.amdhsa_exception_fp_ieee_div_zero 0
		.amdhsa_exception_fp_ieee_overflow 0
		.amdhsa_exception_fp_ieee_underflow 0
		.amdhsa_exception_fp_ieee_inexact 0
		.amdhsa_exception_int_div_zero 0
	.end_amdhsa_kernel
	.section	.text._ZN9rocsparseL40csr2gebsr_block_per_row_multipass_kernelILj256ELj64ELj64EdEEv20rocsparse_direction_iiiiii21rocsparse_index_base_PKT2_PKiS7_S2_PS3_PiS9_,"axG",@progbits,_ZN9rocsparseL40csr2gebsr_block_per_row_multipass_kernelILj256ELj64ELj64EdEEv20rocsparse_direction_iiiiii21rocsparse_index_base_PKT2_PKiS7_S2_PS3_PiS9_,comdat
.Lfunc_end122:
	.size	_ZN9rocsparseL40csr2gebsr_block_per_row_multipass_kernelILj256ELj64ELj64EdEEv20rocsparse_direction_iiiiii21rocsparse_index_base_PKT2_PKiS7_S2_PS3_PiS9_, .Lfunc_end122-_ZN9rocsparseL40csr2gebsr_block_per_row_multipass_kernelILj256ELj64ELj64EdEEv20rocsparse_direction_iiiiii21rocsparse_index_base_PKT2_PKiS7_S2_PS3_PiS9_
                                        ; -- End function
	.section	.AMDGPU.csdata,"",@progbits
; Kernel info:
; codeLenInByte = 3144
; NumSgprs: 105
; NumVgprs: 60
; NumAgprs: 0
; TotalNumVgprs: 60
; ScratchSize: 0
; MemoryBound: 0
; FloatMode: 240
; IeeeMode: 1
; LDSByteSize: 32776 bytes/workgroup (compile time only)
; SGPRBlocks: 13
; VGPRBlocks: 7
; NumSGPRsForWavesPerEU: 105
; NumVGPRsForWavesPerEU: 60
; AccumOffset: 60
; Occupancy: 1
; WaveLimiterHint : 0
; COMPUTE_PGM_RSRC2:SCRATCH_EN: 0
; COMPUTE_PGM_RSRC2:USER_SGPR: 2
; COMPUTE_PGM_RSRC2:TRAP_HANDLER: 0
; COMPUTE_PGM_RSRC2:TGID_X_EN: 1
; COMPUTE_PGM_RSRC2:TGID_Y_EN: 0
; COMPUTE_PGM_RSRC2:TGID_Z_EN: 0
; COMPUTE_PGM_RSRC2:TIDIG_COMP_CNT: 0
; COMPUTE_PGM_RSRC3_GFX90A:ACCUM_OFFSET: 14
; COMPUTE_PGM_RSRC3_GFX90A:TG_SPLIT: 0
	.section	.text._ZN9rocsparseL23csr2gebsr_65_inf_kernelILi32EdEEv20rocsparse_direction_iiiiiii21rocsparse_index_base_PKT0_PKiS7_S2_PS3_PiS9_S9_S8_,"axG",@progbits,_ZN9rocsparseL23csr2gebsr_65_inf_kernelILi32EdEEv20rocsparse_direction_iiiiiii21rocsparse_index_base_PKT0_PKiS7_S2_PS3_PiS9_S9_S8_,comdat
	.globl	_ZN9rocsparseL23csr2gebsr_65_inf_kernelILi32EdEEv20rocsparse_direction_iiiiiii21rocsparse_index_base_PKT0_PKiS7_S2_PS3_PiS9_S9_S8_ ; -- Begin function _ZN9rocsparseL23csr2gebsr_65_inf_kernelILi32EdEEv20rocsparse_direction_iiiiiii21rocsparse_index_base_PKT0_PKiS7_S2_PS3_PiS9_S9_S8_
	.p2align	8
	.type	_ZN9rocsparseL23csr2gebsr_65_inf_kernelILi32EdEEv20rocsparse_direction_iiiiiii21rocsparse_index_base_PKT0_PKiS7_S2_PS3_PiS9_S9_S8_,@function
_ZN9rocsparseL23csr2gebsr_65_inf_kernelILi32EdEEv20rocsparse_direction_iiiiiii21rocsparse_index_base_PKT0_PKiS7_S2_PS3_PiS9_S9_S8_: ; @_ZN9rocsparseL23csr2gebsr_65_inf_kernelILi32EdEEv20rocsparse_direction_iiiiiii21rocsparse_index_base_PKT0_PKiS7_S2_PS3_PiS9_S9_S8_
; %bb.0:
	s_load_dwordx4 s[8:11], s[0:1], 0x0
	s_load_dwordx2 s[4:5], s[0:1], 0x60
	s_load_dword s33, s[0:1], 0x40
	s_waitcnt lgkmcnt(0)
	s_cmp_ge_i32 s2, s11
	s_mov_b32 s11, 0
	s_cbranch_scc1 .LBB123_2
; %bb.1:
	s_load_dwordx2 s[6:7], s[0:1], 0x50
	s_ashr_i32 s3, s2, 31
	s_lshl_b64 s[12:13], s[2:3], 2
	s_waitcnt lgkmcnt(0)
	s_add_u32 s6, s6, s12
	s_addc_u32 s7, s7, s13
	s_load_dword s3, s[6:7], 0x0
	s_waitcnt lgkmcnt(0)
	s_sub_i32 s11, s3, s33
.LBB123_2:
	s_load_dwordx4 s[12:15], s[0:1], 0x14
	s_waitcnt lgkmcnt(0)
	s_mul_i32 s3, s2, s14
	s_mul_i32 s6, s3, 0x60
	s_ashr_i32 s7, s6, 31
	s_lshl_b64 s[6:7], s[6:7], 2
	s_add_u32 s22, s4, s6
	s_addc_u32 s23, s5, s7
	s_lshl_b32 s20, s14, 5
	v_mul_lo_u32 v8, v0, s14
	s_ashr_i32 s21, s20, 31
	v_ashrrev_i32_e32 v9, 31, v8
	s_cmp_gt_i32 s14, 0
	s_cselect_b64 s[24:25], -1, 0
	s_cmp_lt_i32 s14, 1
	v_lshl_add_u64 v[2:3], v[8:9], 2, s[22:23]
	s_cbranch_scc1 .LBB123_7
; %bb.3:
	s_load_dwordx2 s[6:7], s[0:1], 0x30
	s_mul_i32 s3, s2, s12
	s_lshl_b64 s[16:17], s[20:21], 2
	v_mov_b32_e32 v1, 0
	v_mov_b32_e32 v12, v0
	v_mov_b64_e32 v[4:5], v[2:3]
	s_mov_b32 s18, s14
	s_branch .LBB123_5
.LBB123_4:                              ;   in Loop: Header=BB123_5 Depth=1
	s_or_b64 exec, exec, s[4:5]
	s_add_i32 s18, s18, -1
	v_lshl_add_u64 v[4:5], v[4:5], 0, 4
	s_cmp_eq_u32 s18, 0
	v_add_u32_e32 v12, 32, v12
	s_cbranch_scc1 .LBB123_7
.LBB123_5:                              ; =>This Inner Loop Header: Depth=1
	v_add_u32_e32 v10, s3, v12
	v_cmp_gt_i32_e32 vcc, s9, v10
	v_cmp_gt_i32_e64 s[4:5], s12, v12
	v_lshl_add_u64 v[6:7], v[4:5], 0, s[16:17]
	s_and_b64 s[26:27], vcc, s[4:5]
	global_store_dword v[4:5], v1, off
	global_store_dword v[6:7], v1, off
	s_and_saveexec_b64 s[4:5], s[26:27]
	s_cbranch_execz .LBB123_4
; %bb.6:                                ;   in Loop: Header=BB123_5 Depth=1
	v_ashrrev_i32_e32 v11, 31, v10
	s_waitcnt lgkmcnt(0)
	v_lshl_add_u64 v[10:11], v[10:11], 2, s[6:7]
	global_load_dwordx2 v[10:11], v[10:11], off
	s_waitcnt vmcnt(0)
	v_subrev_u32_e32 v10, s15, v10
	v_subrev_u32_e32 v11, s15, v11
	global_store_dword v[4:5], v10, off
	global_store_dword v[6:7], v11, off
	s_branch .LBB123_4
.LBB123_7:
	s_cmp_lt_i32 s10, 1
	s_cbranch_scc1 .LBB123_37
; %bb.8:
	s_load_dwordx2 s[26:27], s[0:1], 0x68
	s_load_dwordx2 s[4:5], s[0:1], 0x28
	s_waitcnt lgkmcnt(0)
	s_load_dwordx2 s[6:7], s[0:1], 0x58
	s_load_dwordx2 s[16:17], s[0:1], 0x48
	;; [unrolled: 1-line block ×3, first 2 shown]
	s_lshl_b64 s[0:1], s[20:21], 2
	s_add_u32 s0, s22, s0
	s_addc_u32 s1, s23, s1
	s_ashr_i32 s23, s14, 31
	s_mov_b32 s22, s14
	v_lshlrev_b64 v[6:7], 2, v[8:9]
	s_lshl_b64 s[22:23], s[22:23], 7
	v_lshl_add_u64 v[4:5], s[0:1], 0, v[6:7]
	s_add_u32 s0, s0, s22
	s_addc_u32 s1, s1, s23
	v_lshl_add_u64 v[6:7], s[0:1], 0, v[6:7]
	s_mul_i32 s0, s20, s2
	s_ashr_i32 s1, s0, 31
	s_lshl_b64 s[0:1], s[0:1], 3
	s_add_u32 s0, s26, s0
	s_addc_u32 s1, s27, s1
	s_cmp_lg_u32 s8, 0
	s_cselect_b64 s[20:21], -1, 0
	s_abs_i32 s38, s13
	v_cvt_f32_u32_e32 v1, s38
	v_mbcnt_lo_u32_b32 v11, -1, 0
	v_mbcnt_hi_u32_b32 v11, -1, v11
	v_mov_b32_e32 v12, 0x7c
	v_rcp_iflag_f32_e32 v13, v1
	v_lshl_or_b32 v1, v11, 2, v12
	s_sub_i32 s2, 0, s38
	v_lshl_add_u64 v[8:9], v[8:9], 3, s[0:1]
	v_mul_f32_e32 v11, 0x4f7ffffe, v13
	v_cvt_u32_f32_e32 v11, v11
	v_cmp_eq_u32_e64 s[0:1], 31, v0
	s_mov_b32 s9, 0
	v_mov_b32_e32 v10, 0
	v_mul_lo_u32 v12, s2, v11
	v_mul_hi_u32 v12, v11, v12
	v_add_u32_e32 v26, v11, v12
	v_cndmask_b32_e64 v11, 0, 1, s[24:25]
	s_add_i32 s39, s11, -1
	s_mul_hi_i32 s40, s13, s12
	s_mul_i32 s41, s13, s12
	s_ashr_i32 s42, s13, 31
	v_mov_b32_e32 v13, 0
	v_mul_lo_u32 v27, v0, s13
	s_lshl_b32 s43, s13, 5
	s_mov_b64 s[22:23], 0
	v_cmp_ne_u32_e64 s[2:3], 1, v11
	v_mov_b32_e32 v12, 0
	v_mov_b32_e32 v28, 0
	;; [unrolled: 1-line block ×3, first 2 shown]
	s_branch .LBB123_10
.LBB123_9:                              ;   in Loop: Header=BB123_10 Depth=1
	s_waitcnt lgkmcnt(0)
	v_add_u32_e32 v12, 1, v11
	v_cmp_le_i32_e32 vcc, s10, v12
	s_or_b64 s[22:23], vcc, s[22:23]
	s_andn2_b64 exec, exec, s[22:23]
	s_cbranch_execz .LBB123_37
.LBB123_10:                             ; =>This Loop Header: Depth=1
                                        ;     Child Loop BB123_14 Depth 2
                                        ;       Child Loop BB123_17 Depth 3
                                        ;     Child Loop BB123_31 Depth 2
	s_and_b64 vcc, exec, s[2:3]
	v_mov_b32_e32 v30, s10
	s_cbranch_vccnz .LBB123_23
; %bb.11:                               ;   in Loop: Header=BB123_10 Depth=1
	s_mov_b32 s8, 0
	v_mov_b32_e32 v30, s10
	s_branch .LBB123_14
.LBB123_12:                             ;   in Loop: Header=BB123_14 Depth=2
	s_or_b64 exec, exec, s[26:27]
.LBB123_13:                             ;   in Loop: Header=BB123_14 Depth=2
	s_or_b64 exec, exec, s[24:25]
	s_add_i32 s8, s8, 1
	s_cmp_eq_u32 s8, s14
	s_cbranch_scc1 .LBB123_23
.LBB123_14:                             ;   Parent Loop BB123_10 Depth=1
                                        ; =>  This Loop Header: Depth=2
                                        ;       Child Loop BB123_17 Depth 3
	s_lshl_b64 s[24:25], s[8:9], 2
	v_lshl_add_u64 v[14:15], v[6:7], 0, s[24:25]
	v_mov_b32_e32 v11, s10
	global_store_dword v[14:15], v11, off
	v_lshl_add_u64 v[16:17], v[2:3], 0, s[24:25]
	v_lshl_add_u64 v[18:19], v[4:5], 0, s[24:25]
	global_load_dword v22, v[16:17], off
	global_load_dword v31, v[18:19], off
	v_lshl_add_u64 v[18:19], s[8:9], 3, v[8:9]
	v_mov_b32_e32 v11, v10
	global_store_dwordx2 v[18:19], v[10:11], off
	s_waitcnt vmcnt(1)
	v_cmp_lt_i32_e32 vcc, v22, v31
	s_and_saveexec_b64 s[24:25], vcc
	s_cbranch_execz .LBB123_13
; %bb.15:                               ;   in Loop: Header=BB123_14 Depth=2
	v_ashrrev_i32_e32 v23, 31, v22
	s_waitcnt lgkmcnt(0)
	v_lshl_add_u64 v[24:25], v[22:23], 2, s[18:19]
	s_mov_b64 s[26:27], 0
                                        ; implicit-def: $sgpr28_sgpr29
                                        ; implicit-def: $sgpr34_sgpr35
                                        ; implicit-def: $sgpr30_sgpr31
	s_branch .LBB123_17
.LBB123_16:                             ;   in Loop: Header=BB123_17 Depth=3
	s_or_b64 exec, exec, s[36:37]
	s_and_b64 s[36:37], exec, s[34:35]
	s_or_b64 s[26:27], s[36:37], s[26:27]
	s_andn2_b64 s[28:29], s[28:29], exec
	s_and_b64 s[36:37], s[30:31], exec
	s_or_b64 s[28:29], s[28:29], s[36:37]
	s_andn2_b64 exec, exec, s[26:27]
	s_cbranch_execz .LBB123_19
.LBB123_17:                             ;   Parent Loop BB123_10 Depth=1
                                        ;     Parent Loop BB123_14 Depth=2
                                        ; =>    This Inner Loop Header: Depth=3
	global_load_dword v11, v[24:25], off
	v_mov_b64_e32 v[20:21], v[22:23]
	s_or_b64 s[30:31], s[30:31], exec
	s_or_b64 s[34:35], s[34:35], exec
                                        ; implicit-def: $vgpr22_vgpr23
	s_waitcnt vmcnt(0)
	v_subrev_u32_e32 v11, s15, v11
	v_cmp_lt_i32_e32 vcc, v11, v12
	s_and_saveexec_b64 s[36:37], vcc
	s_cbranch_execz .LBB123_16
; %bb.18:                               ;   in Loop: Header=BB123_17 Depth=3
	v_lshl_add_u64 v[22:23], v[20:21], 0, 1
	v_cmp_ge_i32_e32 vcc, v22, v31
	s_andn2_b64 s[34:35], s[34:35], exec
	s_and_b64 s[44:45], vcc, exec
	v_lshl_add_u64 v[24:25], v[24:25], 0, 4
	s_andn2_b64 s[30:31], s[30:31], exec
	s_or_b64 s[34:35], s[34:35], s[44:45]
	s_branch .LBB123_16
.LBB123_19:                             ;   in Loop: Header=BB123_14 Depth=2
	s_or_b64 exec, exec, s[26:27]
	s_xor_b64 s[26:27], s[28:29], -1
	v_lshl_add_u64 v[22:23], v[20:21], 3, s[4:5]
	s_and_saveexec_b64 s[28:29], s[26:27]
	s_xor_b64 s[26:27], exec, s[28:29]
	s_cbranch_execz .LBB123_21
; %bb.20:                               ;   in Loop: Header=BB123_14 Depth=2
	global_load_dwordx2 v[16:17], v[22:23], off
                                        ; implicit-def: $vgpr22_vgpr23
	s_nop 0
	global_store_dword v[14:15], v11, off
	s_waitcnt vmcnt(1)
	global_store_dwordx2 v[18:19], v[16:17], off
                                        ; implicit-def: $vgpr14_vgpr15
                                        ; implicit-def: $vgpr18_vgpr19
                                        ; implicit-def: $vgpr16_vgpr17
.LBB123_21:                             ;   in Loop: Header=BB123_14 Depth=2
	s_andn2_saveexec_b64 s[26:27], s[26:27]
	s_cbranch_execz .LBB123_12
; %bb.22:                               ;   in Loop: Header=BB123_14 Depth=2
	global_load_dwordx2 v[22:23], v[22:23], off
	v_min_i32_e32 v30, v11, v30
	global_store_dword v[14:15], v11, off
	s_waitcnt vmcnt(1)
	global_store_dwordx2 v[18:19], v[22:23], off
	global_store_dword v[16:17], v20, off
	s_branch .LBB123_12
.LBB123_23:                             ;   in Loop: Header=BB123_10 Depth=1
	s_nop 0
	v_mov_b32_dpp v11, v30 row_shr:1 row_mask:0xf bank_mask:0xf
	v_min_i32_e32 v11, v11, v30
	s_nop 1
	v_mov_b32_dpp v12, v11 row_shr:2 row_mask:0xf bank_mask:0xf
	v_min_i32_e32 v11, v12, v11
	;; [unrolled: 3-line block ×4, first 2 shown]
	s_nop 1
	v_mov_b32_dpp v12, v11 row_bcast:15 row_mask:0xa bank_mask:0xf
	v_min_i32_e32 v11, v12, v11
	v_cmp_gt_i32_e32 vcc, s10, v11
	s_and_b64 s[26:27], s[0:1], vcc
	s_and_saveexec_b64 s[24:25], s[26:27]
	s_cbranch_execz .LBB123_27
; %bb.24:                               ;   in Loop: Header=BB123_10 Depth=1
	v_sub_u32_e32 v14, 0, v11
	v_max_i32_e32 v14, v11, v14
	v_mul_hi_u32 v15, v14, v26
	v_mul_lo_u32 v16, v15, s38
	v_sub_u32_e32 v14, v14, v16
	v_add_u32_e32 v16, 1, v15
	v_cmp_le_u32_e32 vcc, s38, v14
	v_ashrrev_i32_e32 v12, 31, v11
	v_xor_b32_e32 v12, s42, v12
	v_cndmask_b32_e32 v15, v15, v16, vcc
	v_subrev_u32_e32 v16, s38, v14
	v_cndmask_b32_e32 v14, v14, v16, vcc
	v_add_u32_e32 v16, 1, v15
	v_cmp_le_u32_e32 vcc, s38, v14
	s_nop 1
	v_cndmask_b32_e32 v14, v15, v16, vcc
	v_xor_b32_e32 v14, v14, v12
	v_sub_u32_e32 v12, v14, v12
	v_cmp_ge_i32_e32 vcc, v12, v28
	s_and_saveexec_b64 s[26:27], vcc
	s_cbranch_execz .LBB123_26
; %bb.25:                               ;   in Loop: Header=BB123_10 Depth=1
	v_add_u32_e32 v14, s11, v29
	v_add_u32_e32 v16, 1, v29
	v_ashrrev_i32_e32 v15, 31, v14
	v_add_u32_e32 v28, 1, v12
	s_waitcnt lgkmcnt(0)
	v_lshl_add_u64 v[14:15], v[14:15], 2, s[6:7]
	v_add_u32_e32 v12, s33, v12
	v_mov_b32_e32 v29, v16
	global_store_dword v[14:15], v12, off
.LBB123_26:                             ;   in Loop: Header=BB123_10 Depth=1
	s_or_b64 exec, exec, s[26:27]
.LBB123_27:                             ;   in Loop: Header=BB123_10 Depth=1
	s_or_b64 exec, exec, s[24:25]
	ds_bpermute_b32 v11, v1, v11
	ds_bpermute_b32 v29, v1, v29
	s_and_b64 vcc, exec, s[2:3]
	s_cbranch_vccnz .LBB123_9
; %bb.28:                               ;   in Loop: Header=BB123_10 Depth=1
	s_waitcnt lgkmcnt(0)
	v_add_u32_e32 v12, s39, v29
	v_ashrrev_i32_e32 v14, 31, v12
	v_mul_lo_u32 v16, s41, v14
	v_mul_lo_u32 v17, s40, v12
	v_mad_u64_u32 v[14:15], s[24:25], s41, v12, 0
	v_add3_u32 v15, v15, v16, v17
	v_sub_u32_e32 v16, 0, v11
	v_max_i32_e32 v16, v11, v16
	v_mul_hi_u32 v17, v16, v26
	v_mul_lo_u32 v18, v17, s38
	v_sub_u32_e32 v16, v16, v18
	v_add_u32_e32 v18, 1, v17
	v_cmp_le_u32_e32 vcc, s38, v16
	v_ashrrev_i32_e32 v12, 31, v11
	v_xor_b32_e32 v12, s42, v12
	v_cndmask_b32_e32 v17, v17, v18, vcc
	v_subrev_u32_e32 v18, s38, v16
	v_cndmask_b32_e32 v16, v16, v18, vcc
	v_add_u32_e32 v18, 1, v17
	v_cmp_le_u32_e32 vcc, s38, v16
	v_lshl_add_u64 v[14:15], v[14:15], 3, s[16:17]
	s_mov_b32 s8, s14
	v_cndmask_b32_e32 v16, v17, v18, vcc
	v_xor_b32_e32 v16, v16, v12
	v_sub_u32_e32 v30, v16, v12
	v_mov_b64_e32 v[16:17], v[8:9]
	v_mov_b64_e32 v[18:19], v[6:7]
	v_mov_b32_e32 v12, v0
	v_mov_b32_e32 v31, v27
	s_branch .LBB123_31
.LBB123_29:                             ;   in Loop: Header=BB123_31 Depth=2
	v_ashrrev_i32_e32 v25, 31, v24
	v_lshl_add_u64 v[24:25], v[24:25], 3, v[14:15]
	v_lshl_add_u64 v[22:23], v[22:23], 3, v[24:25]
	s_waitcnt vmcnt(0)
	global_store_dwordx2 v[22:23], v[20:21], off
.LBB123_30:                             ;   in Loop: Header=BB123_31 Depth=2
	s_or_b64 exec, exec, s[24:25]
	s_add_i32 s8, s8, -1
	v_add_u32_e32 v31, s43, v31
	v_add_u32_e32 v12, 32, v12
	v_lshl_add_u64 v[18:19], v[18:19], 0, 4
	s_cmp_eq_u32 s8, 0
	v_lshl_add_u64 v[16:17], v[16:17], 0, 8
	s_cbranch_scc1 .LBB123_9
.LBB123_31:                             ;   Parent Loop BB123_10 Depth=1
                                        ; =>  This Inner Loop Header: Depth=2
	global_load_dword v22, v[18:19], off
	s_waitcnt vmcnt(0)
	v_cmp_gt_i32_e32 vcc, s10, v22
	s_and_saveexec_b64 s[24:25], vcc
	s_cbranch_execz .LBB123_30
; %bb.32:                               ;   in Loop: Header=BB123_31 Depth=2
	v_sub_u32_e32 v21, 0, v22
	v_max_i32_e32 v21, v22, v21
	v_mul_hi_u32 v23, v21, v26
	v_mul_lo_u32 v24, v23, s38
	v_sub_u32_e32 v32, v21, v24
	v_add_u32_e32 v21, 1, v23
	v_cmp_le_u32_e32 vcc, s38, v32
	v_subrev_u32_e32 v33, s38, v32
	v_ashrrev_i32_e32 v25, 31, v22
	v_cndmask_b32_e32 v21, v23, v21, vcc
	v_cndmask_b32_e32 v23, v32, v33, vcc
	v_add_u32_e32 v24, 1, v21
	v_cmp_le_u32_e32 vcc, s38, v23
	v_xor_b32_e32 v20, s42, v25
	s_nop 0
	v_cndmask_b32_e32 v21, v21, v24, vcc
	v_xor_b32_e32 v21, v21, v20
	v_sub_u32_e32 v20, v21, v20
	v_cmp_eq_u32_e32 vcc, v20, v30
	s_and_b64 exec, exec, vcc
	s_cbranch_execz .LBB123_30
; %bb.33:                               ;   in Loop: Header=BB123_31 Depth=2
	global_load_dwordx2 v[20:21], v[16:17], off
	s_and_b64 vcc, exec, s[20:21]
	s_cbranch_vccz .LBB123_35
; %bb.34:                               ;   in Loop: Header=BB123_31 Depth=2
	v_mul_lo_u32 v23, v30, s13
	v_sub_u32_e32 v22, v22, v23
	v_mul_lo_u32 v24, v22, s12
	v_mov_b64_e32 v[22:23], v[12:13]
	s_cbranch_execnz .LBB123_29
	s_branch .LBB123_36
.LBB123_35:                             ;   in Loop: Header=BB123_31 Depth=2
                                        ; implicit-def: $vgpr22_vgpr23
                                        ; implicit-def: $vgpr24
.LBB123_36:                             ;   in Loop: Header=BB123_31 Depth=2
	v_cmp_le_u32_e32 vcc, s38, v32
	v_mov_b32_e32 v24, v31
	s_nop 0
	v_cndmask_b32_e32 v22, v32, v33, vcc
	v_subrev_u32_e32 v23, s38, v22
	v_cmp_le_u32_e32 vcc, s38, v22
	s_nop 1
	v_cndmask_b32_e32 v22, v22, v23, vcc
	v_xor_b32_e32 v22, v22, v25
	v_sub_u32_e32 v22, v22, v25
	v_ashrrev_i32_e32 v23, 31, v22
	s_branch .LBB123_29
.LBB123_37:
	s_endpgm
	.section	.rodata,"a",@progbits
	.p2align	6, 0x0
	.amdhsa_kernel _ZN9rocsparseL23csr2gebsr_65_inf_kernelILi32EdEEv20rocsparse_direction_iiiiiii21rocsparse_index_base_PKT0_PKiS7_S2_PS3_PiS9_S9_S8_
		.amdhsa_group_segment_fixed_size 0
		.amdhsa_private_segment_fixed_size 0
		.amdhsa_kernarg_size 112
		.amdhsa_user_sgpr_count 2
		.amdhsa_user_sgpr_dispatch_ptr 0
		.amdhsa_user_sgpr_queue_ptr 0
		.amdhsa_user_sgpr_kernarg_segment_ptr 1
		.amdhsa_user_sgpr_dispatch_id 0
		.amdhsa_user_sgpr_kernarg_preload_length 0
		.amdhsa_user_sgpr_kernarg_preload_offset 0
		.amdhsa_user_sgpr_private_segment_size 0
		.amdhsa_uses_dynamic_stack 0
		.amdhsa_enable_private_segment 0
		.amdhsa_system_sgpr_workgroup_id_x 1
		.amdhsa_system_sgpr_workgroup_id_y 0
		.amdhsa_system_sgpr_workgroup_id_z 0
		.amdhsa_system_sgpr_workgroup_info 0
		.amdhsa_system_vgpr_workitem_id 0
		.amdhsa_next_free_vgpr 34
		.amdhsa_next_free_sgpr 46
		.amdhsa_accum_offset 36
		.amdhsa_reserve_vcc 1
		.amdhsa_float_round_mode_32 0
		.amdhsa_float_round_mode_16_64 0
		.amdhsa_float_denorm_mode_32 3
		.amdhsa_float_denorm_mode_16_64 3
		.amdhsa_dx10_clamp 1
		.amdhsa_ieee_mode 1
		.amdhsa_fp16_overflow 0
		.amdhsa_tg_split 0
		.amdhsa_exception_fp_ieee_invalid_op 0
		.amdhsa_exception_fp_denorm_src 0
		.amdhsa_exception_fp_ieee_div_zero 0
		.amdhsa_exception_fp_ieee_overflow 0
		.amdhsa_exception_fp_ieee_underflow 0
		.amdhsa_exception_fp_ieee_inexact 0
		.amdhsa_exception_int_div_zero 0
	.end_amdhsa_kernel
	.section	.text._ZN9rocsparseL23csr2gebsr_65_inf_kernelILi32EdEEv20rocsparse_direction_iiiiiii21rocsparse_index_base_PKT0_PKiS7_S2_PS3_PiS9_S9_S8_,"axG",@progbits,_ZN9rocsparseL23csr2gebsr_65_inf_kernelILi32EdEEv20rocsparse_direction_iiiiiii21rocsparse_index_base_PKT0_PKiS7_S2_PS3_PiS9_S9_S8_,comdat
.Lfunc_end123:
	.size	_ZN9rocsparseL23csr2gebsr_65_inf_kernelILi32EdEEv20rocsparse_direction_iiiiiii21rocsparse_index_base_PKT0_PKiS7_S2_PS3_PiS9_S9_S8_, .Lfunc_end123-_ZN9rocsparseL23csr2gebsr_65_inf_kernelILi32EdEEv20rocsparse_direction_iiiiiii21rocsparse_index_base_PKT0_PKiS7_S2_PS3_PiS9_S9_S8_
                                        ; -- End function
	.section	.AMDGPU.csdata,"",@progbits
; Kernel info:
; codeLenInByte = 1760
; NumSgprs: 52
; NumVgprs: 34
; NumAgprs: 0
; TotalNumVgprs: 34
; ScratchSize: 0
; MemoryBound: 0
; FloatMode: 240
; IeeeMode: 1
; LDSByteSize: 0 bytes/workgroup (compile time only)
; SGPRBlocks: 6
; VGPRBlocks: 4
; NumSGPRsForWavesPerEU: 52
; NumVGPRsForWavesPerEU: 34
; AccumOffset: 36
; Occupancy: 8
; WaveLimiterHint : 0
; COMPUTE_PGM_RSRC2:SCRATCH_EN: 0
; COMPUTE_PGM_RSRC2:USER_SGPR: 2
; COMPUTE_PGM_RSRC2:TRAP_HANDLER: 0
; COMPUTE_PGM_RSRC2:TGID_X_EN: 1
; COMPUTE_PGM_RSRC2:TGID_Y_EN: 0
; COMPUTE_PGM_RSRC2:TGID_Z_EN: 0
; COMPUTE_PGM_RSRC2:TIDIG_COMP_CNT: 0
; COMPUTE_PGM_RSRC3_GFX90A:ACCUM_OFFSET: 8
; COMPUTE_PGM_RSRC3_GFX90A:TG_SPLIT: 0
	.section	.text._ZN9rocsparseL20csr2gebsr_kernel_bm1ILi256E21rocsparse_complex_numIfEEEviiii21rocsparse_index_base_PKT0_PKiS8_20rocsparse_direction_S3_PS4_S8_Piii,"axG",@progbits,_ZN9rocsparseL20csr2gebsr_kernel_bm1ILi256E21rocsparse_complex_numIfEEEviiii21rocsparse_index_base_PKT0_PKiS8_20rocsparse_direction_S3_PS4_S8_Piii,comdat
	.globl	_ZN9rocsparseL20csr2gebsr_kernel_bm1ILi256E21rocsparse_complex_numIfEEEviiii21rocsparse_index_base_PKT0_PKiS8_20rocsparse_direction_S3_PS4_S8_Piii ; -- Begin function _ZN9rocsparseL20csr2gebsr_kernel_bm1ILi256E21rocsparse_complex_numIfEEEviiii21rocsparse_index_base_PKT0_PKiS8_20rocsparse_direction_S3_PS4_S8_Piii
	.p2align	8
	.type	_ZN9rocsparseL20csr2gebsr_kernel_bm1ILi256E21rocsparse_complex_numIfEEEviiii21rocsparse_index_base_PKT0_PKiS8_20rocsparse_direction_S3_PS4_S8_Piii,@function
_ZN9rocsparseL20csr2gebsr_kernel_bm1ILi256E21rocsparse_complex_numIfEEEviiii21rocsparse_index_base_PKT0_PKiS8_20rocsparse_direction_S3_PS4_S8_Piii: ; @_ZN9rocsparseL20csr2gebsr_kernel_bm1ILi256E21rocsparse_complex_numIfEEEviiii21rocsparse_index_base_PKT0_PKiS8_20rocsparse_direction_S3_PS4_S8_Piii
; %bb.0:
	s_load_dword s3, s[0:1], 0x0
	v_lshl_or_b32 v2, s2, 8, v0
	s_waitcnt lgkmcnt(0)
	v_cmp_gt_i32_e32 vcc, s3, v2
	s_and_saveexec_b64 s[2:3], vcc
	s_cbranch_execz .LBB124_6
; %bb.1:
	s_load_dwordx4 s[16:19], s[0:1], 0x18
	v_ashrrev_i32_e32 v3, 31, v2
	s_waitcnt lgkmcnt(0)
	v_mov_b32_e32 v0, s18
	v_mov_b32_e32 v1, s19
	v_lshl_add_u64 v[0:1], v[2:3], 2, v[0:1]
	global_load_dwordx2 v[4:5], v[0:1], off
	s_waitcnt vmcnt(0)
	v_cmp_lt_i32_e32 vcc, v4, v5
	s_and_b64 exec, exec, vcc
	s_cbranch_execz .LBB124_6
; %bb.2:
	s_load_dwordx8 s[4:11], s[0:1], 0x28
	v_mov_b32_e32 v9, -1
	s_waitcnt lgkmcnt(0)
	v_mov_b32_e32 v6, s10
	v_mov_b32_e32 v7, s11
	v_lshl_add_u64 v[2:3], v[2:3], 2, v[6:7]
	global_load_dword v8, v[2:3], off
	s_load_dword s10, s[0:1], 0x10
	s_load_dwordx4 s[12:15], s[0:1], 0x48
	s_cmp_eq_u32 s6, 0
	v_mov_b32_e32 v10, s4
	v_mov_b32_e32 v11, s5
	s_waitcnt lgkmcnt(0)
	v_subrev_u32_e32 v2, s10, v4
	s_cselect_b32 s6, s14, 1
	s_abs_i32 s11, s15
	v_cvt_f32_u32_e32 v3, s11
	v_mov_b32_e32 v6, s16
	v_mov_b32_e32 v7, s17
	s_sub_i32 s2, 0, s11
	v_rcp_iflag_f32_e32 v12, v3
	v_ashrrev_i32_e32 v3, 31, v2
	v_lshl_add_u64 v[4:5], v[2:3], 2, v[10:11]
	s_ashr_i32 s17, s15, 31
	v_mul_f32_e32 v10, 0x4f7ffffe, v12
	v_cvt_u32_f32_e32 v10, v10
	v_lshl_add_u64 v[6:7], v[2:3], 3, v[6:7]
	s_add_u32 s0, s12, 4
	s_mul_hi_i32 s16, s15, s14
	v_mul_lo_u32 v3, s2, v10
	v_mul_hi_u32 v3, v10, v3
	s_mul_i32 s14, s15, s14
	s_addc_u32 s1, s13, 0
	v_add_u32_e32 v3, v10, v3
	s_mov_b64 s[2:3], 0
	s_waitcnt vmcnt(0)
	v_xad_u32 v8, s7, -1, v8
	v_mov_b32_e32 v10, v8
	s_branch .LBB124_4
.LBB124_3:                              ;   in Loop: Header=BB124_4 Depth=1
	s_or_b64 exec, exec, s[4:5]
	global_load_dwordx2 v[14:15], v[6:7], off
	v_mul_lo_u32 v16, v12, s15
	v_ashrrev_i32_e32 v17, 31, v10
	v_mul_lo_u32 v18, s16, v10
	v_mad_u64_u32 v[12:13], s[4:5], s14, v10, 0
	v_sub_u32_e32 v11, v11, v16
	v_mul_lo_u32 v16, s14, v17
	v_add3_u32 v13, v13, v16, v18
	v_mul_lo_u32 v16, v11, s6
	v_ashrrev_i32_e32 v17, 31, v16
	v_lshl_add_u64 v[12:13], v[12:13], 3, s[8:9]
	v_lshl_add_u64 v[12:13], v[16:17], 3, v[12:13]
	v_add_u32_e32 v2, 1, v2
	v_lshl_add_u64 v[4:5], v[4:5], 0, 4
	v_lshl_add_u64 v[6:7], v[6:7], 0, 8
	s_waitcnt vmcnt(0)
	global_store_dwordx2 v[12:13], v[14:15], off
	global_load_dword v11, v[0:1], off offset:4
	s_waitcnt vmcnt(0)
	v_subrev_u32_e32 v11, s10, v11
	v_cmp_ge_i32_e32 vcc, v2, v11
	s_or_b64 s[2:3], vcc, s[2:3]
	s_andn2_b64 exec, exec, s[2:3]
	s_cbranch_execz .LBB124_6
.LBB124_4:                              ; =>This Inner Loop Header: Depth=1
	global_load_dword v11, v[4:5], off
	s_waitcnt vmcnt(0)
	v_subrev_u32_e32 v11, s10, v11
	v_sub_u32_e32 v13, 0, v11
	v_max_i32_e32 v13, v11, v13
	v_mul_hi_u32 v14, v13, v3
	v_mul_lo_u32 v15, v14, s11
	v_sub_u32_e32 v13, v13, v15
	v_add_u32_e32 v16, 1, v14
	v_cmp_le_u32_e32 vcc, s11, v13
	v_subrev_u32_e32 v15, s11, v13
	v_ashrrev_i32_e32 v12, 31, v11
	v_cndmask_b32_e32 v14, v14, v16, vcc
	v_cndmask_b32_e32 v13, v13, v15, vcc
	v_add_u32_e32 v15, 1, v14
	v_cmp_le_u32_e32 vcc, s11, v13
	v_xor_b32_e32 v12, s17, v12
	s_nop 0
	v_cndmask_b32_e32 v13, v14, v15, vcc
	v_xor_b32_e32 v13, v13, v12
	v_sub_u32_e32 v12, v13, v12
	v_cmp_ne_u32_e32 vcc, v12, v9
	s_and_saveexec_b64 s[4:5], vcc
	s_cbranch_execz .LBB124_3
; %bb.5:                                ;   in Loop: Header=BB124_4 Depth=1
	v_ashrrev_i32_e32 v9, 31, v8
	v_add_u32_e32 v13, 1, v8
	v_lshl_add_u64 v[8:9], v[8:9], 2, s[0:1]
	v_add_u32_e32 v14, s7, v12
	v_add_u32_e32 v10, 1, v10
	global_store_dword v[8:9], v14, off
	v_mov_b32_e32 v8, v13
	v_mov_b32_e32 v9, v12
	s_branch .LBB124_3
.LBB124_6:
	s_endpgm
	.section	.rodata,"a",@progbits
	.p2align	6, 0x0
	.amdhsa_kernel _ZN9rocsparseL20csr2gebsr_kernel_bm1ILi256E21rocsparse_complex_numIfEEEviiii21rocsparse_index_base_PKT0_PKiS8_20rocsparse_direction_S3_PS4_S8_Piii
		.amdhsa_group_segment_fixed_size 0
		.amdhsa_private_segment_fixed_size 0
		.amdhsa_kernarg_size 88
		.amdhsa_user_sgpr_count 2
		.amdhsa_user_sgpr_dispatch_ptr 0
		.amdhsa_user_sgpr_queue_ptr 0
		.amdhsa_user_sgpr_kernarg_segment_ptr 1
		.amdhsa_user_sgpr_dispatch_id 0
		.amdhsa_user_sgpr_kernarg_preload_length 0
		.amdhsa_user_sgpr_kernarg_preload_offset 0
		.amdhsa_user_sgpr_private_segment_size 0
		.amdhsa_uses_dynamic_stack 0
		.amdhsa_enable_private_segment 0
		.amdhsa_system_sgpr_workgroup_id_x 1
		.amdhsa_system_sgpr_workgroup_id_y 0
		.amdhsa_system_sgpr_workgroup_id_z 0
		.amdhsa_system_sgpr_workgroup_info 0
		.amdhsa_system_vgpr_workitem_id 0
		.amdhsa_next_free_vgpr 19
		.amdhsa_next_free_sgpr 20
		.amdhsa_accum_offset 20
		.amdhsa_reserve_vcc 1
		.amdhsa_float_round_mode_32 0
		.amdhsa_float_round_mode_16_64 0
		.amdhsa_float_denorm_mode_32 3
		.amdhsa_float_denorm_mode_16_64 3
		.amdhsa_dx10_clamp 1
		.amdhsa_ieee_mode 1
		.amdhsa_fp16_overflow 0
		.amdhsa_tg_split 0
		.amdhsa_exception_fp_ieee_invalid_op 0
		.amdhsa_exception_fp_denorm_src 0
		.amdhsa_exception_fp_ieee_div_zero 0
		.amdhsa_exception_fp_ieee_overflow 0
		.amdhsa_exception_fp_ieee_underflow 0
		.amdhsa_exception_fp_ieee_inexact 0
		.amdhsa_exception_int_div_zero 0
	.end_amdhsa_kernel
	.section	.text._ZN9rocsparseL20csr2gebsr_kernel_bm1ILi256E21rocsparse_complex_numIfEEEviiii21rocsparse_index_base_PKT0_PKiS8_20rocsparse_direction_S3_PS4_S8_Piii,"axG",@progbits,_ZN9rocsparseL20csr2gebsr_kernel_bm1ILi256E21rocsparse_complex_numIfEEEviiii21rocsparse_index_base_PKT0_PKiS8_20rocsparse_direction_S3_PS4_S8_Piii,comdat
.Lfunc_end124:
	.size	_ZN9rocsparseL20csr2gebsr_kernel_bm1ILi256E21rocsparse_complex_numIfEEEviiii21rocsparse_index_base_PKT0_PKiS8_20rocsparse_direction_S3_PS4_S8_Piii, .Lfunc_end124-_ZN9rocsparseL20csr2gebsr_kernel_bm1ILi256E21rocsparse_complex_numIfEEEviiii21rocsparse_index_base_PKT0_PKiS8_20rocsparse_direction_S3_PS4_S8_Piii
                                        ; -- End function
	.section	.AMDGPU.csdata,"",@progbits
; Kernel info:
; codeLenInByte = 596
; NumSgprs: 26
; NumVgprs: 19
; NumAgprs: 0
; TotalNumVgprs: 19
; ScratchSize: 0
; MemoryBound: 0
; FloatMode: 240
; IeeeMode: 1
; LDSByteSize: 0 bytes/workgroup (compile time only)
; SGPRBlocks: 3
; VGPRBlocks: 2
; NumSGPRsForWavesPerEU: 26
; NumVGPRsForWavesPerEU: 19
; AccumOffset: 20
; Occupancy: 8
; WaveLimiterHint : 0
; COMPUTE_PGM_RSRC2:SCRATCH_EN: 0
; COMPUTE_PGM_RSRC2:USER_SGPR: 2
; COMPUTE_PGM_RSRC2:TRAP_HANDLER: 0
; COMPUTE_PGM_RSRC2:TGID_X_EN: 1
; COMPUTE_PGM_RSRC2:TGID_Y_EN: 0
; COMPUTE_PGM_RSRC2:TGID_Z_EN: 0
; COMPUTE_PGM_RSRC2:TIDIG_COMP_CNT: 0
; COMPUTE_PGM_RSRC3_GFX90A:ACCUM_OFFSET: 4
; COMPUTE_PGM_RSRC3_GFX90A:TG_SPLIT: 0
	.section	.text._ZN9rocsparseL44csr2gebsr_wavefront_per_row_multipass_kernelILi256ELi2ELi2ELi4E21rocsparse_complex_numIfEEEv20rocsparse_direction_iiiiii21rocsparse_index_base_PKT3_PKiS9_S4_PS5_PiSB_,"axG",@progbits,_ZN9rocsparseL44csr2gebsr_wavefront_per_row_multipass_kernelILi256ELi2ELi2ELi4E21rocsparse_complex_numIfEEEv20rocsparse_direction_iiiiii21rocsparse_index_base_PKT3_PKiS9_S4_PS5_PiSB_,comdat
	.globl	_ZN9rocsparseL44csr2gebsr_wavefront_per_row_multipass_kernelILi256ELi2ELi2ELi4E21rocsparse_complex_numIfEEEv20rocsparse_direction_iiiiii21rocsparse_index_base_PKT3_PKiS9_S4_PS5_PiSB_ ; -- Begin function _ZN9rocsparseL44csr2gebsr_wavefront_per_row_multipass_kernelILi256ELi2ELi2ELi4E21rocsparse_complex_numIfEEEv20rocsparse_direction_iiiiii21rocsparse_index_base_PKT3_PKiS9_S4_PS5_PiSB_
	.p2align	8
	.type	_ZN9rocsparseL44csr2gebsr_wavefront_per_row_multipass_kernelILi256ELi2ELi2ELi4E21rocsparse_complex_numIfEEEv20rocsparse_direction_iiiiii21rocsparse_index_base_PKT3_PKiS9_S4_PS5_PiSB_,@function
_ZN9rocsparseL44csr2gebsr_wavefront_per_row_multipass_kernelILi256ELi2ELi2ELi4E21rocsparse_complex_numIfEEEv20rocsparse_direction_iiiiii21rocsparse_index_base_PKT3_PKiS9_S4_PS5_PiSB_: ; @_ZN9rocsparseL44csr2gebsr_wavefront_per_row_multipass_kernelILi256ELi2ELi2ELi4E21rocsparse_complex_numIfEEEv20rocsparse_direction_iiiiii21rocsparse_index_base_PKT3_PKiS9_S4_PS5_PiSB_
; %bb.0:
	s_load_dwordx2 s[14:15], s[0:1], 0x0
	s_load_dwordx4 s[4:7], s[0:1], 0xc
	s_load_dword s20, s[0:1], 0x1c
	s_load_dwordx2 s[8:9], s[0:1], 0x28
	v_lshrrev_b32_e32 v12, 2, v0
	v_bfe_u32 v6, v0, 1, 1
	v_lshl_or_b32 v4, s2, 6, v12
	s_waitcnt lgkmcnt(0)
	v_mad_u64_u32 v[2:3], s[2:3], v4, s6, v[6:7]
	v_cmp_gt_i32_e64 s[2:3], s15, v2
	v_cmp_gt_i32_e32 vcc, s6, v6
	s_and_b64 s[2:3], vcc, s[2:3]
	v_mov_b32_e32 v13, 0
	v_mov_b32_e32 v8, 0
	s_and_saveexec_b64 s[10:11], s[2:3]
	s_cbranch_execz .LBB125_2
; %bb.1:
	v_ashrrev_i32_e32 v3, 31, v2
	v_lshl_add_u64 v[8:9], v[2:3], 2, s[8:9]
	global_load_dword v1, v[8:9], off
	s_waitcnt vmcnt(0)
	v_subrev_u32_e32 v8, s20, v1
.LBB125_2:
	s_or_b64 exec, exec, s[10:11]
	s_and_saveexec_b64 s[10:11], s[2:3]
	s_cbranch_execz .LBB125_4
; %bb.3:
	v_ashrrev_i32_e32 v3, 31, v2
	v_lshl_add_u64 v[2:3], v[2:3], 2, s[8:9]
	global_load_dword v1, v[2:3], off offset:4
	s_waitcnt vmcnt(0)
	v_subrev_u32_e32 v13, s20, v1
.LBB125_4:
	s_or_b64 exec, exec, s[10:11]
	s_load_dword s21, s[0:1], 0x38
	v_cmp_gt_i32_e64 s[2:3], s4, v4
	v_mov_b32_e32 v2, 0
	s_and_saveexec_b64 s[8:9], s[2:3]
	s_cbranch_execz .LBB125_6
; %bb.5:
	s_load_dwordx2 s[2:3], s[0:1], 0x48
	v_ashrrev_i32_e32 v5, 31, v4
	s_waitcnt lgkmcnt(0)
	v_lshl_add_u64 v[2:3], v[4:5], 2, s[2:3]
	global_load_dword v1, v[2:3], off
	s_waitcnt vmcnt(0)
	v_subrev_u32_e32 v2, s21, v1
.LBB125_6:
	s_or_b64 exec, exec, s[8:9]
	s_cmp_lt_i32 s5, 1
	s_cbranch_scc1 .LBB125_21
; %bb.7:
	v_and_b32_e32 v4, 1, v0
	s_load_dwordx2 s[2:3], s[0:1], 0x20
	s_load_dwordx2 s[8:9], s[0:1], 0x50
	;; [unrolled: 1-line block ×4, first 2 shown]
	v_cmp_gt_u32_e64 s[0:1], s7, v4
	s_and_b64 s[12:13], vcc, s[0:1]
	s_cmp_eq_u32 s14, 0
	s_cselect_b64 vcc, -1, 0
	s_abs_i32 s4, s7
	v_cvt_f32_u32_e32 v9, s4
	v_and_b32_e32 v0, 0xfc, v0
	v_lshl_or_b32 v14, v6, 1, v0
	v_mbcnt_lo_u32_b32 v0, -1, 0
	v_rcp_iflag_f32_e32 v9, v9
	v_mbcnt_hi_u32_b32 v0, -1, v0
	v_lshlrev_b32_e32 v3, 2, v0
	v_mov_b32_e32 v5, 0
	v_or_b32_e32 v15, 4, v3
	v_or_b32_e32 v0, v14, v4
	;; [unrolled: 1-line block ×3, first 2 shown]
	v_mul_f32_e32 v3, 0x4f7ffffe, v9
	v_lshlrev_b32_e32 v16, 3, v0
	v_mul_lo_u32 v0, v4, s6
	v_mov_b32_e32 v1, v5
	v_lshlrev_b32_e32 v10, 3, v6
	v_mul_lo_u32 v6, v6, s7
	v_cvt_u32_f32_e32 v3, v3
	s_waitcnt lgkmcnt(0)
	v_lshl_add_u64 v[0:1], v[0:1], 3, s[16:17]
	v_mov_b32_e32 v11, v5
	v_ashrrev_i32_e32 v7, 31, v6
	s_ashr_i32 s22, s7, 31
	v_lshl_add_u64 v[0:1], v[0:1], 0, v[10:11]
	v_lshl_add_u64 v[6:7], v[6:7], 3, s[16:17]
	v_lshlrev_b32_e32 v10, 3, v4
	s_mul_hi_u32 s0, s7, s6
	s_mul_i32 s1, s22, s6
	v_lshl_add_u64 v[6:7], v[6:7], 0, v[10:11]
	s_add_i32 s23, s0, s1
	s_sub_i32 s0, 0, s4
	v_cndmask_b32_e32 v0, v0, v6, vcc
	v_mul_lo_u32 v6, s0, v3
	v_mul_hi_u32 v6, v3, v6
	s_mul_i32 s6, s7, s6
	v_cndmask_b32_e32 v1, v1, v7, vcc
	v_add_u32_e32 v18, v3, v6
	s_mov_b64 s[14:15], 0
	v_mov_b32_e32 v6, v5
	v_mov_b32_e32 v7, v5
	v_mov_b32_e32 v19, 1
	v_mov_b32_e32 v3, v5
	s_branch .LBB125_10
.LBB125_8:                              ;   in Loop: Header=BB125_10 Depth=1
	s_or_b64 exec, exec, s[16:17]
	v_mov_b32_e32 v9, 1
.LBB125_9:                              ;   in Loop: Header=BB125_10 Depth=1
	s_or_b64 exec, exec, s[0:1]
	v_mov_b32_dpp v3, v20 row_shr:1 row_mask:0xf bank_mask:0xf
	v_min_i32_e32 v3, v3, v20
	v_add_u32_e32 v2, v9, v2
	s_waitcnt lgkmcnt(0)
	v_mov_b32_dpp v10, v3 row_shr:2 row_mask:0xf bank_mask:0xf
	v_min_i32_e32 v3, v10, v3
	ds_bpermute_b32 v3, v17, v3
	s_waitcnt lgkmcnt(0)
	v_cmp_le_i32_e32 vcc, s5, v3
	s_or_b64 s[14:15], vcc, s[14:15]
	s_andn2_b64 exec, exec, s[14:15]
	s_cbranch_execz .LBB125_21
.LBB125_10:                             ; =>This Loop Header: Depth=1
                                        ;     Child Loop BB125_13 Depth 2
	v_add_u32_e32 v21, v8, v4
	v_cmp_lt_i32_e32 vcc, v21, v13
	v_mov_b32_e32 v20, s5
	v_mov_b32_e32 v23, v13
	ds_write_b8 v12, v5 offset:2048
	ds_write_b64 v16, v[6:7]
	s_waitcnt lgkmcnt(0)
	s_and_saveexec_b64 s[16:17], vcc
	s_cbranch_execz .LBB125_18
; %bb.11:                               ;   in Loop: Header=BB125_10 Depth=1
	v_ashrrev_i32_e32 v9, 31, v8
	v_lshl_add_u64 v[10:11], v[4:5], 0, v[8:9]
	v_mul_lo_u32 v22, v3, s7
	v_lshl_add_u64 v[8:9], v[10:11], 2, s[10:11]
	v_lshl_add_u64 v[10:11], v[10:11], 3, s[2:3]
	s_mov_b64 s[18:19], 0
	v_mov_b32_e32 v20, s5
	v_mov_b32_e32 v23, v13
	s_branch .LBB125_13
.LBB125_12:                             ;   in Loop: Header=BB125_13 Depth=2
	s_or_b64 exec, exec, s[0:1]
	v_add_u32_e32 v21, 2, v21
	v_cmp_ge_i32_e64 s[0:1], v21, v13
	s_xor_b64 s[24:25], vcc, -1
	s_or_b64 s[0:1], s[24:25], s[0:1]
	s_and_b64 s[0:1], exec, s[0:1]
	v_lshl_add_u64 v[8:9], v[8:9], 0, 8
	s_or_b64 s[18:19], s[0:1], s[18:19]
	v_lshl_add_u64 v[10:11], v[10:11], 0, 16
	s_andn2_b64 exec, exec, s[18:19]
	s_cbranch_execz .LBB125_17
.LBB125_13:                             ;   Parent Loop BB125_10 Depth=1
                                        ; =>  This Inner Loop Header: Depth=2
	global_load_dword v24, v[8:9], off
	s_waitcnt vmcnt(0)
	v_subrev_u32_e32 v24, s20, v24
	v_sub_u32_e32 v26, 0, v24
	v_max_i32_e32 v26, v24, v26
	v_mul_hi_u32 v27, v26, v18
	v_mul_lo_u32 v28, v27, s4
	v_sub_u32_e32 v26, v26, v28
	v_add_u32_e32 v29, 1, v27
	v_cmp_le_u32_e32 vcc, s4, v26
	v_subrev_u32_e32 v28, s4, v26
	v_ashrrev_i32_e32 v25, 31, v24
	v_cndmask_b32_e32 v27, v27, v29, vcc
	v_cndmask_b32_e32 v26, v26, v28, vcc
	v_add_u32_e32 v28, 1, v27
	v_cmp_le_u32_e32 vcc, s4, v26
	v_xor_b32_e32 v25, s22, v25
	s_nop 0
	v_cndmask_b32_e32 v26, v27, v28, vcc
	v_xor_b32_e32 v26, v26, v25
	v_sub_u32_e32 v26, v26, v25
	v_cmp_eq_u32_e32 vcc, v26, v3
	v_cmp_ne_u32_e64 s[0:1], v26, v3
	v_mov_b32_e32 v25, v23
	s_and_saveexec_b64 s[24:25], s[0:1]
	s_xor_b64 s[0:1], exec, s[24:25]
; %bb.14:                               ;   in Loop: Header=BB125_13 Depth=2
	v_min_i32_e32 v20, v26, v20
                                        ; implicit-def: $vgpr24
                                        ; implicit-def: $vgpr25
; %bb.15:                               ;   in Loop: Header=BB125_13 Depth=2
	s_or_saveexec_b64 s[0:1], s[0:1]
	v_mov_b32_e32 v23, v21
	s_xor_b64 exec, exec, s[0:1]
	s_cbranch_execz .LBB125_12
; %bb.16:                               ;   in Loop: Header=BB125_13 Depth=2
	global_load_dwordx2 v[26:27], v[10:11], off
	v_sub_u32_e32 v23, v24, v22
	v_add_lshl_u32 v23, v14, v23, 3
	ds_write_b8 v12, v19 offset:2048
	s_waitcnt vmcnt(0)
	ds_write_b64 v23, v[26:27]
	v_mov_b32_e32 v23, v25
	s_branch .LBB125_12
.LBB125_17:                             ;   in Loop: Header=BB125_10 Depth=1
	s_or_b64 exec, exec, s[18:19]
.LBB125_18:                             ;   in Loop: Header=BB125_10 Depth=1
	s_or_b64 exec, exec, s[16:17]
	s_waitcnt lgkmcnt(0)
	ds_read_u8 v9, v12 offset:2048
	v_mov_b32_dpp v8, v23 row_shr:1 row_mask:0xf bank_mask:0xf
	v_min_i32_e32 v8, v8, v23
	ds_bpermute_b32 v8, v15, v8
	s_waitcnt lgkmcnt(1)
	v_and_b32_e32 v9, 1, v9
	v_cmp_eq_u32_e32 vcc, 1, v9
	v_mov_b32_e32 v9, 0
	s_and_saveexec_b64 s[0:1], vcc
	s_cbranch_execz .LBB125_9
; %bb.19:                               ;   in Loop: Header=BB125_10 Depth=1
	v_add_u32_e32 v9, s21, v3
	v_ashrrev_i32_e32 v3, 31, v2
	v_lshl_add_u64 v[10:11], v[2:3], 2, s[8:9]
	global_store_dword v[10:11], v9, off
	s_and_saveexec_b64 s[16:17], s[12:13]
	s_cbranch_execz .LBB125_8
; %bb.20:                               ;   in Loop: Header=BB125_10 Depth=1
	ds_read_b64 v[10:11], v16
	v_mul_lo_u32 v9, s23, v2
	v_mul_lo_u32 v3, s6, v3
	v_mad_u64_u32 v[22:23], s[18:19], s6, v2, 0
	v_add3_u32 v23, v23, v3, v9
	v_lshl_add_u64 v[22:23], v[22:23], 3, v[0:1]
	s_waitcnt lgkmcnt(0)
	global_store_dwordx2 v[22:23], v[10:11], off
	s_branch .LBB125_8
.LBB125_21:
	s_endpgm
	.section	.rodata,"a",@progbits
	.p2align	6, 0x0
	.amdhsa_kernel _ZN9rocsparseL44csr2gebsr_wavefront_per_row_multipass_kernelILi256ELi2ELi2ELi4E21rocsparse_complex_numIfEEEv20rocsparse_direction_iiiiii21rocsparse_index_base_PKT3_PKiS9_S4_PS5_PiSB_
		.amdhsa_group_segment_fixed_size 2112
		.amdhsa_private_segment_fixed_size 0
		.amdhsa_kernarg_size 88
		.amdhsa_user_sgpr_count 2
		.amdhsa_user_sgpr_dispatch_ptr 0
		.amdhsa_user_sgpr_queue_ptr 0
		.amdhsa_user_sgpr_kernarg_segment_ptr 1
		.amdhsa_user_sgpr_dispatch_id 0
		.amdhsa_user_sgpr_kernarg_preload_length 0
		.amdhsa_user_sgpr_kernarg_preload_offset 0
		.amdhsa_user_sgpr_private_segment_size 0
		.amdhsa_uses_dynamic_stack 0
		.amdhsa_enable_private_segment 0
		.amdhsa_system_sgpr_workgroup_id_x 1
		.amdhsa_system_sgpr_workgroup_id_y 0
		.amdhsa_system_sgpr_workgroup_id_z 0
		.amdhsa_system_sgpr_workgroup_info 0
		.amdhsa_system_vgpr_workitem_id 0
		.amdhsa_next_free_vgpr 30
		.amdhsa_next_free_sgpr 26
		.amdhsa_accum_offset 32
		.amdhsa_reserve_vcc 1
		.amdhsa_float_round_mode_32 0
		.amdhsa_float_round_mode_16_64 0
		.amdhsa_float_denorm_mode_32 3
		.amdhsa_float_denorm_mode_16_64 3
		.amdhsa_dx10_clamp 1
		.amdhsa_ieee_mode 1
		.amdhsa_fp16_overflow 0
		.amdhsa_tg_split 0
		.amdhsa_exception_fp_ieee_invalid_op 0
		.amdhsa_exception_fp_denorm_src 0
		.amdhsa_exception_fp_ieee_div_zero 0
		.amdhsa_exception_fp_ieee_overflow 0
		.amdhsa_exception_fp_ieee_underflow 0
		.amdhsa_exception_fp_ieee_inexact 0
		.amdhsa_exception_int_div_zero 0
	.end_amdhsa_kernel
	.section	.text._ZN9rocsparseL44csr2gebsr_wavefront_per_row_multipass_kernelILi256ELi2ELi2ELi4E21rocsparse_complex_numIfEEEv20rocsparse_direction_iiiiii21rocsparse_index_base_PKT3_PKiS9_S4_PS5_PiSB_,"axG",@progbits,_ZN9rocsparseL44csr2gebsr_wavefront_per_row_multipass_kernelILi256ELi2ELi2ELi4E21rocsparse_complex_numIfEEEv20rocsparse_direction_iiiiii21rocsparse_index_base_PKT3_PKiS9_S4_PS5_PiSB_,comdat
.Lfunc_end125:
	.size	_ZN9rocsparseL44csr2gebsr_wavefront_per_row_multipass_kernelILi256ELi2ELi2ELi4E21rocsparse_complex_numIfEEEv20rocsparse_direction_iiiiii21rocsparse_index_base_PKT3_PKiS9_S4_PS5_PiSB_, .Lfunc_end125-_ZN9rocsparseL44csr2gebsr_wavefront_per_row_multipass_kernelILi256ELi2ELi2ELi4E21rocsparse_complex_numIfEEEv20rocsparse_direction_iiiiii21rocsparse_index_base_PKT3_PKiS9_S4_PS5_PiSB_
                                        ; -- End function
	.section	.AMDGPU.csdata,"",@progbits
; Kernel info:
; codeLenInByte = 1108
; NumSgprs: 32
; NumVgprs: 30
; NumAgprs: 0
; TotalNumVgprs: 30
; ScratchSize: 0
; MemoryBound: 0
; FloatMode: 240
; IeeeMode: 1
; LDSByteSize: 2112 bytes/workgroup (compile time only)
; SGPRBlocks: 3
; VGPRBlocks: 3
; NumSGPRsForWavesPerEU: 32
; NumVGPRsForWavesPerEU: 30
; AccumOffset: 32
; Occupancy: 8
; WaveLimiterHint : 0
; COMPUTE_PGM_RSRC2:SCRATCH_EN: 0
; COMPUTE_PGM_RSRC2:USER_SGPR: 2
; COMPUTE_PGM_RSRC2:TRAP_HANDLER: 0
; COMPUTE_PGM_RSRC2:TGID_X_EN: 1
; COMPUTE_PGM_RSRC2:TGID_Y_EN: 0
; COMPUTE_PGM_RSRC2:TGID_Z_EN: 0
; COMPUTE_PGM_RSRC2:TIDIG_COMP_CNT: 0
; COMPUTE_PGM_RSRC3_GFX90A:ACCUM_OFFSET: 7
; COMPUTE_PGM_RSRC3_GFX90A:TG_SPLIT: 0
	.section	.text._ZN9rocsparseL44csr2gebsr_wavefront_per_row_multipass_kernelILi256ELi2ELi4ELi8E21rocsparse_complex_numIfEEEv20rocsparse_direction_iiiiii21rocsparse_index_base_PKT3_PKiS9_S4_PS5_PiSB_,"axG",@progbits,_ZN9rocsparseL44csr2gebsr_wavefront_per_row_multipass_kernelILi256ELi2ELi4ELi8E21rocsparse_complex_numIfEEEv20rocsparse_direction_iiiiii21rocsparse_index_base_PKT3_PKiS9_S4_PS5_PiSB_,comdat
	.globl	_ZN9rocsparseL44csr2gebsr_wavefront_per_row_multipass_kernelILi256ELi2ELi4ELi8E21rocsparse_complex_numIfEEEv20rocsparse_direction_iiiiii21rocsparse_index_base_PKT3_PKiS9_S4_PS5_PiSB_ ; -- Begin function _ZN9rocsparseL44csr2gebsr_wavefront_per_row_multipass_kernelILi256ELi2ELi4ELi8E21rocsparse_complex_numIfEEEv20rocsparse_direction_iiiiii21rocsparse_index_base_PKT3_PKiS9_S4_PS5_PiSB_
	.p2align	8
	.type	_ZN9rocsparseL44csr2gebsr_wavefront_per_row_multipass_kernelILi256ELi2ELi4ELi8E21rocsparse_complex_numIfEEEv20rocsparse_direction_iiiiii21rocsparse_index_base_PKT3_PKiS9_S4_PS5_PiSB_,@function
_ZN9rocsparseL44csr2gebsr_wavefront_per_row_multipass_kernelILi256ELi2ELi4ELi8E21rocsparse_complex_numIfEEEv20rocsparse_direction_iiiiii21rocsparse_index_base_PKT3_PKiS9_S4_PS5_PiSB_: ; @_ZN9rocsparseL44csr2gebsr_wavefront_per_row_multipass_kernelILi256ELi2ELi4ELi8E21rocsparse_complex_numIfEEEv20rocsparse_direction_iiiiii21rocsparse_index_base_PKT3_PKiS9_S4_PS5_PiSB_
; %bb.0:
	s_load_dwordx2 s[14:15], s[0:1], 0x0
	s_load_dwordx4 s[4:7], s[0:1], 0xc
	s_load_dword s20, s[0:1], 0x1c
	s_load_dwordx2 s[8:9], s[0:1], 0x28
	v_lshrrev_b32_e32 v12, 3, v0
	v_bfe_u32 v6, v0, 2, 1
	v_lshl_or_b32 v4, s2, 5, v12
	s_waitcnt lgkmcnt(0)
	v_mad_u64_u32 v[2:3], s[2:3], v4, s6, v[6:7]
	v_cmp_gt_i32_e64 s[2:3], s15, v2
	v_cmp_gt_i32_e32 vcc, s6, v6
	s_and_b64 s[2:3], vcc, s[2:3]
	v_mov_b32_e32 v13, 0
	v_mov_b32_e32 v8, 0
	s_and_saveexec_b64 s[10:11], s[2:3]
	s_cbranch_execz .LBB126_2
; %bb.1:
	v_ashrrev_i32_e32 v3, 31, v2
	v_lshl_add_u64 v[8:9], v[2:3], 2, s[8:9]
	global_load_dword v1, v[8:9], off
	s_waitcnt vmcnt(0)
	v_subrev_u32_e32 v8, s20, v1
.LBB126_2:
	s_or_b64 exec, exec, s[10:11]
	s_and_saveexec_b64 s[10:11], s[2:3]
	s_cbranch_execz .LBB126_4
; %bb.3:
	v_ashrrev_i32_e32 v3, 31, v2
	v_lshl_add_u64 v[2:3], v[2:3], 2, s[8:9]
	global_load_dword v1, v[2:3], off offset:4
	s_waitcnt vmcnt(0)
	v_subrev_u32_e32 v13, s20, v1
.LBB126_4:
	s_or_b64 exec, exec, s[10:11]
	s_load_dword s21, s[0:1], 0x38
	v_cmp_gt_i32_e64 s[2:3], s4, v4
	v_mov_b32_e32 v2, 0
	s_and_saveexec_b64 s[8:9], s[2:3]
	s_cbranch_execz .LBB126_6
; %bb.5:
	s_load_dwordx2 s[2:3], s[0:1], 0x48
	v_ashrrev_i32_e32 v5, 31, v4
	s_waitcnt lgkmcnt(0)
	v_lshl_add_u64 v[2:3], v[4:5], 2, s[2:3]
	global_load_dword v1, v[2:3], off
	s_waitcnt vmcnt(0)
	v_subrev_u32_e32 v2, s21, v1
.LBB126_6:
	s_or_b64 exec, exec, s[8:9]
	s_cmp_lt_i32 s5, 1
	s_cbranch_scc1 .LBB126_21
; %bb.7:
	v_and_b32_e32 v4, 3, v0
	s_load_dwordx2 s[2:3], s[0:1], 0x20
	s_load_dwordx2 s[8:9], s[0:1], 0x50
	;; [unrolled: 1-line block ×4, first 2 shown]
	v_cmp_gt_u32_e64 s[0:1], s7, v4
	s_and_b64 s[12:13], vcc, s[0:1]
	s_cmp_eq_u32 s14, 0
	s_cselect_b64 vcc, -1, 0
	s_abs_i32 s4, s7
	v_cvt_f32_u32_e32 v9, s4
	v_and_b32_e32 v0, 0xf8, v0
	v_lshl_or_b32 v14, v6, 2, v0
	v_mbcnt_lo_u32_b32 v0, -1, 0
	v_rcp_iflag_f32_e32 v9, v9
	v_mbcnt_hi_u32_b32 v0, -1, v0
	v_lshlrev_b32_e32 v3, 2, v0
	v_mov_b32_e32 v5, 0
	v_or_b32_e32 v15, 12, v3
	v_or_b32_e32 v0, v14, v4
	;; [unrolled: 1-line block ×3, first 2 shown]
	v_mul_f32_e32 v3, 0x4f7ffffe, v9
	v_lshlrev_b32_e32 v16, 3, v0
	v_mul_lo_u32 v0, v4, s6
	v_mov_b32_e32 v1, v5
	v_lshlrev_b32_e32 v10, 3, v6
	v_mul_lo_u32 v6, v6, s7
	v_cvt_u32_f32_e32 v3, v3
	s_waitcnt lgkmcnt(0)
	v_lshl_add_u64 v[0:1], v[0:1], 3, s[16:17]
	v_mov_b32_e32 v11, v5
	v_ashrrev_i32_e32 v7, 31, v6
	s_ashr_i32 s22, s7, 31
	v_lshl_add_u64 v[0:1], v[0:1], 0, v[10:11]
	v_lshl_add_u64 v[6:7], v[6:7], 3, s[16:17]
	v_lshlrev_b32_e32 v10, 3, v4
	s_mul_hi_u32 s0, s7, s6
	s_mul_i32 s1, s22, s6
	v_lshl_add_u64 v[6:7], v[6:7], 0, v[10:11]
	s_add_i32 s23, s0, s1
	s_sub_i32 s0, 0, s4
	v_cndmask_b32_e32 v0, v0, v6, vcc
	v_mul_lo_u32 v6, s0, v3
	v_mul_hi_u32 v6, v3, v6
	s_mul_i32 s6, s7, s6
	v_cndmask_b32_e32 v1, v1, v7, vcc
	v_add_u32_e32 v18, v3, v6
	s_mov_b64 s[14:15], 0
	v_mov_b32_e32 v6, v5
	v_mov_b32_e32 v7, v5
	v_mov_b32_e32 v19, 1
	v_mov_b32_e32 v3, v5
	s_branch .LBB126_10
.LBB126_8:                              ;   in Loop: Header=BB126_10 Depth=1
	s_or_b64 exec, exec, s[16:17]
	v_mov_b32_e32 v9, 1
.LBB126_9:                              ;   in Loop: Header=BB126_10 Depth=1
	s_or_b64 exec, exec, s[0:1]
	v_mov_b32_dpp v3, v20 row_shr:1 row_mask:0xf bank_mask:0xf
	v_min_i32_e32 v3, v3, v20
	v_add_u32_e32 v2, v9, v2
	s_waitcnt lgkmcnt(0)
	v_mov_b32_dpp v10, v3 row_shr:2 row_mask:0xf bank_mask:0xf
	v_min_i32_e32 v3, v10, v3
	s_nop 1
	v_mov_b32_dpp v10, v3 row_shr:4 row_mask:0xf bank_mask:0xe
	v_min_i32_e32 v3, v10, v3
	ds_bpermute_b32 v3, v17, v3
	s_waitcnt lgkmcnt(0)
	v_cmp_le_i32_e32 vcc, s5, v3
	s_or_b64 s[14:15], vcc, s[14:15]
	s_andn2_b64 exec, exec, s[14:15]
	s_cbranch_execz .LBB126_21
.LBB126_10:                             ; =>This Loop Header: Depth=1
                                        ;     Child Loop BB126_13 Depth 2
	v_add_u32_e32 v21, v8, v4
	v_cmp_lt_i32_e32 vcc, v21, v13
	v_mov_b32_e32 v20, s5
	v_mov_b32_e32 v23, v13
	ds_write_b8 v12, v5 offset:2048
	ds_write_b64 v16, v[6:7]
	s_waitcnt lgkmcnt(0)
	s_and_saveexec_b64 s[16:17], vcc
	s_cbranch_execz .LBB126_18
; %bb.11:                               ;   in Loop: Header=BB126_10 Depth=1
	v_ashrrev_i32_e32 v9, 31, v8
	v_lshl_add_u64 v[10:11], v[4:5], 0, v[8:9]
	v_mul_lo_u32 v22, v3, s7
	v_lshl_add_u64 v[8:9], v[10:11], 2, s[10:11]
	v_lshl_add_u64 v[10:11], v[10:11], 3, s[2:3]
	s_mov_b64 s[18:19], 0
	v_mov_b32_e32 v20, s5
	v_mov_b32_e32 v23, v13
	s_branch .LBB126_13
.LBB126_12:                             ;   in Loop: Header=BB126_13 Depth=2
	s_or_b64 exec, exec, s[0:1]
	v_add_u32_e32 v21, 4, v21
	v_cmp_ge_i32_e64 s[0:1], v21, v13
	s_xor_b64 s[24:25], vcc, -1
	s_or_b64 s[0:1], s[24:25], s[0:1]
	s_and_b64 s[0:1], exec, s[0:1]
	v_lshl_add_u64 v[8:9], v[8:9], 0, 16
	s_or_b64 s[18:19], s[0:1], s[18:19]
	v_lshl_add_u64 v[10:11], v[10:11], 0, 32
	s_andn2_b64 exec, exec, s[18:19]
	s_cbranch_execz .LBB126_17
.LBB126_13:                             ;   Parent Loop BB126_10 Depth=1
                                        ; =>  This Inner Loop Header: Depth=2
	global_load_dword v24, v[8:9], off
	s_waitcnt vmcnt(0)
	v_subrev_u32_e32 v24, s20, v24
	v_sub_u32_e32 v26, 0, v24
	v_max_i32_e32 v26, v24, v26
	v_mul_hi_u32 v27, v26, v18
	v_mul_lo_u32 v28, v27, s4
	v_sub_u32_e32 v26, v26, v28
	v_add_u32_e32 v29, 1, v27
	v_cmp_le_u32_e32 vcc, s4, v26
	v_subrev_u32_e32 v28, s4, v26
	v_ashrrev_i32_e32 v25, 31, v24
	v_cndmask_b32_e32 v27, v27, v29, vcc
	v_cndmask_b32_e32 v26, v26, v28, vcc
	v_add_u32_e32 v28, 1, v27
	v_cmp_le_u32_e32 vcc, s4, v26
	v_xor_b32_e32 v25, s22, v25
	s_nop 0
	v_cndmask_b32_e32 v26, v27, v28, vcc
	v_xor_b32_e32 v26, v26, v25
	v_sub_u32_e32 v26, v26, v25
	v_cmp_eq_u32_e32 vcc, v26, v3
	v_cmp_ne_u32_e64 s[0:1], v26, v3
	v_mov_b32_e32 v25, v23
	s_and_saveexec_b64 s[24:25], s[0:1]
	s_xor_b64 s[0:1], exec, s[24:25]
; %bb.14:                               ;   in Loop: Header=BB126_13 Depth=2
	v_min_i32_e32 v20, v26, v20
                                        ; implicit-def: $vgpr24
                                        ; implicit-def: $vgpr25
; %bb.15:                               ;   in Loop: Header=BB126_13 Depth=2
	s_or_saveexec_b64 s[0:1], s[0:1]
	v_mov_b32_e32 v23, v21
	s_xor_b64 exec, exec, s[0:1]
	s_cbranch_execz .LBB126_12
; %bb.16:                               ;   in Loop: Header=BB126_13 Depth=2
	global_load_dwordx2 v[26:27], v[10:11], off
	v_sub_u32_e32 v23, v24, v22
	v_add_lshl_u32 v23, v14, v23, 3
	ds_write_b8 v12, v19 offset:2048
	s_waitcnt vmcnt(0)
	ds_write_b64 v23, v[26:27]
	v_mov_b32_e32 v23, v25
	s_branch .LBB126_12
.LBB126_17:                             ;   in Loop: Header=BB126_10 Depth=1
	s_or_b64 exec, exec, s[18:19]
.LBB126_18:                             ;   in Loop: Header=BB126_10 Depth=1
	s_or_b64 exec, exec, s[16:17]
	v_mov_b32_dpp v8, v23 row_shr:1 row_mask:0xf bank_mask:0xf
	v_min_i32_e32 v8, v8, v23
	s_waitcnt lgkmcnt(0)
	ds_read_u8 v9, v12 offset:2048
	v_mov_b32_dpp v10, v8 row_shr:2 row_mask:0xf bank_mask:0xf
	v_min_i32_e32 v8, v10, v8
	ds_bpermute_b32 v8, v15, v8
	s_waitcnt lgkmcnt(1)
	v_and_b32_e32 v9, 1, v9
	v_cmp_eq_u32_e32 vcc, 1, v9
	v_mov_b32_e32 v9, 0
	s_and_saveexec_b64 s[0:1], vcc
	s_cbranch_execz .LBB126_9
; %bb.19:                               ;   in Loop: Header=BB126_10 Depth=1
	v_add_u32_e32 v9, s21, v3
	v_ashrrev_i32_e32 v3, 31, v2
	v_lshl_add_u64 v[10:11], v[2:3], 2, s[8:9]
	global_store_dword v[10:11], v9, off
	s_and_saveexec_b64 s[16:17], s[12:13]
	s_cbranch_execz .LBB126_8
; %bb.20:                               ;   in Loop: Header=BB126_10 Depth=1
	ds_read_b64 v[10:11], v16
	v_mul_lo_u32 v9, s23, v2
	v_mul_lo_u32 v3, s6, v3
	v_mad_u64_u32 v[22:23], s[18:19], s6, v2, 0
	v_add3_u32 v23, v23, v3, v9
	v_lshl_add_u64 v[22:23], v[22:23], 3, v[0:1]
	s_waitcnt lgkmcnt(0)
	global_store_dwordx2 v[22:23], v[10:11], off
	s_branch .LBB126_8
.LBB126_21:
	s_endpgm
	.section	.rodata,"a",@progbits
	.p2align	6, 0x0
	.amdhsa_kernel _ZN9rocsparseL44csr2gebsr_wavefront_per_row_multipass_kernelILi256ELi2ELi4ELi8E21rocsparse_complex_numIfEEEv20rocsparse_direction_iiiiii21rocsparse_index_base_PKT3_PKiS9_S4_PS5_PiSB_
		.amdhsa_group_segment_fixed_size 2080
		.amdhsa_private_segment_fixed_size 0
		.amdhsa_kernarg_size 88
		.amdhsa_user_sgpr_count 2
		.amdhsa_user_sgpr_dispatch_ptr 0
		.amdhsa_user_sgpr_queue_ptr 0
		.amdhsa_user_sgpr_kernarg_segment_ptr 1
		.amdhsa_user_sgpr_dispatch_id 0
		.amdhsa_user_sgpr_kernarg_preload_length 0
		.amdhsa_user_sgpr_kernarg_preload_offset 0
		.amdhsa_user_sgpr_private_segment_size 0
		.amdhsa_uses_dynamic_stack 0
		.amdhsa_enable_private_segment 0
		.amdhsa_system_sgpr_workgroup_id_x 1
		.amdhsa_system_sgpr_workgroup_id_y 0
		.amdhsa_system_sgpr_workgroup_id_z 0
		.amdhsa_system_sgpr_workgroup_info 0
		.amdhsa_system_vgpr_workitem_id 0
		.amdhsa_next_free_vgpr 30
		.amdhsa_next_free_sgpr 26
		.amdhsa_accum_offset 32
		.amdhsa_reserve_vcc 1
		.amdhsa_float_round_mode_32 0
		.amdhsa_float_round_mode_16_64 0
		.amdhsa_float_denorm_mode_32 3
		.amdhsa_float_denorm_mode_16_64 3
		.amdhsa_dx10_clamp 1
		.amdhsa_ieee_mode 1
		.amdhsa_fp16_overflow 0
		.amdhsa_tg_split 0
		.amdhsa_exception_fp_ieee_invalid_op 0
		.amdhsa_exception_fp_denorm_src 0
		.amdhsa_exception_fp_ieee_div_zero 0
		.amdhsa_exception_fp_ieee_overflow 0
		.amdhsa_exception_fp_ieee_underflow 0
		.amdhsa_exception_fp_ieee_inexact 0
		.amdhsa_exception_int_div_zero 0
	.end_amdhsa_kernel
	.section	.text._ZN9rocsparseL44csr2gebsr_wavefront_per_row_multipass_kernelILi256ELi2ELi4ELi8E21rocsparse_complex_numIfEEEv20rocsparse_direction_iiiiii21rocsparse_index_base_PKT3_PKiS9_S4_PS5_PiSB_,"axG",@progbits,_ZN9rocsparseL44csr2gebsr_wavefront_per_row_multipass_kernelILi256ELi2ELi4ELi8E21rocsparse_complex_numIfEEEv20rocsparse_direction_iiiiii21rocsparse_index_base_PKT3_PKiS9_S4_PS5_PiSB_,comdat
.Lfunc_end126:
	.size	_ZN9rocsparseL44csr2gebsr_wavefront_per_row_multipass_kernelILi256ELi2ELi4ELi8E21rocsparse_complex_numIfEEEv20rocsparse_direction_iiiiii21rocsparse_index_base_PKT3_PKiS9_S4_PS5_PiSB_, .Lfunc_end126-_ZN9rocsparseL44csr2gebsr_wavefront_per_row_multipass_kernelILi256ELi2ELi4ELi8E21rocsparse_complex_numIfEEEv20rocsparse_direction_iiiiii21rocsparse_index_base_PKT3_PKiS9_S4_PS5_PiSB_
                                        ; -- End function
	.section	.AMDGPU.csdata,"",@progbits
; Kernel info:
; codeLenInByte = 1136
; NumSgprs: 32
; NumVgprs: 30
; NumAgprs: 0
; TotalNumVgprs: 30
; ScratchSize: 0
; MemoryBound: 0
; FloatMode: 240
; IeeeMode: 1
; LDSByteSize: 2080 bytes/workgroup (compile time only)
; SGPRBlocks: 3
; VGPRBlocks: 3
; NumSGPRsForWavesPerEU: 32
; NumVGPRsForWavesPerEU: 30
; AccumOffset: 32
; Occupancy: 8
; WaveLimiterHint : 0
; COMPUTE_PGM_RSRC2:SCRATCH_EN: 0
; COMPUTE_PGM_RSRC2:USER_SGPR: 2
; COMPUTE_PGM_RSRC2:TRAP_HANDLER: 0
; COMPUTE_PGM_RSRC2:TGID_X_EN: 1
; COMPUTE_PGM_RSRC2:TGID_Y_EN: 0
; COMPUTE_PGM_RSRC2:TGID_Z_EN: 0
; COMPUTE_PGM_RSRC2:TIDIG_COMP_CNT: 0
; COMPUTE_PGM_RSRC3_GFX90A:ACCUM_OFFSET: 7
; COMPUTE_PGM_RSRC3_GFX90A:TG_SPLIT: 0
	.section	.text._ZN9rocsparseL44csr2gebsr_wavefront_per_row_multipass_kernelILi256ELi2ELi8ELi16E21rocsparse_complex_numIfEEEv20rocsparse_direction_iiiiii21rocsparse_index_base_PKT3_PKiS9_S4_PS5_PiSB_,"axG",@progbits,_ZN9rocsparseL44csr2gebsr_wavefront_per_row_multipass_kernelILi256ELi2ELi8ELi16E21rocsparse_complex_numIfEEEv20rocsparse_direction_iiiiii21rocsparse_index_base_PKT3_PKiS9_S4_PS5_PiSB_,comdat
	.globl	_ZN9rocsparseL44csr2gebsr_wavefront_per_row_multipass_kernelILi256ELi2ELi8ELi16E21rocsparse_complex_numIfEEEv20rocsparse_direction_iiiiii21rocsparse_index_base_PKT3_PKiS9_S4_PS5_PiSB_ ; -- Begin function _ZN9rocsparseL44csr2gebsr_wavefront_per_row_multipass_kernelILi256ELi2ELi8ELi16E21rocsparse_complex_numIfEEEv20rocsparse_direction_iiiiii21rocsparse_index_base_PKT3_PKiS9_S4_PS5_PiSB_
	.p2align	8
	.type	_ZN9rocsparseL44csr2gebsr_wavefront_per_row_multipass_kernelILi256ELi2ELi8ELi16E21rocsparse_complex_numIfEEEv20rocsparse_direction_iiiiii21rocsparse_index_base_PKT3_PKiS9_S4_PS5_PiSB_,@function
_ZN9rocsparseL44csr2gebsr_wavefront_per_row_multipass_kernelILi256ELi2ELi8ELi16E21rocsparse_complex_numIfEEEv20rocsparse_direction_iiiiii21rocsparse_index_base_PKT3_PKiS9_S4_PS5_PiSB_: ; @_ZN9rocsparseL44csr2gebsr_wavefront_per_row_multipass_kernelILi256ELi2ELi8ELi16E21rocsparse_complex_numIfEEEv20rocsparse_direction_iiiiii21rocsparse_index_base_PKT3_PKiS9_S4_PS5_PiSB_
; %bb.0:
	s_load_dwordx2 s[14:15], s[0:1], 0x0
	s_load_dwordx4 s[4:7], s[0:1], 0xc
	s_load_dword s20, s[0:1], 0x1c
	s_load_dwordx2 s[8:9], s[0:1], 0x28
	v_lshrrev_b32_e32 v12, 4, v0
	v_bfe_u32 v6, v0, 3, 1
	v_lshl_or_b32 v4, s2, 4, v12
	s_waitcnt lgkmcnt(0)
	v_mad_u64_u32 v[2:3], s[2:3], v4, s6, v[6:7]
	v_cmp_gt_i32_e64 s[2:3], s15, v2
	v_cmp_gt_i32_e32 vcc, s6, v6
	s_and_b64 s[2:3], vcc, s[2:3]
	v_mov_b32_e32 v13, 0
	v_mov_b32_e32 v8, 0
	s_and_saveexec_b64 s[10:11], s[2:3]
	s_cbranch_execz .LBB127_2
; %bb.1:
	v_ashrrev_i32_e32 v3, 31, v2
	v_lshl_add_u64 v[8:9], v[2:3], 2, s[8:9]
	global_load_dword v1, v[8:9], off
	s_waitcnt vmcnt(0)
	v_subrev_u32_e32 v8, s20, v1
.LBB127_2:
	s_or_b64 exec, exec, s[10:11]
	s_and_saveexec_b64 s[10:11], s[2:3]
	s_cbranch_execz .LBB127_4
; %bb.3:
	v_ashrrev_i32_e32 v3, 31, v2
	v_lshl_add_u64 v[2:3], v[2:3], 2, s[8:9]
	global_load_dword v1, v[2:3], off offset:4
	s_waitcnt vmcnt(0)
	v_subrev_u32_e32 v13, s20, v1
.LBB127_4:
	s_or_b64 exec, exec, s[10:11]
	s_load_dword s21, s[0:1], 0x38
	v_cmp_gt_i32_e64 s[2:3], s4, v4
	v_mov_b32_e32 v2, 0
	s_and_saveexec_b64 s[8:9], s[2:3]
	s_cbranch_execz .LBB127_6
; %bb.5:
	s_load_dwordx2 s[2:3], s[0:1], 0x48
	v_ashrrev_i32_e32 v5, 31, v4
	s_waitcnt lgkmcnt(0)
	v_lshl_add_u64 v[2:3], v[4:5], 2, s[2:3]
	global_load_dword v1, v[2:3], off
	s_waitcnt vmcnt(0)
	v_subrev_u32_e32 v2, s21, v1
.LBB127_6:
	s_or_b64 exec, exec, s[8:9]
	s_cmp_lt_i32 s5, 1
	s_cbranch_scc1 .LBB127_21
; %bb.7:
	s_load_dwordx2 s[2:3], s[0:1], 0x20
	s_load_dwordx2 s[8:9], s[0:1], 0x50
	;; [unrolled: 1-line block ×4, first 2 shown]
	v_and_b32_e32 v4, 7, v0
	v_lshlrev_b32_e32 v10, 3, v6
	s_movk_i32 s0, 0xf0
	v_and_or_b32 v14, v0, s0, v10
	v_cmp_gt_u32_e64 s[0:1], s7, v4
	s_and_b64 s[12:13], vcc, s[0:1]
	s_cmp_eq_u32 s14, 0
	s_cselect_b64 vcc, -1, 0
	s_abs_i32 s4, s7
	v_cvt_f32_u32_e32 v9, s4
	v_mbcnt_lo_u32_b32 v0, -1, 0
	v_mbcnt_hi_u32_b32 v0, -1, v0
	v_lshlrev_b32_e32 v3, 2, v0
	v_rcp_iflag_f32_e32 v9, v9
	v_mov_b32_e32 v5, 0
	v_or_b32_e32 v15, 28, v3
	v_or_b32_e32 v0, v14, v4
	;; [unrolled: 1-line block ×3, first 2 shown]
	v_mul_f32_e32 v3, 0x4f7ffffe, v9
	v_lshlrev_b32_e32 v16, 3, v0
	v_mul_lo_u32 v0, v4, s6
	v_mov_b32_e32 v1, v5
	v_mul_lo_u32 v6, v6, s7
	v_cvt_u32_f32_e32 v3, v3
	s_waitcnt lgkmcnt(0)
	v_lshl_add_u64 v[0:1], v[0:1], 3, s[16:17]
	v_mov_b32_e32 v11, v5
	v_ashrrev_i32_e32 v7, 31, v6
	s_ashr_i32 s22, s7, 31
	v_lshl_add_u64 v[0:1], v[0:1], 0, v[10:11]
	v_lshl_add_u64 v[6:7], v[6:7], 3, s[16:17]
	v_lshlrev_b32_e32 v10, 3, v4
	s_mul_hi_u32 s0, s7, s6
	s_mul_i32 s1, s22, s6
	v_lshl_add_u64 v[6:7], v[6:7], 0, v[10:11]
	s_add_i32 s23, s0, s1
	s_sub_i32 s0, 0, s4
	v_cndmask_b32_e32 v0, v0, v6, vcc
	v_mul_lo_u32 v6, s0, v3
	v_mul_hi_u32 v6, v3, v6
	s_mul_i32 s6, s7, s6
	v_cndmask_b32_e32 v1, v1, v7, vcc
	v_add_u32_e32 v18, v3, v6
	s_mov_b64 s[14:15], 0
	v_mov_b32_e32 v6, v5
	v_mov_b32_e32 v7, v5
	;; [unrolled: 1-line block ×4, first 2 shown]
	s_branch .LBB127_10
.LBB127_8:                              ;   in Loop: Header=BB127_10 Depth=1
	s_or_b64 exec, exec, s[16:17]
	v_mov_b32_e32 v9, 1
.LBB127_9:                              ;   in Loop: Header=BB127_10 Depth=1
	s_or_b64 exec, exec, s[0:1]
	v_mov_b32_dpp v3, v20 row_shr:1 row_mask:0xf bank_mask:0xf
	v_min_i32_e32 v3, v3, v20
	v_add_u32_e32 v2, v9, v2
	s_waitcnt lgkmcnt(0)
	v_mov_b32_dpp v10, v3 row_shr:2 row_mask:0xf bank_mask:0xf
	v_min_i32_e32 v3, v10, v3
	s_nop 1
	v_mov_b32_dpp v10, v3 row_shr:4 row_mask:0xf bank_mask:0xe
	v_min_i32_e32 v3, v10, v3
	s_nop 1
	v_mov_b32_dpp v10, v3 row_shr:8 row_mask:0xf bank_mask:0xc
	v_min_i32_e32 v3, v10, v3
	ds_bpermute_b32 v3, v17, v3
	s_waitcnt lgkmcnt(0)
	v_cmp_le_i32_e32 vcc, s5, v3
	s_or_b64 s[14:15], vcc, s[14:15]
	s_andn2_b64 exec, exec, s[14:15]
	s_cbranch_execz .LBB127_21
.LBB127_10:                             ; =>This Loop Header: Depth=1
                                        ;     Child Loop BB127_13 Depth 2
	v_add_u32_e32 v21, v8, v4
	v_cmp_lt_i32_e32 vcc, v21, v13
	v_mov_b32_e32 v20, s5
	v_mov_b32_e32 v23, v13
	ds_write_b8 v12, v5 offset:2048
	ds_write_b64 v16, v[6:7]
	s_waitcnt lgkmcnt(0)
	s_and_saveexec_b64 s[16:17], vcc
	s_cbranch_execz .LBB127_18
; %bb.11:                               ;   in Loop: Header=BB127_10 Depth=1
	v_ashrrev_i32_e32 v9, 31, v8
	v_lshl_add_u64 v[10:11], v[4:5], 0, v[8:9]
	v_mul_lo_u32 v22, v3, s7
	v_lshl_add_u64 v[8:9], v[10:11], 2, s[10:11]
	v_lshl_add_u64 v[10:11], v[10:11], 3, s[2:3]
	s_mov_b64 s[18:19], 0
	v_mov_b32_e32 v20, s5
	v_mov_b32_e32 v23, v13
	s_branch .LBB127_13
.LBB127_12:                             ;   in Loop: Header=BB127_13 Depth=2
	s_or_b64 exec, exec, s[0:1]
	v_add_u32_e32 v21, 8, v21
	v_cmp_ge_i32_e64 s[0:1], v21, v13
	s_xor_b64 s[24:25], vcc, -1
	s_or_b64 s[0:1], s[24:25], s[0:1]
	s_and_b64 s[0:1], exec, s[0:1]
	v_lshl_add_u64 v[8:9], v[8:9], 0, 32
	s_or_b64 s[18:19], s[0:1], s[18:19]
	v_lshl_add_u64 v[10:11], v[10:11], 0, 64
	s_andn2_b64 exec, exec, s[18:19]
	s_cbranch_execz .LBB127_17
.LBB127_13:                             ;   Parent Loop BB127_10 Depth=1
                                        ; =>  This Inner Loop Header: Depth=2
	global_load_dword v24, v[8:9], off
	s_waitcnt vmcnt(0)
	v_subrev_u32_e32 v24, s20, v24
	v_sub_u32_e32 v26, 0, v24
	v_max_i32_e32 v26, v24, v26
	v_mul_hi_u32 v27, v26, v18
	v_mul_lo_u32 v28, v27, s4
	v_sub_u32_e32 v26, v26, v28
	v_add_u32_e32 v29, 1, v27
	v_cmp_le_u32_e32 vcc, s4, v26
	v_subrev_u32_e32 v28, s4, v26
	v_ashrrev_i32_e32 v25, 31, v24
	v_cndmask_b32_e32 v27, v27, v29, vcc
	v_cndmask_b32_e32 v26, v26, v28, vcc
	v_add_u32_e32 v28, 1, v27
	v_cmp_le_u32_e32 vcc, s4, v26
	v_xor_b32_e32 v25, s22, v25
	s_nop 0
	v_cndmask_b32_e32 v26, v27, v28, vcc
	v_xor_b32_e32 v26, v26, v25
	v_sub_u32_e32 v26, v26, v25
	v_cmp_eq_u32_e32 vcc, v26, v3
	v_cmp_ne_u32_e64 s[0:1], v26, v3
	v_mov_b32_e32 v25, v23
	s_and_saveexec_b64 s[24:25], s[0:1]
	s_xor_b64 s[0:1], exec, s[24:25]
; %bb.14:                               ;   in Loop: Header=BB127_13 Depth=2
	v_min_i32_e32 v20, v26, v20
                                        ; implicit-def: $vgpr24
                                        ; implicit-def: $vgpr25
; %bb.15:                               ;   in Loop: Header=BB127_13 Depth=2
	s_or_saveexec_b64 s[0:1], s[0:1]
	v_mov_b32_e32 v23, v21
	s_xor_b64 exec, exec, s[0:1]
	s_cbranch_execz .LBB127_12
; %bb.16:                               ;   in Loop: Header=BB127_13 Depth=2
	global_load_dwordx2 v[26:27], v[10:11], off
	v_sub_u32_e32 v23, v24, v22
	v_add_lshl_u32 v23, v14, v23, 3
	ds_write_b8 v12, v19 offset:2048
	s_waitcnt vmcnt(0)
	ds_write_b64 v23, v[26:27]
	v_mov_b32_e32 v23, v25
	s_branch .LBB127_12
.LBB127_17:                             ;   in Loop: Header=BB127_10 Depth=1
	s_or_b64 exec, exec, s[18:19]
.LBB127_18:                             ;   in Loop: Header=BB127_10 Depth=1
	s_or_b64 exec, exec, s[16:17]
	v_mov_b32_dpp v8, v23 row_shr:1 row_mask:0xf bank_mask:0xf
	v_min_i32_e32 v8, v8, v23
	s_waitcnt lgkmcnt(0)
	s_nop 0
	v_mov_b32_dpp v9, v8 row_shr:2 row_mask:0xf bank_mask:0xf
	v_min_i32_e32 v8, v9, v8
	ds_read_u8 v9, v12 offset:2048
	s_waitcnt lgkmcnt(0)
	v_and_b32_e32 v9, 1, v9
	v_mov_b32_dpp v10, v8 row_shr:4 row_mask:0xf bank_mask:0xe
	v_min_i32_e32 v8, v10, v8
	ds_bpermute_b32 v8, v15, v8
	v_cmp_eq_u32_e32 vcc, 1, v9
	v_mov_b32_e32 v9, 0
	s_and_saveexec_b64 s[0:1], vcc
	s_cbranch_execz .LBB127_9
; %bb.19:                               ;   in Loop: Header=BB127_10 Depth=1
	v_add_u32_e32 v9, s21, v3
	v_ashrrev_i32_e32 v3, 31, v2
	v_lshl_add_u64 v[10:11], v[2:3], 2, s[8:9]
	global_store_dword v[10:11], v9, off
	s_and_saveexec_b64 s[16:17], s[12:13]
	s_cbranch_execz .LBB127_8
; %bb.20:                               ;   in Loop: Header=BB127_10 Depth=1
	ds_read_b64 v[10:11], v16
	v_mul_lo_u32 v9, s23, v2
	v_mul_lo_u32 v3, s6, v3
	v_mad_u64_u32 v[22:23], s[18:19], s6, v2, 0
	v_add3_u32 v23, v23, v3, v9
	v_lshl_add_u64 v[22:23], v[22:23], 3, v[0:1]
	s_waitcnt lgkmcnt(0)
	global_store_dwordx2 v[22:23], v[10:11], off
	s_branch .LBB127_8
.LBB127_21:
	s_endpgm
	.section	.rodata,"a",@progbits
	.p2align	6, 0x0
	.amdhsa_kernel _ZN9rocsparseL44csr2gebsr_wavefront_per_row_multipass_kernelILi256ELi2ELi8ELi16E21rocsparse_complex_numIfEEEv20rocsparse_direction_iiiiii21rocsparse_index_base_PKT3_PKiS9_S4_PS5_PiSB_
		.amdhsa_group_segment_fixed_size 2064
		.amdhsa_private_segment_fixed_size 0
		.amdhsa_kernarg_size 88
		.amdhsa_user_sgpr_count 2
		.amdhsa_user_sgpr_dispatch_ptr 0
		.amdhsa_user_sgpr_queue_ptr 0
		.amdhsa_user_sgpr_kernarg_segment_ptr 1
		.amdhsa_user_sgpr_dispatch_id 0
		.amdhsa_user_sgpr_kernarg_preload_length 0
		.amdhsa_user_sgpr_kernarg_preload_offset 0
		.amdhsa_user_sgpr_private_segment_size 0
		.amdhsa_uses_dynamic_stack 0
		.amdhsa_enable_private_segment 0
		.amdhsa_system_sgpr_workgroup_id_x 1
		.amdhsa_system_sgpr_workgroup_id_y 0
		.amdhsa_system_sgpr_workgroup_id_z 0
		.amdhsa_system_sgpr_workgroup_info 0
		.amdhsa_system_vgpr_workitem_id 0
		.amdhsa_next_free_vgpr 30
		.amdhsa_next_free_sgpr 26
		.amdhsa_accum_offset 32
		.amdhsa_reserve_vcc 1
		.amdhsa_float_round_mode_32 0
		.amdhsa_float_round_mode_16_64 0
		.amdhsa_float_denorm_mode_32 3
		.amdhsa_float_denorm_mode_16_64 3
		.amdhsa_dx10_clamp 1
		.amdhsa_ieee_mode 1
		.amdhsa_fp16_overflow 0
		.amdhsa_tg_split 0
		.amdhsa_exception_fp_ieee_invalid_op 0
		.amdhsa_exception_fp_denorm_src 0
		.amdhsa_exception_fp_ieee_div_zero 0
		.amdhsa_exception_fp_ieee_overflow 0
		.amdhsa_exception_fp_ieee_underflow 0
		.amdhsa_exception_fp_ieee_inexact 0
		.amdhsa_exception_int_div_zero 0
	.end_amdhsa_kernel
	.section	.text._ZN9rocsparseL44csr2gebsr_wavefront_per_row_multipass_kernelILi256ELi2ELi8ELi16E21rocsparse_complex_numIfEEEv20rocsparse_direction_iiiiii21rocsparse_index_base_PKT3_PKiS9_S4_PS5_PiSB_,"axG",@progbits,_ZN9rocsparseL44csr2gebsr_wavefront_per_row_multipass_kernelILi256ELi2ELi8ELi16E21rocsparse_complex_numIfEEEv20rocsparse_direction_iiiiii21rocsparse_index_base_PKT3_PKiS9_S4_PS5_PiSB_,comdat
.Lfunc_end127:
	.size	_ZN9rocsparseL44csr2gebsr_wavefront_per_row_multipass_kernelILi256ELi2ELi8ELi16E21rocsparse_complex_numIfEEEv20rocsparse_direction_iiiiii21rocsparse_index_base_PKT3_PKiS9_S4_PS5_PiSB_, .Lfunc_end127-_ZN9rocsparseL44csr2gebsr_wavefront_per_row_multipass_kernelILi256ELi2ELi8ELi16E21rocsparse_complex_numIfEEEv20rocsparse_direction_iiiiii21rocsparse_index_base_PKT3_PKiS9_S4_PS5_PiSB_
                                        ; -- End function
	.section	.AMDGPU.csdata,"",@progbits
; Kernel info:
; codeLenInByte = 1164
; NumSgprs: 32
; NumVgprs: 30
; NumAgprs: 0
; TotalNumVgprs: 30
; ScratchSize: 0
; MemoryBound: 0
; FloatMode: 240
; IeeeMode: 1
; LDSByteSize: 2064 bytes/workgroup (compile time only)
; SGPRBlocks: 3
; VGPRBlocks: 3
; NumSGPRsForWavesPerEU: 32
; NumVGPRsForWavesPerEU: 30
; AccumOffset: 32
; Occupancy: 8
; WaveLimiterHint : 0
; COMPUTE_PGM_RSRC2:SCRATCH_EN: 0
; COMPUTE_PGM_RSRC2:USER_SGPR: 2
; COMPUTE_PGM_RSRC2:TRAP_HANDLER: 0
; COMPUTE_PGM_RSRC2:TGID_X_EN: 1
; COMPUTE_PGM_RSRC2:TGID_Y_EN: 0
; COMPUTE_PGM_RSRC2:TGID_Z_EN: 0
; COMPUTE_PGM_RSRC2:TIDIG_COMP_CNT: 0
; COMPUTE_PGM_RSRC3_GFX90A:ACCUM_OFFSET: 7
; COMPUTE_PGM_RSRC3_GFX90A:TG_SPLIT: 0
	.section	.text._ZN9rocsparseL44csr2gebsr_wavefront_per_row_multipass_kernelILi256ELi2ELi16ELi32E21rocsparse_complex_numIfEEEv20rocsparse_direction_iiiiii21rocsparse_index_base_PKT3_PKiS9_S4_PS5_PiSB_,"axG",@progbits,_ZN9rocsparseL44csr2gebsr_wavefront_per_row_multipass_kernelILi256ELi2ELi16ELi32E21rocsparse_complex_numIfEEEv20rocsparse_direction_iiiiii21rocsparse_index_base_PKT3_PKiS9_S4_PS5_PiSB_,comdat
	.globl	_ZN9rocsparseL44csr2gebsr_wavefront_per_row_multipass_kernelILi256ELi2ELi16ELi32E21rocsparse_complex_numIfEEEv20rocsparse_direction_iiiiii21rocsparse_index_base_PKT3_PKiS9_S4_PS5_PiSB_ ; -- Begin function _ZN9rocsparseL44csr2gebsr_wavefront_per_row_multipass_kernelILi256ELi2ELi16ELi32E21rocsparse_complex_numIfEEEv20rocsparse_direction_iiiiii21rocsparse_index_base_PKT3_PKiS9_S4_PS5_PiSB_
	.p2align	8
	.type	_ZN9rocsparseL44csr2gebsr_wavefront_per_row_multipass_kernelILi256ELi2ELi16ELi32E21rocsparse_complex_numIfEEEv20rocsparse_direction_iiiiii21rocsparse_index_base_PKT3_PKiS9_S4_PS5_PiSB_,@function
_ZN9rocsparseL44csr2gebsr_wavefront_per_row_multipass_kernelILi256ELi2ELi16ELi32E21rocsparse_complex_numIfEEEv20rocsparse_direction_iiiiii21rocsparse_index_base_PKT3_PKiS9_S4_PS5_PiSB_: ; @_ZN9rocsparseL44csr2gebsr_wavefront_per_row_multipass_kernelILi256ELi2ELi16ELi32E21rocsparse_complex_numIfEEEv20rocsparse_direction_iiiiii21rocsparse_index_base_PKT3_PKiS9_S4_PS5_PiSB_
; %bb.0:
	s_load_dwordx2 s[14:15], s[0:1], 0x0
	s_load_dwordx4 s[4:7], s[0:1], 0xc
	s_load_dword s22, s[0:1], 0x1c
	s_load_dwordx2 s[8:9], s[0:1], 0x28
	v_lshrrev_b32_e32 v12, 5, v0
	v_bfe_u32 v6, v0, 4, 1
	v_lshl_or_b32 v4, s2, 3, v12
	s_waitcnt lgkmcnt(0)
	v_mad_u64_u32 v[2:3], s[2:3], v4, s6, v[6:7]
	v_cmp_gt_i32_e64 s[2:3], s15, v2
	v_cmp_gt_i32_e32 vcc, s6, v6
	s_and_b64 s[2:3], vcc, s[2:3]
	v_mov_b32_e32 v13, 0
	v_mov_b32_e32 v8, 0
	s_and_saveexec_b64 s[10:11], s[2:3]
	s_cbranch_execz .LBB128_2
; %bb.1:
	v_ashrrev_i32_e32 v3, 31, v2
	v_lshl_add_u64 v[8:9], v[2:3], 2, s[8:9]
	global_load_dword v1, v[8:9], off
	s_waitcnt vmcnt(0)
	v_subrev_u32_e32 v8, s22, v1
.LBB128_2:
	s_or_b64 exec, exec, s[10:11]
	s_and_saveexec_b64 s[10:11], s[2:3]
	s_cbranch_execz .LBB128_4
; %bb.3:
	v_ashrrev_i32_e32 v3, 31, v2
	v_lshl_add_u64 v[2:3], v[2:3], 2, s[8:9]
	global_load_dword v1, v[2:3], off offset:4
	s_waitcnt vmcnt(0)
	v_subrev_u32_e32 v13, s22, v1
.LBB128_4:
	s_or_b64 exec, exec, s[10:11]
	s_load_dword s23, s[0:1], 0x38
	v_cmp_gt_i32_e64 s[2:3], s4, v4
	v_mov_b32_e32 v2, 0
	s_and_saveexec_b64 s[8:9], s[2:3]
	s_cbranch_execz .LBB128_6
; %bb.5:
	s_load_dwordx2 s[2:3], s[0:1], 0x48
	v_ashrrev_i32_e32 v5, 31, v4
	s_waitcnt lgkmcnt(0)
	v_lshl_add_u64 v[2:3], v[4:5], 2, s[2:3]
	global_load_dword v1, v[2:3], off
	s_waitcnt vmcnt(0)
	v_subrev_u32_e32 v2, s23, v1
.LBB128_6:
	s_or_b64 exec, exec, s[8:9]
	s_cmp_lt_i32 s5, 1
	s_cbranch_scc1 .LBB128_21
; %bb.7:
	v_and_b32_e32 v4, 15, v0
	s_load_dwordx2 s[2:3], s[0:1], 0x20
	s_load_dwordx2 s[8:9], s[0:1], 0x50
	s_load_dwordx2 s[16:17], s[0:1], 0x40
	s_load_dwordx2 s[10:11], s[0:1], 0x30
	v_cmp_gt_u32_e64 s[0:1], s7, v4
	s_and_b64 s[12:13], vcc, s[0:1]
	s_cmp_eq_u32 s14, 0
	s_cselect_b64 vcc, -1, 0
	s_abs_i32 s4, s7
	v_cvt_f32_u32_e32 v9, s4
	v_and_b32_e32 v0, 0xe0, v0
	v_lshl_or_b32 v14, v6, 4, v0
	v_mbcnt_lo_u32_b32 v0, -1, 0
	v_rcp_iflag_f32_e32 v9, v9
	v_mbcnt_hi_u32_b32 v0, -1, v0
	v_lshlrev_b32_e32 v3, 2, v0
	v_mov_b32_e32 v5, 0
	v_or_b32_e32 v15, 60, v3
	v_or_b32_e32 v0, v14, v4
	;; [unrolled: 1-line block ×3, first 2 shown]
	v_mul_f32_e32 v3, 0x4f7ffffe, v9
	v_lshlrev_b32_e32 v16, 3, v0
	v_mul_lo_u32 v0, v4, s6
	v_mov_b32_e32 v1, v5
	v_lshlrev_b32_e32 v10, 3, v6
	v_mul_lo_u32 v6, v6, s7
	v_cvt_u32_f32_e32 v3, v3
	s_waitcnt lgkmcnt(0)
	v_lshl_add_u64 v[0:1], v[0:1], 3, s[16:17]
	v_mov_b32_e32 v11, v5
	v_ashrrev_i32_e32 v7, 31, v6
	s_ashr_i32 s24, s7, 31
	v_lshl_add_u64 v[0:1], v[0:1], 0, v[10:11]
	v_lshl_add_u64 v[6:7], v[6:7], 3, s[16:17]
	v_lshlrev_b32_e32 v10, 3, v4
	s_mul_hi_u32 s0, s7, s6
	s_mul_i32 s1, s24, s6
	v_lshl_add_u64 v[6:7], v[6:7], 0, v[10:11]
	s_add_i32 s25, s0, s1
	s_sub_i32 s0, 0, s4
	v_cndmask_b32_e32 v0, v0, v6, vcc
	v_mul_lo_u32 v6, s0, v3
	v_mul_hi_u32 v6, v3, v6
	s_mul_i32 s6, s7, s6
	v_cndmask_b32_e32 v1, v1, v7, vcc
	v_add_u32_e32 v18, v3, v6
	s_mov_b64 s[14:15], 0
	v_mov_b32_e32 v6, v5
	v_mov_b32_e32 v7, v5
	s_mov_b64 s[16:17], 0x80
	v_mov_b32_e32 v19, 1
	v_mov_b32_e32 v3, v5
	s_branch .LBB128_10
.LBB128_8:                              ;   in Loop: Header=BB128_10 Depth=1
	s_or_b64 exec, exec, s[18:19]
	v_mov_b32_e32 v9, 1
.LBB128_9:                              ;   in Loop: Header=BB128_10 Depth=1
	s_or_b64 exec, exec, s[0:1]
	v_mov_b32_dpp v3, v20 row_shr:1 row_mask:0xf bank_mask:0xf
	v_min_i32_e32 v3, v3, v20
	v_add_u32_e32 v2, v9, v2
	s_waitcnt lgkmcnt(0)
	v_mov_b32_dpp v10, v3 row_shr:2 row_mask:0xf bank_mask:0xf
	v_min_i32_e32 v3, v10, v3
	s_nop 1
	v_mov_b32_dpp v10, v3 row_shr:4 row_mask:0xf bank_mask:0xe
	v_min_i32_e32 v3, v10, v3
	s_nop 1
	;; [unrolled: 3-line block ×3, first 2 shown]
	v_mov_b32_dpp v10, v3 row_bcast:15 row_mask:0xa bank_mask:0xf
	v_min_i32_e32 v3, v10, v3
	ds_bpermute_b32 v3, v17, v3
	s_waitcnt lgkmcnt(0)
	v_cmp_le_i32_e32 vcc, s5, v3
	s_or_b64 s[14:15], vcc, s[14:15]
	s_andn2_b64 exec, exec, s[14:15]
	s_cbranch_execz .LBB128_21
.LBB128_10:                             ; =>This Loop Header: Depth=1
                                        ;     Child Loop BB128_13 Depth 2
	v_add_u32_e32 v21, v8, v4
	v_cmp_lt_i32_e32 vcc, v21, v13
	v_mov_b32_e32 v20, s5
	v_mov_b32_e32 v23, v13
	ds_write_b8 v12, v5 offset:2048
	ds_write_b64 v16, v[6:7]
	s_waitcnt lgkmcnt(0)
	s_and_saveexec_b64 s[18:19], vcc
	s_cbranch_execz .LBB128_18
; %bb.11:                               ;   in Loop: Header=BB128_10 Depth=1
	v_ashrrev_i32_e32 v9, 31, v8
	v_lshl_add_u64 v[10:11], v[4:5], 0, v[8:9]
	v_mul_lo_u32 v22, v3, s7
	v_lshl_add_u64 v[8:9], v[10:11], 2, s[10:11]
	v_lshl_add_u64 v[10:11], v[10:11], 3, s[2:3]
	s_mov_b64 s[20:21], 0
	v_mov_b32_e32 v20, s5
	v_mov_b32_e32 v23, v13
	s_branch .LBB128_13
.LBB128_12:                             ;   in Loop: Header=BB128_13 Depth=2
	s_or_b64 exec, exec, s[0:1]
	v_add_u32_e32 v21, 16, v21
	v_cmp_ge_i32_e64 s[0:1], v21, v13
	s_xor_b64 s[26:27], vcc, -1
	s_or_b64 s[0:1], s[26:27], s[0:1]
	s_and_b64 s[0:1], exec, s[0:1]
	v_lshl_add_u64 v[8:9], v[8:9], 0, 64
	s_or_b64 s[20:21], s[0:1], s[20:21]
	v_lshl_add_u64 v[10:11], v[10:11], 0, s[16:17]
	s_andn2_b64 exec, exec, s[20:21]
	s_cbranch_execz .LBB128_17
.LBB128_13:                             ;   Parent Loop BB128_10 Depth=1
                                        ; =>  This Inner Loop Header: Depth=2
	global_load_dword v24, v[8:9], off
	s_waitcnt vmcnt(0)
	v_subrev_u32_e32 v24, s22, v24
	v_sub_u32_e32 v26, 0, v24
	v_max_i32_e32 v26, v24, v26
	v_mul_hi_u32 v27, v26, v18
	v_mul_lo_u32 v28, v27, s4
	v_sub_u32_e32 v26, v26, v28
	v_add_u32_e32 v29, 1, v27
	v_cmp_le_u32_e32 vcc, s4, v26
	v_subrev_u32_e32 v28, s4, v26
	v_ashrrev_i32_e32 v25, 31, v24
	v_cndmask_b32_e32 v27, v27, v29, vcc
	v_cndmask_b32_e32 v26, v26, v28, vcc
	v_add_u32_e32 v28, 1, v27
	v_cmp_le_u32_e32 vcc, s4, v26
	v_xor_b32_e32 v25, s24, v25
	s_nop 0
	v_cndmask_b32_e32 v26, v27, v28, vcc
	v_xor_b32_e32 v26, v26, v25
	v_sub_u32_e32 v26, v26, v25
	v_cmp_eq_u32_e32 vcc, v26, v3
	v_cmp_ne_u32_e64 s[0:1], v26, v3
	v_mov_b32_e32 v25, v23
	s_and_saveexec_b64 s[26:27], s[0:1]
	s_xor_b64 s[0:1], exec, s[26:27]
; %bb.14:                               ;   in Loop: Header=BB128_13 Depth=2
	v_min_i32_e32 v20, v26, v20
                                        ; implicit-def: $vgpr24
                                        ; implicit-def: $vgpr25
; %bb.15:                               ;   in Loop: Header=BB128_13 Depth=2
	s_or_saveexec_b64 s[0:1], s[0:1]
	v_mov_b32_e32 v23, v21
	s_xor_b64 exec, exec, s[0:1]
	s_cbranch_execz .LBB128_12
; %bb.16:                               ;   in Loop: Header=BB128_13 Depth=2
	global_load_dwordx2 v[26:27], v[10:11], off
	v_sub_u32_e32 v23, v24, v22
	v_add_lshl_u32 v23, v14, v23, 3
	ds_write_b8 v12, v19 offset:2048
	s_waitcnt vmcnt(0)
	ds_write_b64 v23, v[26:27]
	v_mov_b32_e32 v23, v25
	s_branch .LBB128_12
.LBB128_17:                             ;   in Loop: Header=BB128_10 Depth=1
	s_or_b64 exec, exec, s[20:21]
.LBB128_18:                             ;   in Loop: Header=BB128_10 Depth=1
	s_or_b64 exec, exec, s[18:19]
	v_mov_b32_dpp v8, v23 row_shr:1 row_mask:0xf bank_mask:0xf
	v_min_i32_e32 v8, v8, v23
	s_waitcnt lgkmcnt(0)
	s_nop 0
	v_mov_b32_dpp v9, v8 row_shr:2 row_mask:0xf bank_mask:0xf
	v_min_i32_e32 v8, v9, v8
	s_nop 1
	v_mov_b32_dpp v9, v8 row_shr:4 row_mask:0xf bank_mask:0xe
	v_min_i32_e32 v8, v9, v8
	ds_read_u8 v9, v12 offset:2048
	s_waitcnt lgkmcnt(0)
	v_and_b32_e32 v9, 1, v9
	v_mov_b32_dpp v10, v8 row_shr:8 row_mask:0xf bank_mask:0xc
	v_min_i32_e32 v8, v10, v8
	ds_bpermute_b32 v8, v15, v8
	v_cmp_eq_u32_e32 vcc, 1, v9
	v_mov_b32_e32 v9, 0
	s_and_saveexec_b64 s[0:1], vcc
	s_cbranch_execz .LBB128_9
; %bb.19:                               ;   in Loop: Header=BB128_10 Depth=1
	v_add_u32_e32 v9, s23, v3
	v_ashrrev_i32_e32 v3, 31, v2
	v_lshl_add_u64 v[10:11], v[2:3], 2, s[8:9]
	global_store_dword v[10:11], v9, off
	s_and_saveexec_b64 s[18:19], s[12:13]
	s_cbranch_execz .LBB128_8
; %bb.20:                               ;   in Loop: Header=BB128_10 Depth=1
	ds_read_b64 v[10:11], v16
	v_mul_lo_u32 v9, s25, v2
	v_mul_lo_u32 v3, s6, v3
	v_mad_u64_u32 v[22:23], s[20:21], s6, v2, 0
	v_add3_u32 v23, v23, v3, v9
	v_lshl_add_u64 v[22:23], v[22:23], 3, v[0:1]
	s_waitcnt lgkmcnt(0)
	global_store_dwordx2 v[22:23], v[10:11], off
	s_branch .LBB128_8
.LBB128_21:
	s_endpgm
	.section	.rodata,"a",@progbits
	.p2align	6, 0x0
	.amdhsa_kernel _ZN9rocsparseL44csr2gebsr_wavefront_per_row_multipass_kernelILi256ELi2ELi16ELi32E21rocsparse_complex_numIfEEEv20rocsparse_direction_iiiiii21rocsparse_index_base_PKT3_PKiS9_S4_PS5_PiSB_
		.amdhsa_group_segment_fixed_size 2056
		.amdhsa_private_segment_fixed_size 0
		.amdhsa_kernarg_size 88
		.amdhsa_user_sgpr_count 2
		.amdhsa_user_sgpr_dispatch_ptr 0
		.amdhsa_user_sgpr_queue_ptr 0
		.amdhsa_user_sgpr_kernarg_segment_ptr 1
		.amdhsa_user_sgpr_dispatch_id 0
		.amdhsa_user_sgpr_kernarg_preload_length 0
		.amdhsa_user_sgpr_kernarg_preload_offset 0
		.amdhsa_user_sgpr_private_segment_size 0
		.amdhsa_uses_dynamic_stack 0
		.amdhsa_enable_private_segment 0
		.amdhsa_system_sgpr_workgroup_id_x 1
		.amdhsa_system_sgpr_workgroup_id_y 0
		.amdhsa_system_sgpr_workgroup_id_z 0
		.amdhsa_system_sgpr_workgroup_info 0
		.amdhsa_system_vgpr_workitem_id 0
		.amdhsa_next_free_vgpr 30
		.amdhsa_next_free_sgpr 28
		.amdhsa_accum_offset 32
		.amdhsa_reserve_vcc 1
		.amdhsa_float_round_mode_32 0
		.amdhsa_float_round_mode_16_64 0
		.amdhsa_float_denorm_mode_32 3
		.amdhsa_float_denorm_mode_16_64 3
		.amdhsa_dx10_clamp 1
		.amdhsa_ieee_mode 1
		.amdhsa_fp16_overflow 0
		.amdhsa_tg_split 0
		.amdhsa_exception_fp_ieee_invalid_op 0
		.amdhsa_exception_fp_denorm_src 0
		.amdhsa_exception_fp_ieee_div_zero 0
		.amdhsa_exception_fp_ieee_overflow 0
		.amdhsa_exception_fp_ieee_underflow 0
		.amdhsa_exception_fp_ieee_inexact 0
		.amdhsa_exception_int_div_zero 0
	.end_amdhsa_kernel
	.section	.text._ZN9rocsparseL44csr2gebsr_wavefront_per_row_multipass_kernelILi256ELi2ELi16ELi32E21rocsparse_complex_numIfEEEv20rocsparse_direction_iiiiii21rocsparse_index_base_PKT3_PKiS9_S4_PS5_PiSB_,"axG",@progbits,_ZN9rocsparseL44csr2gebsr_wavefront_per_row_multipass_kernelILi256ELi2ELi16ELi32E21rocsparse_complex_numIfEEEv20rocsparse_direction_iiiiii21rocsparse_index_base_PKT3_PKiS9_S4_PS5_PiSB_,comdat
.Lfunc_end128:
	.size	_ZN9rocsparseL44csr2gebsr_wavefront_per_row_multipass_kernelILi256ELi2ELi16ELi32E21rocsparse_complex_numIfEEEv20rocsparse_direction_iiiiii21rocsparse_index_base_PKT3_PKiS9_S4_PS5_PiSB_, .Lfunc_end128-_ZN9rocsparseL44csr2gebsr_wavefront_per_row_multipass_kernelILi256ELi2ELi16ELi32E21rocsparse_complex_numIfEEEv20rocsparse_direction_iiiiii21rocsparse_index_base_PKT3_PKiS9_S4_PS5_PiSB_
                                        ; -- End function
	.section	.AMDGPU.csdata,"",@progbits
; Kernel info:
; codeLenInByte = 1212
; NumSgprs: 34
; NumVgprs: 30
; NumAgprs: 0
; TotalNumVgprs: 30
; ScratchSize: 0
; MemoryBound: 0
; FloatMode: 240
; IeeeMode: 1
; LDSByteSize: 2056 bytes/workgroup (compile time only)
; SGPRBlocks: 4
; VGPRBlocks: 3
; NumSGPRsForWavesPerEU: 34
; NumVGPRsForWavesPerEU: 30
; AccumOffset: 32
; Occupancy: 8
; WaveLimiterHint : 0
; COMPUTE_PGM_RSRC2:SCRATCH_EN: 0
; COMPUTE_PGM_RSRC2:USER_SGPR: 2
; COMPUTE_PGM_RSRC2:TRAP_HANDLER: 0
; COMPUTE_PGM_RSRC2:TGID_X_EN: 1
; COMPUTE_PGM_RSRC2:TGID_Y_EN: 0
; COMPUTE_PGM_RSRC2:TGID_Z_EN: 0
; COMPUTE_PGM_RSRC2:TIDIG_COMP_CNT: 0
; COMPUTE_PGM_RSRC3_GFX90A:ACCUM_OFFSET: 7
; COMPUTE_PGM_RSRC3_GFX90A:TG_SPLIT: 0
	.section	.text._ZN9rocsparseL44csr2gebsr_wavefront_per_row_multipass_kernelILi256ELi2ELi32ELi64E21rocsparse_complex_numIfEEEv20rocsparse_direction_iiiiii21rocsparse_index_base_PKT3_PKiS9_S4_PS5_PiSB_,"axG",@progbits,_ZN9rocsparseL44csr2gebsr_wavefront_per_row_multipass_kernelILi256ELi2ELi32ELi64E21rocsparse_complex_numIfEEEv20rocsparse_direction_iiiiii21rocsparse_index_base_PKT3_PKiS9_S4_PS5_PiSB_,comdat
	.globl	_ZN9rocsparseL44csr2gebsr_wavefront_per_row_multipass_kernelILi256ELi2ELi32ELi64E21rocsparse_complex_numIfEEEv20rocsparse_direction_iiiiii21rocsparse_index_base_PKT3_PKiS9_S4_PS5_PiSB_ ; -- Begin function _ZN9rocsparseL44csr2gebsr_wavefront_per_row_multipass_kernelILi256ELi2ELi32ELi64E21rocsparse_complex_numIfEEEv20rocsparse_direction_iiiiii21rocsparse_index_base_PKT3_PKiS9_S4_PS5_PiSB_
	.p2align	8
	.type	_ZN9rocsparseL44csr2gebsr_wavefront_per_row_multipass_kernelILi256ELi2ELi32ELi64E21rocsparse_complex_numIfEEEv20rocsparse_direction_iiiiii21rocsparse_index_base_PKT3_PKiS9_S4_PS5_PiSB_,@function
_ZN9rocsparseL44csr2gebsr_wavefront_per_row_multipass_kernelILi256ELi2ELi32ELi64E21rocsparse_complex_numIfEEEv20rocsparse_direction_iiiiii21rocsparse_index_base_PKT3_PKiS9_S4_PS5_PiSB_: ; @_ZN9rocsparseL44csr2gebsr_wavefront_per_row_multipass_kernelILi256ELi2ELi32ELi64E21rocsparse_complex_numIfEEEv20rocsparse_direction_iiiiii21rocsparse_index_base_PKT3_PKiS9_S4_PS5_PiSB_
; %bb.0:
	s_load_dwordx2 s[14:15], s[0:1], 0x0
	s_load_dwordx4 s[4:7], s[0:1], 0xc
	s_load_dword s24, s[0:1], 0x1c
	s_load_dwordx2 s[8:9], s[0:1], 0x28
	v_lshrrev_b32_e32 v12, 6, v0
	v_bfe_u32 v6, v0, 5, 1
	v_lshl_or_b32 v4, s2, 2, v12
	s_waitcnt lgkmcnt(0)
	v_mad_u64_u32 v[2:3], s[2:3], v4, s6, v[6:7]
	v_cmp_gt_i32_e64 s[2:3], s15, v2
	v_cmp_gt_i32_e32 vcc, s6, v6
	s_and_b64 s[2:3], vcc, s[2:3]
	v_mov_b32_e32 v13, 0
	v_mov_b32_e32 v8, 0
	s_and_saveexec_b64 s[10:11], s[2:3]
	s_cbranch_execz .LBB129_2
; %bb.1:
	v_ashrrev_i32_e32 v3, 31, v2
	v_lshl_add_u64 v[8:9], v[2:3], 2, s[8:9]
	global_load_dword v1, v[8:9], off
	s_waitcnt vmcnt(0)
	v_subrev_u32_e32 v8, s24, v1
.LBB129_2:
	s_or_b64 exec, exec, s[10:11]
	s_and_saveexec_b64 s[10:11], s[2:3]
	s_cbranch_execz .LBB129_4
; %bb.3:
	v_ashrrev_i32_e32 v3, 31, v2
	v_lshl_add_u64 v[2:3], v[2:3], 2, s[8:9]
	global_load_dword v1, v[2:3], off offset:4
	s_waitcnt vmcnt(0)
	v_subrev_u32_e32 v13, s24, v1
.LBB129_4:
	s_or_b64 exec, exec, s[10:11]
	s_load_dword s25, s[0:1], 0x38
	v_cmp_gt_i32_e64 s[2:3], s4, v4
	v_mov_b32_e32 v2, 0
	s_and_saveexec_b64 s[8:9], s[2:3]
	s_cbranch_execz .LBB129_6
; %bb.5:
	s_load_dwordx2 s[2:3], s[0:1], 0x48
	v_ashrrev_i32_e32 v5, 31, v4
	s_waitcnt lgkmcnt(0)
	v_lshl_add_u64 v[2:3], v[4:5], 2, s[2:3]
	global_load_dword v1, v[2:3], off
	s_waitcnt vmcnt(0)
	v_subrev_u32_e32 v2, s25, v1
.LBB129_6:
	s_or_b64 exec, exec, s[8:9]
	s_cmp_lt_i32 s5, 1
	s_cbranch_scc1 .LBB129_21
; %bb.7:
	v_and_b32_e32 v4, 31, v0
	s_load_dwordx2 s[2:3], s[0:1], 0x20
	s_load_dwordx2 s[8:9], s[0:1], 0x50
	;; [unrolled: 1-line block ×4, first 2 shown]
	v_cmp_gt_u32_e64 s[0:1], s7, v4
	s_and_b64 s[12:13], vcc, s[0:1]
	s_cmp_eq_u32 s14, 0
	s_cselect_b64 vcc, -1, 0
	s_abs_i32 s4, s7
	v_cvt_f32_u32_e32 v9, s4
	v_and_b32_e32 v0, 0xc0, v0
	v_lshl_or_b32 v14, v6, 5, v0
	v_mbcnt_lo_u32_b32 v0, -1, 0
	v_rcp_iflag_f32_e32 v9, v9
	v_mbcnt_hi_u32_b32 v0, -1, v0
	v_lshlrev_b32_e32 v3, 2, v0
	v_mov_b32_e32 v5, 0
	v_or_b32_e32 v15, 0x7c, v3
	v_or_b32_e32 v0, v14, v4
	;; [unrolled: 1-line block ×3, first 2 shown]
	v_mul_f32_e32 v3, 0x4f7ffffe, v9
	v_lshlrev_b32_e32 v16, 3, v0
	v_mul_lo_u32 v0, v4, s6
	v_mov_b32_e32 v1, v5
	v_lshlrev_b32_e32 v10, 3, v6
	v_mul_lo_u32 v6, v6, s7
	v_cvt_u32_f32_e32 v3, v3
	s_waitcnt lgkmcnt(0)
	v_lshl_add_u64 v[0:1], v[0:1], 3, s[16:17]
	v_mov_b32_e32 v11, v5
	v_ashrrev_i32_e32 v7, 31, v6
	s_ashr_i32 s26, s7, 31
	v_lshl_add_u64 v[0:1], v[0:1], 0, v[10:11]
	v_lshl_add_u64 v[6:7], v[6:7], 3, s[16:17]
	v_lshlrev_b32_e32 v10, 3, v4
	s_mul_hi_u32 s0, s7, s6
	s_mul_i32 s1, s26, s6
	v_lshl_add_u64 v[6:7], v[6:7], 0, v[10:11]
	s_add_i32 s27, s0, s1
	s_sub_i32 s0, 0, s4
	v_cndmask_b32_e32 v0, v0, v6, vcc
	v_mul_lo_u32 v6, s0, v3
	v_mul_hi_u32 v6, v3, v6
	s_mul_i32 s6, s7, s6
	v_cndmask_b32_e32 v1, v1, v7, vcc
	v_add_u32_e32 v18, v3, v6
	s_mov_b64 s[14:15], 0
	v_mov_b32_e32 v6, v5
	v_mov_b32_e32 v7, v5
	s_mov_b64 s[16:17], 0x80
	s_mov_b64 s[18:19], 0x100
	v_mov_b32_e32 v19, 1
	v_mov_b32_e32 v3, v5
	s_branch .LBB129_10
.LBB129_8:                              ;   in Loop: Header=BB129_10 Depth=1
	s_or_b64 exec, exec, s[20:21]
	v_mov_b32_e32 v9, 1
.LBB129_9:                              ;   in Loop: Header=BB129_10 Depth=1
	s_or_b64 exec, exec, s[0:1]
	v_mov_b32_dpp v3, v20 row_shr:1 row_mask:0xf bank_mask:0xf
	v_min_i32_e32 v3, v3, v20
	v_add_u32_e32 v2, v9, v2
	s_waitcnt lgkmcnt(0)
	v_mov_b32_dpp v10, v3 row_shr:2 row_mask:0xf bank_mask:0xf
	v_min_i32_e32 v3, v10, v3
	s_nop 1
	v_mov_b32_dpp v10, v3 row_shr:4 row_mask:0xf bank_mask:0xe
	v_min_i32_e32 v3, v10, v3
	s_nop 1
	;; [unrolled: 3-line block ×3, first 2 shown]
	v_mov_b32_dpp v10, v3 row_bcast:15 row_mask:0xa bank_mask:0xf
	v_min_i32_e32 v3, v10, v3
	s_nop 1
	v_mov_b32_dpp v10, v3 row_bcast:31 row_mask:0xc bank_mask:0xf
	v_min_i32_e32 v3, v10, v3
	ds_bpermute_b32 v3, v17, v3
	s_waitcnt lgkmcnt(0)
	v_cmp_le_i32_e32 vcc, s5, v3
	s_or_b64 s[14:15], vcc, s[14:15]
	s_andn2_b64 exec, exec, s[14:15]
	s_cbranch_execz .LBB129_21
.LBB129_10:                             ; =>This Loop Header: Depth=1
                                        ;     Child Loop BB129_13 Depth 2
	v_add_u32_e32 v21, v8, v4
	v_cmp_lt_i32_e32 vcc, v21, v13
	v_mov_b32_e32 v20, s5
	v_mov_b32_e32 v23, v13
	ds_write_b8 v12, v5 offset:2048
	ds_write_b64 v16, v[6:7]
	s_waitcnt lgkmcnt(0)
	s_and_saveexec_b64 s[20:21], vcc
	s_cbranch_execz .LBB129_18
; %bb.11:                               ;   in Loop: Header=BB129_10 Depth=1
	v_ashrrev_i32_e32 v9, 31, v8
	v_lshl_add_u64 v[10:11], v[4:5], 0, v[8:9]
	v_mul_lo_u32 v22, v3, s7
	v_lshl_add_u64 v[8:9], v[10:11], 2, s[10:11]
	v_lshl_add_u64 v[10:11], v[10:11], 3, s[2:3]
	s_mov_b64 s[22:23], 0
	v_mov_b32_e32 v20, s5
	v_mov_b32_e32 v23, v13
	s_branch .LBB129_13
.LBB129_12:                             ;   in Loop: Header=BB129_13 Depth=2
	s_or_b64 exec, exec, s[0:1]
	v_add_u32_e32 v21, 32, v21
	v_cmp_ge_i32_e64 s[0:1], v21, v13
	s_xor_b64 s[28:29], vcc, -1
	s_or_b64 s[0:1], s[28:29], s[0:1]
	s_and_b64 s[0:1], exec, s[0:1]
	v_lshl_add_u64 v[8:9], v[8:9], 0, s[16:17]
	s_or_b64 s[22:23], s[0:1], s[22:23]
	v_lshl_add_u64 v[10:11], v[10:11], 0, s[18:19]
	s_andn2_b64 exec, exec, s[22:23]
	s_cbranch_execz .LBB129_17
.LBB129_13:                             ;   Parent Loop BB129_10 Depth=1
                                        ; =>  This Inner Loop Header: Depth=2
	global_load_dword v24, v[8:9], off
	s_waitcnt vmcnt(0)
	v_subrev_u32_e32 v24, s24, v24
	v_sub_u32_e32 v26, 0, v24
	v_max_i32_e32 v26, v24, v26
	v_mul_hi_u32 v27, v26, v18
	v_mul_lo_u32 v28, v27, s4
	v_sub_u32_e32 v26, v26, v28
	v_add_u32_e32 v29, 1, v27
	v_cmp_le_u32_e32 vcc, s4, v26
	v_subrev_u32_e32 v28, s4, v26
	v_ashrrev_i32_e32 v25, 31, v24
	v_cndmask_b32_e32 v27, v27, v29, vcc
	v_cndmask_b32_e32 v26, v26, v28, vcc
	v_add_u32_e32 v28, 1, v27
	v_cmp_le_u32_e32 vcc, s4, v26
	v_xor_b32_e32 v25, s26, v25
	s_nop 0
	v_cndmask_b32_e32 v26, v27, v28, vcc
	v_xor_b32_e32 v26, v26, v25
	v_sub_u32_e32 v26, v26, v25
	v_cmp_eq_u32_e32 vcc, v26, v3
	v_cmp_ne_u32_e64 s[0:1], v26, v3
	v_mov_b32_e32 v25, v23
	s_and_saveexec_b64 s[28:29], s[0:1]
	s_xor_b64 s[0:1], exec, s[28:29]
; %bb.14:                               ;   in Loop: Header=BB129_13 Depth=2
	v_min_i32_e32 v20, v26, v20
                                        ; implicit-def: $vgpr24
                                        ; implicit-def: $vgpr25
; %bb.15:                               ;   in Loop: Header=BB129_13 Depth=2
	s_or_saveexec_b64 s[0:1], s[0:1]
	v_mov_b32_e32 v23, v21
	s_xor_b64 exec, exec, s[0:1]
	s_cbranch_execz .LBB129_12
; %bb.16:                               ;   in Loop: Header=BB129_13 Depth=2
	global_load_dwordx2 v[26:27], v[10:11], off
	v_sub_u32_e32 v23, v24, v22
	v_add_lshl_u32 v23, v14, v23, 3
	ds_write_b8 v12, v19 offset:2048
	s_waitcnt vmcnt(0)
	ds_write_b64 v23, v[26:27]
	v_mov_b32_e32 v23, v25
	s_branch .LBB129_12
.LBB129_17:                             ;   in Loop: Header=BB129_10 Depth=1
	s_or_b64 exec, exec, s[22:23]
.LBB129_18:                             ;   in Loop: Header=BB129_10 Depth=1
	s_or_b64 exec, exec, s[20:21]
	v_mov_b32_dpp v8, v23 row_shr:1 row_mask:0xf bank_mask:0xf
	v_min_i32_e32 v8, v8, v23
	s_waitcnt lgkmcnt(0)
	s_nop 0
	v_mov_b32_dpp v9, v8 row_shr:2 row_mask:0xf bank_mask:0xf
	v_min_i32_e32 v8, v9, v8
	s_nop 1
	v_mov_b32_dpp v9, v8 row_shr:4 row_mask:0xf bank_mask:0xe
	v_min_i32_e32 v8, v9, v8
	;; [unrolled: 3-line block ×3, first 2 shown]
	ds_read_u8 v9, v12 offset:2048
	s_waitcnt lgkmcnt(0)
	v_and_b32_e32 v9, 1, v9
	v_mov_b32_dpp v10, v8 row_bcast:15 row_mask:0xa bank_mask:0xf
	v_min_i32_e32 v8, v10, v8
	ds_bpermute_b32 v8, v15, v8
	v_cmp_eq_u32_e32 vcc, 1, v9
	v_mov_b32_e32 v9, 0
	s_and_saveexec_b64 s[0:1], vcc
	s_cbranch_execz .LBB129_9
; %bb.19:                               ;   in Loop: Header=BB129_10 Depth=1
	v_add_u32_e32 v9, s25, v3
	v_ashrrev_i32_e32 v3, 31, v2
	v_lshl_add_u64 v[10:11], v[2:3], 2, s[8:9]
	global_store_dword v[10:11], v9, off
	s_and_saveexec_b64 s[20:21], s[12:13]
	s_cbranch_execz .LBB129_8
; %bb.20:                               ;   in Loop: Header=BB129_10 Depth=1
	ds_read_b64 v[10:11], v16
	v_mul_lo_u32 v9, s27, v2
	v_mul_lo_u32 v3, s6, v3
	v_mad_u64_u32 v[22:23], s[22:23], s6, v2, 0
	v_add3_u32 v23, v23, v3, v9
	v_lshl_add_u64 v[22:23], v[22:23], 3, v[0:1]
	s_waitcnt lgkmcnt(0)
	global_store_dwordx2 v[22:23], v[10:11], off
	s_branch .LBB129_8
.LBB129_21:
	s_endpgm
	.section	.rodata,"a",@progbits
	.p2align	6, 0x0
	.amdhsa_kernel _ZN9rocsparseL44csr2gebsr_wavefront_per_row_multipass_kernelILi256ELi2ELi32ELi64E21rocsparse_complex_numIfEEEv20rocsparse_direction_iiiiii21rocsparse_index_base_PKT3_PKiS9_S4_PS5_PiSB_
		.amdhsa_group_segment_fixed_size 2052
		.amdhsa_private_segment_fixed_size 0
		.amdhsa_kernarg_size 88
		.amdhsa_user_sgpr_count 2
		.amdhsa_user_sgpr_dispatch_ptr 0
		.amdhsa_user_sgpr_queue_ptr 0
		.amdhsa_user_sgpr_kernarg_segment_ptr 1
		.amdhsa_user_sgpr_dispatch_id 0
		.amdhsa_user_sgpr_kernarg_preload_length 0
		.amdhsa_user_sgpr_kernarg_preload_offset 0
		.amdhsa_user_sgpr_private_segment_size 0
		.amdhsa_uses_dynamic_stack 0
		.amdhsa_enable_private_segment 0
		.amdhsa_system_sgpr_workgroup_id_x 1
		.amdhsa_system_sgpr_workgroup_id_y 0
		.amdhsa_system_sgpr_workgroup_id_z 0
		.amdhsa_system_sgpr_workgroup_info 0
		.amdhsa_system_vgpr_workitem_id 0
		.amdhsa_next_free_vgpr 30
		.amdhsa_next_free_sgpr 30
		.amdhsa_accum_offset 32
		.amdhsa_reserve_vcc 1
		.amdhsa_float_round_mode_32 0
		.amdhsa_float_round_mode_16_64 0
		.amdhsa_float_denorm_mode_32 3
		.amdhsa_float_denorm_mode_16_64 3
		.amdhsa_dx10_clamp 1
		.amdhsa_ieee_mode 1
		.amdhsa_fp16_overflow 0
		.amdhsa_tg_split 0
		.amdhsa_exception_fp_ieee_invalid_op 0
		.amdhsa_exception_fp_denorm_src 0
		.amdhsa_exception_fp_ieee_div_zero 0
		.amdhsa_exception_fp_ieee_overflow 0
		.amdhsa_exception_fp_ieee_underflow 0
		.amdhsa_exception_fp_ieee_inexact 0
		.amdhsa_exception_int_div_zero 0
	.end_amdhsa_kernel
	.section	.text._ZN9rocsparseL44csr2gebsr_wavefront_per_row_multipass_kernelILi256ELi2ELi32ELi64E21rocsparse_complex_numIfEEEv20rocsparse_direction_iiiiii21rocsparse_index_base_PKT3_PKiS9_S4_PS5_PiSB_,"axG",@progbits,_ZN9rocsparseL44csr2gebsr_wavefront_per_row_multipass_kernelILi256ELi2ELi32ELi64E21rocsparse_complex_numIfEEEv20rocsparse_direction_iiiiii21rocsparse_index_base_PKT3_PKiS9_S4_PS5_PiSB_,comdat
.Lfunc_end129:
	.size	_ZN9rocsparseL44csr2gebsr_wavefront_per_row_multipass_kernelILi256ELi2ELi32ELi64E21rocsparse_complex_numIfEEEv20rocsparse_direction_iiiiii21rocsparse_index_base_PKT3_PKiS9_S4_PS5_PiSB_, .Lfunc_end129-_ZN9rocsparseL44csr2gebsr_wavefront_per_row_multipass_kernelILi256ELi2ELi32ELi64E21rocsparse_complex_numIfEEEv20rocsparse_direction_iiiiii21rocsparse_index_base_PKT3_PKiS9_S4_PS5_PiSB_
                                        ; -- End function
	.section	.AMDGPU.csdata,"",@progbits
; Kernel info:
; codeLenInByte = 1256
; NumSgprs: 36
; NumVgprs: 30
; NumAgprs: 0
; TotalNumVgprs: 30
; ScratchSize: 0
; MemoryBound: 0
; FloatMode: 240
; IeeeMode: 1
; LDSByteSize: 2052 bytes/workgroup (compile time only)
; SGPRBlocks: 4
; VGPRBlocks: 3
; NumSGPRsForWavesPerEU: 36
; NumVGPRsForWavesPerEU: 30
; AccumOffset: 32
; Occupancy: 8
; WaveLimiterHint : 0
; COMPUTE_PGM_RSRC2:SCRATCH_EN: 0
; COMPUTE_PGM_RSRC2:USER_SGPR: 2
; COMPUTE_PGM_RSRC2:TRAP_HANDLER: 0
; COMPUTE_PGM_RSRC2:TGID_X_EN: 1
; COMPUTE_PGM_RSRC2:TGID_Y_EN: 0
; COMPUTE_PGM_RSRC2:TGID_Z_EN: 0
; COMPUTE_PGM_RSRC2:TIDIG_COMP_CNT: 0
; COMPUTE_PGM_RSRC3_GFX90A:ACCUM_OFFSET: 7
; COMPUTE_PGM_RSRC3_GFX90A:TG_SPLIT: 0
	.section	.text._ZN9rocsparseL44csr2gebsr_wavefront_per_row_multipass_kernelILi256ELi2ELi32ELi32E21rocsparse_complex_numIfEEEv20rocsparse_direction_iiiiii21rocsparse_index_base_PKT3_PKiS9_S4_PS5_PiSB_,"axG",@progbits,_ZN9rocsparseL44csr2gebsr_wavefront_per_row_multipass_kernelILi256ELi2ELi32ELi32E21rocsparse_complex_numIfEEEv20rocsparse_direction_iiiiii21rocsparse_index_base_PKT3_PKiS9_S4_PS5_PiSB_,comdat
	.globl	_ZN9rocsparseL44csr2gebsr_wavefront_per_row_multipass_kernelILi256ELi2ELi32ELi32E21rocsparse_complex_numIfEEEv20rocsparse_direction_iiiiii21rocsparse_index_base_PKT3_PKiS9_S4_PS5_PiSB_ ; -- Begin function _ZN9rocsparseL44csr2gebsr_wavefront_per_row_multipass_kernelILi256ELi2ELi32ELi32E21rocsparse_complex_numIfEEEv20rocsparse_direction_iiiiii21rocsparse_index_base_PKT3_PKiS9_S4_PS5_PiSB_
	.p2align	8
	.type	_ZN9rocsparseL44csr2gebsr_wavefront_per_row_multipass_kernelILi256ELi2ELi32ELi32E21rocsparse_complex_numIfEEEv20rocsparse_direction_iiiiii21rocsparse_index_base_PKT3_PKiS9_S4_PS5_PiSB_,@function
_ZN9rocsparseL44csr2gebsr_wavefront_per_row_multipass_kernelILi256ELi2ELi32ELi32E21rocsparse_complex_numIfEEEv20rocsparse_direction_iiiiii21rocsparse_index_base_PKT3_PKiS9_S4_PS5_PiSB_: ; @_ZN9rocsparseL44csr2gebsr_wavefront_per_row_multipass_kernelILi256ELi2ELi32ELi32E21rocsparse_complex_numIfEEEv20rocsparse_direction_iiiiii21rocsparse_index_base_PKT3_PKiS9_S4_PS5_PiSB_
; %bb.0:
	s_load_dwordx2 s[4:5], s[0:1], 0x0
	s_load_dwordx4 s[8:11], s[0:1], 0xc
	s_load_dword s26, s[0:1], 0x1c
	s_load_dwordx2 s[6:7], s[0:1], 0x28
	v_lshrrev_b32_e32 v18, 5, v0
	v_bfe_u32 v6, v0, 4, 1
	v_lshl_or_b32 v4, s2, 3, v18
	s_waitcnt lgkmcnt(0)
	v_mad_u64_u32 v[2:3], s[2:3], v4, s10, v[6:7]
	v_cmp_gt_i32_e32 vcc, s5, v2
	v_cmp_gt_i32_e64 s[2:3], s10, v6
	s_and_b64 s[12:13], s[2:3], vcc
	v_mov_b32_e32 v19, 0
	v_mov_b32_e32 v16, 0
	s_and_saveexec_b64 s[14:15], s[12:13]
	s_cbranch_execz .LBB130_2
; %bb.1:
	v_ashrrev_i32_e32 v3, 31, v2
	v_lshl_add_u64 v[8:9], v[2:3], 2, s[6:7]
	global_load_dword v1, v[8:9], off
	s_waitcnt vmcnt(0)
	v_subrev_u32_e32 v16, s26, v1
.LBB130_2:
	s_or_b64 exec, exec, s[14:15]
	s_and_saveexec_b64 s[14:15], s[12:13]
	s_cbranch_execz .LBB130_4
; %bb.3:
	v_ashrrev_i32_e32 v3, 31, v2
	v_lshl_add_u64 v[2:3], v[2:3], 2, s[6:7]
	global_load_dword v1, v[2:3], off offset:4
	s_waitcnt vmcnt(0)
	v_subrev_u32_e32 v19, s26, v1
.LBB130_4:
	s_or_b64 exec, exec, s[14:15]
	s_load_dword s27, s[0:1], 0x38
	v_cmp_gt_i32_e32 vcc, s8, v4
	v_mov_b32_e32 v2, 0
	s_and_saveexec_b64 s[6:7], vcc
	s_cbranch_execz .LBB130_6
; %bb.5:
	s_load_dwordx2 s[12:13], s[0:1], 0x48
	v_ashrrev_i32_e32 v5, 31, v4
	s_waitcnt lgkmcnt(0)
	v_lshl_add_u64 v[2:3], v[4:5], 2, s[12:13]
	global_load_dword v1, v[2:3], off
	s_waitcnt vmcnt(0)
	v_subrev_u32_e32 v2, s27, v1
.LBB130_6:
	s_or_b64 exec, exec, s[6:7]
	s_cmp_lt_i32 s9, 1
	s_cbranch_scc1 .LBB130_25
; %bb.7:
	v_and_b32_e32 v20, 15, v0
	v_lshlrev_b32_e32 v0, 6, v18
	v_lshl_or_b32 v21, v6, 5, v0
	v_mbcnt_lo_u32_b32 v0, -1, 0
	v_mbcnt_hi_u32_b32 v0, -1, v0
	s_cmp_eq_u32 s4, 0
	v_lshlrev_b32_e32 v3, 2, v0
	s_cselect_b64 vcc, -1, 0
	s_abs_i32 s30, s11
	v_or_b32_e32 v22, 60, v3
	v_or_b32_e32 v23, 0x7c, v3
	v_cvt_f32_u32_e32 v3, s30
	s_load_dwordx2 s[6:7], s[0:1], 0x20
	s_load_dwordx2 s[12:13], s[0:1], 0x50
	;; [unrolled: 1-line block ×4, first 2 shown]
	s_ashr_i32 s8, s11, 31
	s_mul_hi_u32 s0, s11, s10
	v_rcp_iflag_f32_e32 v3, v3
	s_mul_i32 s1, s8, s10
	v_lshlrev_b32_e32 v0, 3, v6
	v_mul_lo_u32 v6, v6, s11
	v_mul_f32_e32 v3, 0x4f7ffffe, v3
	v_cvt_u32_f32_e32 v3, v3
	v_mov_b32_e32 v1, 0
	s_add_i32 s28, s0, s1
	v_ashrrev_i32_e32 v7, 31, v6
	v_cmp_gt_u32_e64 s[0:1], s11, v20
	v_or_b32_e32 v8, v21, v20
	s_waitcnt lgkmcnt(0)
	v_lshl_add_u64 v[4:5], s[16:17], 0, v[0:1]
	v_lshl_add_u64 v[6:7], v[6:7], 3, s[16:17]
	s_and_b64 s[16:17], s[0:1], s[2:3]
	s_sub_i32 s0, 0, s30
	v_lshlrev_b32_e32 v0, 3, v20
	v_lshlrev_b32_e32 v24, 3, v8
	v_or_b32_e32 v8, 16, v20
	v_mul_lo_u32 v10, s0, v3
	v_lshl_add_u64 v[6:7], v[6:7], 0, v[0:1]
	v_mul_lo_u32 v0, v20, s10
	v_cmp_gt_u32_e64 s[4:5], s11, v8
	v_mul_hi_u32 v10, v3, v10
	s_mul_i32 s29, s11, s10
	v_lshl_add_u32 v8, s10, 4, v0
	v_mov_b32_e32 v9, v1
	s_and_b64 s[4:5], s[2:3], s[4:5]
	v_add_u32_e32 v25, v3, v10
	v_or_b32_e32 v26, -16, v20
	s_mov_b64 s[18:19], 0
	v_mov_b32_e32 v10, v1
	v_mov_b32_e32 v11, v1
	s_mov_b64 s[20:21], 0x80
	v_mov_b32_e32 v27, 1
	v_mov_b32_e32 v3, v1
	s_branch .LBB130_10
.LBB130_8:                              ;   in Loop: Header=BB130_10 Depth=1
	s_or_b64 exec, exec, s[0:1]
	v_mov_b32_e32 v12, 1
.LBB130_9:                              ;   in Loop: Header=BB130_10 Depth=1
	s_or_b64 exec, exec, s[2:3]
	v_mov_b32_dpp v3, v28 row_shr:1 row_mask:0xf bank_mask:0xf
	v_min_i32_e32 v3, v3, v28
	v_add_u32_e32 v2, v12, v2
	s_waitcnt lgkmcnt(0)
	v_mov_b32_dpp v13, v3 row_shr:2 row_mask:0xf bank_mask:0xf
	v_min_i32_e32 v3, v13, v3
	s_nop 1
	v_mov_b32_dpp v13, v3 row_shr:4 row_mask:0xf bank_mask:0xe
	v_min_i32_e32 v3, v13, v3
	s_nop 1
	;; [unrolled: 3-line block ×3, first 2 shown]
	v_mov_b32_dpp v13, v3 row_bcast:15 row_mask:0xa bank_mask:0xf
	v_min_i32_e32 v3, v13, v3
	ds_bpermute_b32 v3, v23, v3
	s_waitcnt lgkmcnt(0)
	v_cmp_le_i32_e64 s[0:1], s9, v3
	s_or_b64 s[18:19], s[0:1], s[18:19]
	s_andn2_b64 exec, exec, s[18:19]
	s_cbranch_execz .LBB130_25
.LBB130_10:                             ; =>This Loop Header: Depth=1
                                        ;     Child Loop BB130_11 Depth 2
                                        ;     Child Loop BB130_15 Depth 2
	s_mov_b64 s[2:3], 0
	v_mov_b32_e32 v12, v24
	v_mov_b32_e32 v13, v26
	ds_write_b8 v18, v1 offset:4096
.LBB130_11:                             ;   Parent Loop BB130_10 Depth=1
                                        ; =>  This Inner Loop Header: Depth=2
	v_add_co_u32_e64 v13, s[0:1], 16, v13
	s_xor_b64 s[0:1], s[0:1], -1
	s_and_b64 s[0:1], exec, s[0:1]
	ds_write_b64 v12, v[10:11]
	s_or_b64 s[2:3], s[0:1], s[2:3]
	v_add_u32_e32 v12, 0x80, v12
	s_andn2_b64 exec, exec, s[2:3]
	s_cbranch_execnz .LBB130_11
; %bb.12:                               ;   in Loop: Header=BB130_10 Depth=1
	s_or_b64 exec, exec, s[2:3]
	v_add_u32_e32 v12, v16, v20
	v_cmp_lt_i32_e64 s[0:1], v12, v19
	v_mov_b32_e32 v28, s9
	v_mov_b32_e32 v13, v19
	s_waitcnt lgkmcnt(0)
	s_and_saveexec_b64 s[22:23], s[0:1]
	s_cbranch_execz .LBB130_20
; %bb.13:                               ;   in Loop: Header=BB130_10 Depth=1
	v_ashrrev_i32_e32 v13, 31, v12
	v_mul_lo_u32 v29, v3, s11
	v_lshl_add_u64 v[14:15], v[12:13], 2, s[14:15]
	v_lshl_add_u64 v[16:17], v[12:13], 3, s[6:7]
	s_mov_b64 s[24:25], 0
	v_mov_b32_e32 v28, s9
	v_mov_b32_e32 v13, v19
	s_branch .LBB130_15
.LBB130_14:                             ;   in Loop: Header=BB130_15 Depth=2
	s_or_b64 exec, exec, s[2:3]
	v_add_u32_e32 v12, 16, v12
	v_cmp_ge_i32_e64 s[2:3], v12, v19
	s_xor_b64 s[0:1], s[0:1], -1
	s_or_b64 s[0:1], s[0:1], s[2:3]
	s_and_b64 s[0:1], exec, s[0:1]
	v_lshl_add_u64 v[14:15], v[14:15], 0, 64
	s_or_b64 s[24:25], s[0:1], s[24:25]
	v_lshl_add_u64 v[16:17], v[16:17], 0, s[20:21]
	s_andn2_b64 exec, exec, s[24:25]
	s_cbranch_execz .LBB130_19
.LBB130_15:                             ;   Parent Loop BB130_10 Depth=1
                                        ; =>  This Inner Loop Header: Depth=2
	global_load_dword v30, v[14:15], off
	s_waitcnt vmcnt(0)
	v_subrev_u32_e32 v30, s26, v30
	v_sub_u32_e32 v32, 0, v30
	v_max_i32_e32 v32, v30, v32
	v_mul_hi_u32 v33, v32, v25
	v_mul_lo_u32 v34, v33, s30
	v_sub_u32_e32 v32, v32, v34
	v_add_u32_e32 v35, 1, v33
	v_cmp_le_u32_e64 s[0:1], s30, v32
	v_subrev_u32_e32 v34, s30, v32
	v_ashrrev_i32_e32 v31, 31, v30
	v_cndmask_b32_e64 v33, v33, v35, s[0:1]
	v_cndmask_b32_e64 v32, v32, v34, s[0:1]
	v_add_u32_e32 v34, 1, v33
	v_cmp_le_u32_e64 s[0:1], s30, v32
	v_xor_b32_e32 v31, s8, v31
	s_nop 0
	v_cndmask_b32_e64 v32, v33, v34, s[0:1]
	v_xor_b32_e32 v32, v32, v31
	v_sub_u32_e32 v32, v32, v31
	v_cmp_eq_u32_e64 s[0:1], v32, v3
	v_cmp_ne_u32_e64 s[2:3], v32, v3
	v_mov_b32_e32 v31, v13
	s_and_saveexec_b64 s[34:35], s[2:3]
	s_xor_b64 s[2:3], exec, s[34:35]
; %bb.16:                               ;   in Loop: Header=BB130_15 Depth=2
	v_min_i32_e32 v28, v32, v28
                                        ; implicit-def: $vgpr30
                                        ; implicit-def: $vgpr31
; %bb.17:                               ;   in Loop: Header=BB130_15 Depth=2
	s_or_saveexec_b64 s[2:3], s[2:3]
	v_mov_b32_e32 v13, v12
	s_xor_b64 exec, exec, s[2:3]
	s_cbranch_execz .LBB130_14
; %bb.18:                               ;   in Loop: Header=BB130_15 Depth=2
	global_load_dwordx2 v[32:33], v[16:17], off
	v_sub_u32_e32 v13, v30, v29
	v_add_lshl_u32 v13, v21, v13, 3
	ds_write_b8 v18, v27 offset:4096
	s_waitcnt vmcnt(0)
	ds_write_b64 v13, v[32:33]
	v_mov_b32_e32 v13, v31
	s_branch .LBB130_14
.LBB130_19:                             ;   in Loop: Header=BB130_10 Depth=1
	s_or_b64 exec, exec, s[24:25]
.LBB130_20:                             ;   in Loop: Header=BB130_10 Depth=1
	s_or_b64 exec, exec, s[22:23]
	v_mov_b32_dpp v12, v13 row_shr:1 row_mask:0xf bank_mask:0xf
	v_min_i32_e32 v12, v12, v13
	s_waitcnt lgkmcnt(0)
	s_nop 0
	v_mov_b32_dpp v13, v12 row_shr:2 row_mask:0xf bank_mask:0xf
	v_min_i32_e32 v12, v13, v12
	s_nop 1
	v_mov_b32_dpp v13, v12 row_shr:4 row_mask:0xf bank_mask:0xe
	v_min_i32_e32 v12, v13, v12
	ds_read_u8 v13, v18 offset:4096
	s_nop 0
	v_mov_b32_dpp v14, v12 row_shr:8 row_mask:0xf bank_mask:0xc
	v_min_i32_e32 v12, v14, v12
	ds_bpermute_b32 v16, v22, v12
	s_waitcnt lgkmcnt(1)
	v_and_b32_e32 v12, 1, v13
	v_cmp_eq_u32_e64 s[0:1], 1, v12
	v_mov_b32_e32 v12, 0
	s_and_saveexec_b64 s[2:3], s[0:1]
	s_cbranch_execz .LBB130_9
; %bb.21:                               ;   in Loop: Header=BB130_10 Depth=1
	v_add_u32_e32 v14, s27, v3
	v_ashrrev_i32_e32 v3, 31, v2
	v_lshl_add_u64 v[12:13], v[2:3], 2, s[12:13]
	global_store_dword v[12:13], v14, off
	v_mul_lo_u32 v14, s28, v2
	v_mul_lo_u32 v3, s29, v3
	v_mad_u64_u32 v[12:13], s[0:1], s29, v2, 0
	v_add3_u32 v13, v13, v3, v14
	v_lshlrev_b64 v[14:15], 3, v[12:13]
	v_lshl_add_u64 v[12:13], v[4:5], 0, v[14:15]
	v_lshl_add_u64 v[14:15], v[6:7], 0, v[14:15]
	s_and_saveexec_b64 s[0:1], s[16:17]
	s_cbranch_execz .LBB130_23
; %bb.22:                               ;   in Loop: Header=BB130_10 Depth=1
	ds_read_b64 v[30:31], v24
	v_lshl_add_u64 v[32:33], v[0:1], 3, v[12:13]
	v_cndmask_b32_e32 v33, v33, v15, vcc
	v_cndmask_b32_e32 v32, v32, v14, vcc
	s_waitcnt lgkmcnt(0)
	global_store_dwordx2 v[32:33], v[30:31], off
.LBB130_23:                             ;   in Loop: Header=BB130_10 Depth=1
	s_or_b64 exec, exec, s[0:1]
	s_and_saveexec_b64 s[0:1], s[4:5]
	s_cbranch_execz .LBB130_8
; %bb.24:                               ;   in Loop: Header=BB130_10 Depth=1
	ds_read_b64 v[30:31], v24 offset:128
	v_lshl_add_u64 v[14:15], v[14:15], 0, s[20:21]
	v_lshl_add_u64 v[12:13], v[8:9], 3, v[12:13]
	v_cndmask_b32_e32 v13, v13, v15, vcc
	v_cndmask_b32_e32 v12, v12, v14, vcc
	s_waitcnt lgkmcnt(0)
	global_store_dwordx2 v[12:13], v[30:31], off
	s_branch .LBB130_8
.LBB130_25:
	s_endpgm
	.section	.rodata,"a",@progbits
	.p2align	6, 0x0
	.amdhsa_kernel _ZN9rocsparseL44csr2gebsr_wavefront_per_row_multipass_kernelILi256ELi2ELi32ELi32E21rocsparse_complex_numIfEEEv20rocsparse_direction_iiiiii21rocsparse_index_base_PKT3_PKiS9_S4_PS5_PiSB_
		.amdhsa_group_segment_fixed_size 4104
		.amdhsa_private_segment_fixed_size 0
		.amdhsa_kernarg_size 88
		.amdhsa_user_sgpr_count 2
		.amdhsa_user_sgpr_dispatch_ptr 0
		.amdhsa_user_sgpr_queue_ptr 0
		.amdhsa_user_sgpr_kernarg_segment_ptr 1
		.amdhsa_user_sgpr_dispatch_id 0
		.amdhsa_user_sgpr_kernarg_preload_length 0
		.amdhsa_user_sgpr_kernarg_preload_offset 0
		.amdhsa_user_sgpr_private_segment_size 0
		.amdhsa_uses_dynamic_stack 0
		.amdhsa_enable_private_segment 0
		.amdhsa_system_sgpr_workgroup_id_x 1
		.amdhsa_system_sgpr_workgroup_id_y 0
		.amdhsa_system_sgpr_workgroup_id_z 0
		.amdhsa_system_sgpr_workgroup_info 0
		.amdhsa_system_vgpr_workitem_id 0
		.amdhsa_next_free_vgpr 36
		.amdhsa_next_free_sgpr 36
		.amdhsa_accum_offset 36
		.amdhsa_reserve_vcc 1
		.amdhsa_float_round_mode_32 0
		.amdhsa_float_round_mode_16_64 0
		.amdhsa_float_denorm_mode_32 3
		.amdhsa_float_denorm_mode_16_64 3
		.amdhsa_dx10_clamp 1
		.amdhsa_ieee_mode 1
		.amdhsa_fp16_overflow 0
		.amdhsa_tg_split 0
		.amdhsa_exception_fp_ieee_invalid_op 0
		.amdhsa_exception_fp_denorm_src 0
		.amdhsa_exception_fp_ieee_div_zero 0
		.amdhsa_exception_fp_ieee_overflow 0
		.amdhsa_exception_fp_ieee_underflow 0
		.amdhsa_exception_fp_ieee_inexact 0
		.amdhsa_exception_int_div_zero 0
	.end_amdhsa_kernel
	.section	.text._ZN9rocsparseL44csr2gebsr_wavefront_per_row_multipass_kernelILi256ELi2ELi32ELi32E21rocsparse_complex_numIfEEEv20rocsparse_direction_iiiiii21rocsparse_index_base_PKT3_PKiS9_S4_PS5_PiSB_,"axG",@progbits,_ZN9rocsparseL44csr2gebsr_wavefront_per_row_multipass_kernelILi256ELi2ELi32ELi32E21rocsparse_complex_numIfEEEv20rocsparse_direction_iiiiii21rocsparse_index_base_PKT3_PKiS9_S4_PS5_PiSB_,comdat
.Lfunc_end130:
	.size	_ZN9rocsparseL44csr2gebsr_wavefront_per_row_multipass_kernelILi256ELi2ELi32ELi32E21rocsparse_complex_numIfEEEv20rocsparse_direction_iiiiii21rocsparse_index_base_PKT3_PKiS9_S4_PS5_PiSB_, .Lfunc_end130-_ZN9rocsparseL44csr2gebsr_wavefront_per_row_multipass_kernelILi256ELi2ELi32ELi32E21rocsparse_complex_numIfEEEv20rocsparse_direction_iiiiii21rocsparse_index_base_PKT3_PKiS9_S4_PS5_PiSB_
                                        ; -- End function
	.section	.AMDGPU.csdata,"",@progbits
; Kernel info:
; codeLenInByte = 1384
; NumSgprs: 42
; NumVgprs: 36
; NumAgprs: 0
; TotalNumVgprs: 36
; ScratchSize: 0
; MemoryBound: 0
; FloatMode: 240
; IeeeMode: 1
; LDSByteSize: 4104 bytes/workgroup (compile time only)
; SGPRBlocks: 5
; VGPRBlocks: 4
; NumSGPRsForWavesPerEU: 42
; NumVGPRsForWavesPerEU: 36
; AccumOffset: 36
; Occupancy: 8
; WaveLimiterHint : 0
; COMPUTE_PGM_RSRC2:SCRATCH_EN: 0
; COMPUTE_PGM_RSRC2:USER_SGPR: 2
; COMPUTE_PGM_RSRC2:TRAP_HANDLER: 0
; COMPUTE_PGM_RSRC2:TGID_X_EN: 1
; COMPUTE_PGM_RSRC2:TGID_Y_EN: 0
; COMPUTE_PGM_RSRC2:TGID_Z_EN: 0
; COMPUTE_PGM_RSRC2:TIDIG_COMP_CNT: 0
; COMPUTE_PGM_RSRC3_GFX90A:ACCUM_OFFSET: 8
; COMPUTE_PGM_RSRC3_GFX90A:TG_SPLIT: 0
	.section	.text._ZN9rocsparseL44csr2gebsr_wavefront_per_row_multipass_kernelILi256ELi2ELi64ELi64E21rocsparse_complex_numIfEEEv20rocsparse_direction_iiiiii21rocsparse_index_base_PKT3_PKiS9_S4_PS5_PiSB_,"axG",@progbits,_ZN9rocsparseL44csr2gebsr_wavefront_per_row_multipass_kernelILi256ELi2ELi64ELi64E21rocsparse_complex_numIfEEEv20rocsparse_direction_iiiiii21rocsparse_index_base_PKT3_PKiS9_S4_PS5_PiSB_,comdat
	.globl	_ZN9rocsparseL44csr2gebsr_wavefront_per_row_multipass_kernelILi256ELi2ELi64ELi64E21rocsparse_complex_numIfEEEv20rocsparse_direction_iiiiii21rocsparse_index_base_PKT3_PKiS9_S4_PS5_PiSB_ ; -- Begin function _ZN9rocsparseL44csr2gebsr_wavefront_per_row_multipass_kernelILi256ELi2ELi64ELi64E21rocsparse_complex_numIfEEEv20rocsparse_direction_iiiiii21rocsparse_index_base_PKT3_PKiS9_S4_PS5_PiSB_
	.p2align	8
	.type	_ZN9rocsparseL44csr2gebsr_wavefront_per_row_multipass_kernelILi256ELi2ELi64ELi64E21rocsparse_complex_numIfEEEv20rocsparse_direction_iiiiii21rocsparse_index_base_PKT3_PKiS9_S4_PS5_PiSB_,@function
_ZN9rocsparseL44csr2gebsr_wavefront_per_row_multipass_kernelILi256ELi2ELi64ELi64E21rocsparse_complex_numIfEEEv20rocsparse_direction_iiiiii21rocsparse_index_base_PKT3_PKiS9_S4_PS5_PiSB_: ; @_ZN9rocsparseL44csr2gebsr_wavefront_per_row_multipass_kernelILi256ELi2ELi64ELi64E21rocsparse_complex_numIfEEEv20rocsparse_direction_iiiiii21rocsparse_index_base_PKT3_PKiS9_S4_PS5_PiSB_
; %bb.0:
	s_load_dwordx2 s[4:5], s[0:1], 0x0
	s_load_dwordx4 s[8:11], s[0:1], 0xc
	s_load_dword s28, s[0:1], 0x1c
	s_load_dwordx2 s[6:7], s[0:1], 0x28
	v_lshrrev_b32_e32 v18, 6, v0
	v_bfe_u32 v6, v0, 5, 1
	v_lshl_or_b32 v4, s2, 2, v18
	s_waitcnt lgkmcnt(0)
	v_mad_u64_u32 v[2:3], s[2:3], v4, s10, v[6:7]
	v_cmp_gt_i32_e32 vcc, s5, v2
	v_cmp_gt_i32_e64 s[2:3], s10, v6
	s_and_b64 s[12:13], s[2:3], vcc
	v_mov_b32_e32 v19, 0
	v_mov_b32_e32 v16, 0
	s_and_saveexec_b64 s[14:15], s[12:13]
	s_cbranch_execz .LBB131_2
; %bb.1:
	v_ashrrev_i32_e32 v3, 31, v2
	v_lshl_add_u64 v[8:9], v[2:3], 2, s[6:7]
	global_load_dword v1, v[8:9], off
	s_waitcnt vmcnt(0)
	v_subrev_u32_e32 v16, s28, v1
.LBB131_2:
	s_or_b64 exec, exec, s[14:15]
	s_and_saveexec_b64 s[14:15], s[12:13]
	s_cbranch_execz .LBB131_4
; %bb.3:
	v_ashrrev_i32_e32 v3, 31, v2
	v_lshl_add_u64 v[2:3], v[2:3], 2, s[6:7]
	global_load_dword v1, v[2:3], off offset:4
	s_waitcnt vmcnt(0)
	v_subrev_u32_e32 v19, s28, v1
.LBB131_4:
	s_or_b64 exec, exec, s[14:15]
	s_load_dword s29, s[0:1], 0x38
	v_cmp_gt_i32_e32 vcc, s8, v4
	v_mov_b32_e32 v2, 0
	s_and_saveexec_b64 s[6:7], vcc
	s_cbranch_execz .LBB131_6
; %bb.5:
	s_load_dwordx2 s[12:13], s[0:1], 0x48
	v_ashrrev_i32_e32 v5, 31, v4
	s_waitcnt lgkmcnt(0)
	v_lshl_add_u64 v[2:3], v[4:5], 2, s[12:13]
	global_load_dword v1, v[2:3], off
	s_waitcnt vmcnt(0)
	v_subrev_u32_e32 v2, s29, v1
.LBB131_6:
	s_or_b64 exec, exec, s[6:7]
	s_cmp_lt_i32 s9, 1
	s_cbranch_scc1 .LBB131_25
; %bb.7:
	v_and_b32_e32 v20, 31, v0
	v_lshlrev_b32_e32 v0, 7, v18
	v_lshl_or_b32 v21, v6, 6, v0
	v_mbcnt_lo_u32_b32 v0, -1, 0
	v_mbcnt_hi_u32_b32 v0, -1, v0
	s_cmp_eq_u32 s4, 0
	v_lshlrev_b32_e32 v3, 2, v0
	s_cselect_b64 vcc, -1, 0
	s_abs_i32 s33, s11
	v_or_b32_e32 v22, 0x7c, v3
	v_or_b32_e32 v23, 0xfc, v3
	v_cvt_f32_u32_e32 v3, s33
	s_load_dwordx2 s[6:7], s[0:1], 0x20
	s_load_dwordx2 s[12:13], s[0:1], 0x50
	;; [unrolled: 1-line block ×4, first 2 shown]
	s_ashr_i32 s8, s11, 31
	s_mul_hi_u32 s0, s11, s10
	v_rcp_iflag_f32_e32 v3, v3
	s_mul_i32 s1, s8, s10
	v_lshlrev_b32_e32 v0, 3, v6
	v_mul_lo_u32 v6, v6, s11
	v_mul_f32_e32 v3, 0x4f7ffffe, v3
	v_cvt_u32_f32_e32 v3, v3
	v_mov_b32_e32 v1, 0
	s_add_i32 s30, s0, s1
	v_ashrrev_i32_e32 v7, 31, v6
	v_cmp_gt_u32_e64 s[0:1], s11, v20
	v_or_b32_e32 v8, v21, v20
	s_waitcnt lgkmcnt(0)
	v_lshl_add_u64 v[4:5], s[16:17], 0, v[0:1]
	v_lshl_add_u64 v[6:7], v[6:7], 3, s[16:17]
	s_and_b64 s[16:17], s[0:1], s[2:3]
	s_sub_i32 s0, 0, s33
	v_lshlrev_b32_e32 v0, 3, v20
	v_lshlrev_b32_e32 v24, 3, v8
	v_or_b32_e32 v8, 32, v20
	v_mul_lo_u32 v10, s0, v3
	v_lshl_add_u64 v[6:7], v[6:7], 0, v[0:1]
	v_mul_lo_u32 v0, v20, s10
	v_cmp_gt_u32_e64 s[4:5], s11, v8
	v_mul_hi_u32 v10, v3, v10
	s_mul_i32 s31, s11, s10
	v_lshl_add_u32 v8, s10, 5, v0
	v_mov_b32_e32 v9, v1
	s_and_b64 s[4:5], s[2:3], s[4:5]
	v_add_u32_e32 v25, v3, v10
	v_or_b32_e32 v26, 0xffffffe0, v20
	s_mov_b64 s[18:19], 0
	v_mov_b32_e32 v10, v1
	v_mov_b32_e32 v11, v1
	s_mov_b64 s[20:21], 0x80
	s_mov_b64 s[22:23], 0x100
	v_mov_b32_e32 v27, 1
	v_mov_b32_e32 v3, v1
	s_branch .LBB131_10
.LBB131_8:                              ;   in Loop: Header=BB131_10 Depth=1
	s_or_b64 exec, exec, s[0:1]
	v_mov_b32_e32 v12, 1
.LBB131_9:                              ;   in Loop: Header=BB131_10 Depth=1
	s_or_b64 exec, exec, s[2:3]
	v_mov_b32_dpp v3, v28 row_shr:1 row_mask:0xf bank_mask:0xf
	v_min_i32_e32 v3, v3, v28
	v_add_u32_e32 v2, v12, v2
	s_waitcnt lgkmcnt(0)
	v_mov_b32_dpp v13, v3 row_shr:2 row_mask:0xf bank_mask:0xf
	v_min_i32_e32 v3, v13, v3
	s_nop 1
	v_mov_b32_dpp v13, v3 row_shr:4 row_mask:0xf bank_mask:0xe
	v_min_i32_e32 v3, v13, v3
	s_nop 1
	v_mov_b32_dpp v13, v3 row_shr:8 row_mask:0xf bank_mask:0xc
	v_min_i32_e32 v3, v13, v3
	s_nop 1
	v_mov_b32_dpp v13, v3 row_bcast:15 row_mask:0xa bank_mask:0xf
	v_min_i32_e32 v3, v13, v3
	s_nop 1
	v_mov_b32_dpp v13, v3 row_bcast:31 row_mask:0xc bank_mask:0xf
	v_min_i32_e32 v3, v13, v3
	ds_bpermute_b32 v3, v23, v3
	s_waitcnt lgkmcnt(0)
	v_cmp_le_i32_e64 s[0:1], s9, v3
	s_or_b64 s[18:19], s[0:1], s[18:19]
	s_andn2_b64 exec, exec, s[18:19]
	s_cbranch_execz .LBB131_25
.LBB131_10:                             ; =>This Loop Header: Depth=1
                                        ;     Child Loop BB131_11 Depth 2
                                        ;     Child Loop BB131_15 Depth 2
	s_mov_b64 s[2:3], 0
	v_mov_b32_e32 v12, v24
	v_mov_b32_e32 v13, v26
	ds_write_b8 v18, v1 offset:4096
.LBB131_11:                             ;   Parent Loop BB131_10 Depth=1
                                        ; =>  This Inner Loop Header: Depth=2
	v_add_co_u32_e64 v13, s[0:1], 32, v13
	s_xor_b64 s[0:1], s[0:1], -1
	s_and_b64 s[0:1], exec, s[0:1]
	ds_write_b64 v12, v[10:11]
	s_or_b64 s[2:3], s[0:1], s[2:3]
	v_add_u32_e32 v12, 0x100, v12
	s_andn2_b64 exec, exec, s[2:3]
	s_cbranch_execnz .LBB131_11
; %bb.12:                               ;   in Loop: Header=BB131_10 Depth=1
	s_or_b64 exec, exec, s[2:3]
	v_add_u32_e32 v12, v16, v20
	v_cmp_lt_i32_e64 s[0:1], v12, v19
	v_mov_b32_e32 v28, s9
	v_mov_b32_e32 v13, v19
	s_waitcnt lgkmcnt(0)
	s_and_saveexec_b64 s[24:25], s[0:1]
	s_cbranch_execz .LBB131_20
; %bb.13:                               ;   in Loop: Header=BB131_10 Depth=1
	v_ashrrev_i32_e32 v13, 31, v12
	v_mul_lo_u32 v29, v3, s11
	v_lshl_add_u64 v[14:15], v[12:13], 2, s[14:15]
	v_lshl_add_u64 v[16:17], v[12:13], 3, s[6:7]
	s_mov_b64 s[26:27], 0
	v_mov_b32_e32 v28, s9
	v_mov_b32_e32 v13, v19
	s_branch .LBB131_15
.LBB131_14:                             ;   in Loop: Header=BB131_15 Depth=2
	s_or_b64 exec, exec, s[2:3]
	v_add_u32_e32 v12, 32, v12
	v_cmp_ge_i32_e64 s[2:3], v12, v19
	s_xor_b64 s[0:1], s[0:1], -1
	s_or_b64 s[0:1], s[0:1], s[2:3]
	s_and_b64 s[0:1], exec, s[0:1]
	v_lshl_add_u64 v[14:15], v[14:15], 0, s[20:21]
	s_or_b64 s[26:27], s[0:1], s[26:27]
	v_lshl_add_u64 v[16:17], v[16:17], 0, s[22:23]
	s_andn2_b64 exec, exec, s[26:27]
	s_cbranch_execz .LBB131_19
.LBB131_15:                             ;   Parent Loop BB131_10 Depth=1
                                        ; =>  This Inner Loop Header: Depth=2
	global_load_dword v30, v[14:15], off
	s_waitcnt vmcnt(0)
	v_subrev_u32_e32 v30, s28, v30
	v_sub_u32_e32 v32, 0, v30
	v_max_i32_e32 v32, v30, v32
	v_mul_hi_u32 v33, v32, v25
	v_mul_lo_u32 v34, v33, s33
	v_sub_u32_e32 v32, v32, v34
	v_add_u32_e32 v35, 1, v33
	v_cmp_le_u32_e64 s[0:1], s33, v32
	v_subrev_u32_e32 v34, s33, v32
	v_ashrrev_i32_e32 v31, 31, v30
	v_cndmask_b32_e64 v33, v33, v35, s[0:1]
	v_cndmask_b32_e64 v32, v32, v34, s[0:1]
	v_add_u32_e32 v34, 1, v33
	v_cmp_le_u32_e64 s[0:1], s33, v32
	v_xor_b32_e32 v31, s8, v31
	s_nop 0
	v_cndmask_b32_e64 v32, v33, v34, s[0:1]
	v_xor_b32_e32 v32, v32, v31
	v_sub_u32_e32 v32, v32, v31
	v_cmp_eq_u32_e64 s[0:1], v32, v3
	v_cmp_ne_u32_e64 s[2:3], v32, v3
	v_mov_b32_e32 v31, v13
	s_and_saveexec_b64 s[34:35], s[2:3]
	s_xor_b64 s[2:3], exec, s[34:35]
; %bb.16:                               ;   in Loop: Header=BB131_15 Depth=2
	v_min_i32_e32 v28, v32, v28
                                        ; implicit-def: $vgpr30
                                        ; implicit-def: $vgpr31
; %bb.17:                               ;   in Loop: Header=BB131_15 Depth=2
	s_or_saveexec_b64 s[2:3], s[2:3]
	v_mov_b32_e32 v13, v12
	s_xor_b64 exec, exec, s[2:3]
	s_cbranch_execz .LBB131_14
; %bb.18:                               ;   in Loop: Header=BB131_15 Depth=2
	global_load_dwordx2 v[32:33], v[16:17], off
	v_sub_u32_e32 v13, v30, v29
	v_add_lshl_u32 v13, v21, v13, 3
	ds_write_b8 v18, v27 offset:4096
	s_waitcnt vmcnt(0)
	ds_write_b64 v13, v[32:33]
	v_mov_b32_e32 v13, v31
	s_branch .LBB131_14
.LBB131_19:                             ;   in Loop: Header=BB131_10 Depth=1
	s_or_b64 exec, exec, s[26:27]
.LBB131_20:                             ;   in Loop: Header=BB131_10 Depth=1
	s_or_b64 exec, exec, s[24:25]
	v_mov_b32_dpp v12, v13 row_shr:1 row_mask:0xf bank_mask:0xf
	v_min_i32_e32 v12, v12, v13
	s_waitcnt lgkmcnt(0)
	s_nop 0
	v_mov_b32_dpp v13, v12 row_shr:2 row_mask:0xf bank_mask:0xf
	v_min_i32_e32 v12, v13, v12
	s_nop 1
	v_mov_b32_dpp v13, v12 row_shr:4 row_mask:0xf bank_mask:0xe
	v_min_i32_e32 v12, v13, v12
	;; [unrolled: 3-line block ×3, first 2 shown]
	ds_read_u8 v13, v18 offset:4096
	s_nop 0
	v_mov_b32_dpp v14, v12 row_bcast:15 row_mask:0xa bank_mask:0xf
	v_min_i32_e32 v12, v14, v12
	ds_bpermute_b32 v16, v22, v12
	s_waitcnt lgkmcnt(1)
	v_and_b32_e32 v12, 1, v13
	v_cmp_eq_u32_e64 s[0:1], 1, v12
	v_mov_b32_e32 v12, 0
	s_and_saveexec_b64 s[2:3], s[0:1]
	s_cbranch_execz .LBB131_9
; %bb.21:                               ;   in Loop: Header=BB131_10 Depth=1
	v_add_u32_e32 v14, s29, v3
	v_ashrrev_i32_e32 v3, 31, v2
	v_lshl_add_u64 v[12:13], v[2:3], 2, s[12:13]
	global_store_dword v[12:13], v14, off
	v_mul_lo_u32 v14, s30, v2
	v_mul_lo_u32 v3, s31, v3
	v_mad_u64_u32 v[12:13], s[0:1], s31, v2, 0
	v_add3_u32 v13, v13, v3, v14
	v_lshlrev_b64 v[14:15], 3, v[12:13]
	v_lshl_add_u64 v[12:13], v[4:5], 0, v[14:15]
	v_lshl_add_u64 v[14:15], v[6:7], 0, v[14:15]
	s_and_saveexec_b64 s[0:1], s[16:17]
	s_cbranch_execz .LBB131_23
; %bb.22:                               ;   in Loop: Header=BB131_10 Depth=1
	ds_read_b64 v[30:31], v24
	v_lshl_add_u64 v[32:33], v[0:1], 3, v[12:13]
	v_cndmask_b32_e32 v33, v33, v15, vcc
	v_cndmask_b32_e32 v32, v32, v14, vcc
	s_waitcnt lgkmcnt(0)
	global_store_dwordx2 v[32:33], v[30:31], off
.LBB131_23:                             ;   in Loop: Header=BB131_10 Depth=1
	s_or_b64 exec, exec, s[0:1]
	s_and_saveexec_b64 s[0:1], s[4:5]
	s_cbranch_execz .LBB131_8
; %bb.24:                               ;   in Loop: Header=BB131_10 Depth=1
	ds_read_b64 v[30:31], v24 offset:256
	v_lshl_add_u64 v[14:15], v[14:15], 0, s[22:23]
	v_lshl_add_u64 v[12:13], v[8:9], 3, v[12:13]
	v_cndmask_b32_e32 v13, v13, v15, vcc
	v_cndmask_b32_e32 v12, v12, v14, vcc
	s_waitcnt lgkmcnt(0)
	global_store_dwordx2 v[12:13], v[30:31], off
	s_branch .LBB131_8
.LBB131_25:
	s_endpgm
	.section	.rodata,"a",@progbits
	.p2align	6, 0x0
	.amdhsa_kernel _ZN9rocsparseL44csr2gebsr_wavefront_per_row_multipass_kernelILi256ELi2ELi64ELi64E21rocsparse_complex_numIfEEEv20rocsparse_direction_iiiiii21rocsparse_index_base_PKT3_PKiS9_S4_PS5_PiSB_
		.amdhsa_group_segment_fixed_size 4100
		.amdhsa_private_segment_fixed_size 0
		.amdhsa_kernarg_size 88
		.amdhsa_user_sgpr_count 2
		.amdhsa_user_sgpr_dispatch_ptr 0
		.amdhsa_user_sgpr_queue_ptr 0
		.amdhsa_user_sgpr_kernarg_segment_ptr 1
		.amdhsa_user_sgpr_dispatch_id 0
		.amdhsa_user_sgpr_kernarg_preload_length 0
		.amdhsa_user_sgpr_kernarg_preload_offset 0
		.amdhsa_user_sgpr_private_segment_size 0
		.amdhsa_uses_dynamic_stack 0
		.amdhsa_enable_private_segment 0
		.amdhsa_system_sgpr_workgroup_id_x 1
		.amdhsa_system_sgpr_workgroup_id_y 0
		.amdhsa_system_sgpr_workgroup_id_z 0
		.amdhsa_system_sgpr_workgroup_info 0
		.amdhsa_system_vgpr_workitem_id 0
		.amdhsa_next_free_vgpr 36
		.amdhsa_next_free_sgpr 36
		.amdhsa_accum_offset 36
		.amdhsa_reserve_vcc 1
		.amdhsa_float_round_mode_32 0
		.amdhsa_float_round_mode_16_64 0
		.amdhsa_float_denorm_mode_32 3
		.amdhsa_float_denorm_mode_16_64 3
		.amdhsa_dx10_clamp 1
		.amdhsa_ieee_mode 1
		.amdhsa_fp16_overflow 0
		.amdhsa_tg_split 0
		.amdhsa_exception_fp_ieee_invalid_op 0
		.amdhsa_exception_fp_denorm_src 0
		.amdhsa_exception_fp_ieee_div_zero 0
		.amdhsa_exception_fp_ieee_overflow 0
		.amdhsa_exception_fp_ieee_underflow 0
		.amdhsa_exception_fp_ieee_inexact 0
		.amdhsa_exception_int_div_zero 0
	.end_amdhsa_kernel
	.section	.text._ZN9rocsparseL44csr2gebsr_wavefront_per_row_multipass_kernelILi256ELi2ELi64ELi64E21rocsparse_complex_numIfEEEv20rocsparse_direction_iiiiii21rocsparse_index_base_PKT3_PKiS9_S4_PS5_PiSB_,"axG",@progbits,_ZN9rocsparseL44csr2gebsr_wavefront_per_row_multipass_kernelILi256ELi2ELi64ELi64E21rocsparse_complex_numIfEEEv20rocsparse_direction_iiiiii21rocsparse_index_base_PKT3_PKiS9_S4_PS5_PiSB_,comdat
.Lfunc_end131:
	.size	_ZN9rocsparseL44csr2gebsr_wavefront_per_row_multipass_kernelILi256ELi2ELi64ELi64E21rocsparse_complex_numIfEEEv20rocsparse_direction_iiiiii21rocsparse_index_base_PKT3_PKiS9_S4_PS5_PiSB_, .Lfunc_end131-_ZN9rocsparseL44csr2gebsr_wavefront_per_row_multipass_kernelILi256ELi2ELi64ELi64E21rocsparse_complex_numIfEEEv20rocsparse_direction_iiiiii21rocsparse_index_base_PKT3_PKiS9_S4_PS5_PiSB_
                                        ; -- End function
	.section	.AMDGPU.csdata,"",@progbits
; Kernel info:
; codeLenInByte = 1432
; NumSgprs: 42
; NumVgprs: 36
; NumAgprs: 0
; TotalNumVgprs: 36
; ScratchSize: 0
; MemoryBound: 0
; FloatMode: 240
; IeeeMode: 1
; LDSByteSize: 4100 bytes/workgroup (compile time only)
; SGPRBlocks: 5
; VGPRBlocks: 4
; NumSGPRsForWavesPerEU: 42
; NumVGPRsForWavesPerEU: 36
; AccumOffset: 36
; Occupancy: 8
; WaveLimiterHint : 0
; COMPUTE_PGM_RSRC2:SCRATCH_EN: 0
; COMPUTE_PGM_RSRC2:USER_SGPR: 2
; COMPUTE_PGM_RSRC2:TRAP_HANDLER: 0
; COMPUTE_PGM_RSRC2:TGID_X_EN: 1
; COMPUTE_PGM_RSRC2:TGID_Y_EN: 0
; COMPUTE_PGM_RSRC2:TGID_Z_EN: 0
; COMPUTE_PGM_RSRC2:TIDIG_COMP_CNT: 0
; COMPUTE_PGM_RSRC3_GFX90A:ACCUM_OFFSET: 8
; COMPUTE_PGM_RSRC3_GFX90A:TG_SPLIT: 0
	.section	.text._ZN9rocsparseL44csr2gebsr_wavefront_per_row_multipass_kernelILi256ELi2ELi64ELi32E21rocsparse_complex_numIfEEEv20rocsparse_direction_iiiiii21rocsparse_index_base_PKT3_PKiS9_S4_PS5_PiSB_,"axG",@progbits,_ZN9rocsparseL44csr2gebsr_wavefront_per_row_multipass_kernelILi256ELi2ELi64ELi32E21rocsparse_complex_numIfEEEv20rocsparse_direction_iiiiii21rocsparse_index_base_PKT3_PKiS9_S4_PS5_PiSB_,comdat
	.globl	_ZN9rocsparseL44csr2gebsr_wavefront_per_row_multipass_kernelILi256ELi2ELi64ELi32E21rocsparse_complex_numIfEEEv20rocsparse_direction_iiiiii21rocsparse_index_base_PKT3_PKiS9_S4_PS5_PiSB_ ; -- Begin function _ZN9rocsparseL44csr2gebsr_wavefront_per_row_multipass_kernelILi256ELi2ELi64ELi32E21rocsparse_complex_numIfEEEv20rocsparse_direction_iiiiii21rocsparse_index_base_PKT3_PKiS9_S4_PS5_PiSB_
	.p2align	8
	.type	_ZN9rocsparseL44csr2gebsr_wavefront_per_row_multipass_kernelILi256ELi2ELi64ELi32E21rocsparse_complex_numIfEEEv20rocsparse_direction_iiiiii21rocsparse_index_base_PKT3_PKiS9_S4_PS5_PiSB_,@function
_ZN9rocsparseL44csr2gebsr_wavefront_per_row_multipass_kernelILi256ELi2ELi64ELi32E21rocsparse_complex_numIfEEEv20rocsparse_direction_iiiiii21rocsparse_index_base_PKT3_PKiS9_S4_PS5_PiSB_: ; @_ZN9rocsparseL44csr2gebsr_wavefront_per_row_multipass_kernelILi256ELi2ELi64ELi32E21rocsparse_complex_numIfEEEv20rocsparse_direction_iiiiii21rocsparse_index_base_PKT3_PKiS9_S4_PS5_PiSB_
; %bb.0:
	s_load_dwordx2 s[4:5], s[0:1], 0x0
	s_load_dwordx4 s[12:15], s[0:1], 0xc
	s_load_dword s33, s[0:1], 0x1c
	s_load_dwordx2 s[6:7], s[0:1], 0x28
	v_lshrrev_b32_e32 v22, 5, v0
	v_bfe_u32 v6, v0, 4, 1
	v_lshl_or_b32 v4, s2, 3, v22
	s_waitcnt lgkmcnt(0)
	v_mad_u64_u32 v[2:3], s[2:3], v4, s14, v[6:7]
	v_cmp_gt_i32_e32 vcc, s5, v2
	v_cmp_gt_i32_e64 s[2:3], s14, v6
	s_and_b64 s[8:9], s[2:3], vcc
	v_mov_b32_e32 v23, 0
	v_mov_b32_e32 v20, 0
	s_and_saveexec_b64 s[10:11], s[8:9]
	s_cbranch_execz .LBB132_2
; %bb.1:
	v_ashrrev_i32_e32 v3, 31, v2
	v_lshl_add_u64 v[8:9], v[2:3], 2, s[6:7]
	global_load_dword v1, v[8:9], off
	s_waitcnt vmcnt(0)
	v_subrev_u32_e32 v20, s33, v1
.LBB132_2:
	s_or_b64 exec, exec, s[10:11]
	s_and_saveexec_b64 s[10:11], s[8:9]
	s_cbranch_execz .LBB132_4
; %bb.3:
	v_ashrrev_i32_e32 v3, 31, v2
	v_lshl_add_u64 v[2:3], v[2:3], 2, s[6:7]
	global_load_dword v1, v[2:3], off offset:4
	s_waitcnt vmcnt(0)
	v_subrev_u32_e32 v23, s33, v1
.LBB132_4:
	s_or_b64 exec, exec, s[10:11]
	s_load_dword s36, s[0:1], 0x38
	v_cmp_gt_i32_e32 vcc, s12, v4
	v_mov_b32_e32 v2, 0
	s_and_saveexec_b64 s[6:7], vcc
	s_cbranch_execz .LBB132_6
; %bb.5:
	s_load_dwordx2 s[8:9], s[0:1], 0x48
	v_ashrrev_i32_e32 v5, 31, v4
	s_waitcnt lgkmcnt(0)
	v_lshl_add_u64 v[2:3], v[4:5], 2, s[8:9]
	global_load_dword v1, v[2:3], off
	s_waitcnt vmcnt(0)
	v_subrev_u32_e32 v2, s36, v1
.LBB132_6:
	s_or_b64 exec, exec, s[6:7]
	s_cmp_lt_i32 s13, 1
	s_cbranch_scc1 .LBB132_29
; %bb.7:
	v_and_b32_e32 v24, 15, v0
	v_lshlrev_b32_e32 v0, 7, v22
	s_load_dwordx2 s[10:11], s[0:1], 0x20
	s_load_dwordx2 s[16:17], s[0:1], 0x50
	;; [unrolled: 1-line block ×4, first 2 shown]
	v_lshl_or_b32 v25, v6, 6, v0
	v_mbcnt_lo_u32_b32 v0, -1, 0
	v_mbcnt_hi_u32_b32 v0, -1, v0
	v_lshlrev_b32_e32 v3, 2, v0
	v_lshlrev_b32_e32 v0, 3, v6
	v_mul_lo_u32 v6, v6, s15
	v_mov_b32_e32 v1, 0
	s_cmp_eq_u32 s4, 0
	v_ashrrev_i32_e32 v7, 31, v6
	v_or_b32_e32 v26, 60, v3
	s_cselect_b64 vcc, -1, 0
	s_ashr_i32 s12, s15, 31
	s_waitcnt lgkmcnt(0)
	v_lshl_add_u64 v[4:5], s[6:7], 0, v[0:1]
	v_lshl_add_u64 v[6:7], v[6:7], 3, s[6:7]
	v_lshlrev_b32_e32 v0, 3, v24
	v_or_b32_e32 v27, 0x7c, v3
	v_or_b32_e32 v3, 16, v24
	s_mul_hi_u32 s0, s15, s14
	s_mul_i32 s1, s12, s14
	s_mul_i32 s38, s15, s14
	v_lshl_add_u64 v[6:7], v[6:7], 0, v[0:1]
	v_mul_lo_u32 v0, v24, s14
	v_cmp_gt_u32_e64 s[4:5], s15, v3
	s_lshl_b32 s20, s14, 4
	v_or_b32_e32 v3, 32, v24
	s_abs_i32 s14, s15
	v_cmp_gt_u32_e64 s[6:7], s15, v3
	v_cvt_f32_u32_e32 v3, s14
	v_or_b32_e32 v8, v25, v24
	v_lshlrev_b32_e32 v28, 3, v8
	v_add_u32_e32 v8, s20, v0
	v_rcp_iflag_f32_e32 v3, v3
	s_add_i32 s37, s0, s1
	v_cmp_gt_u32_e64 s[0:1], s15, v24
	v_add_u32_e32 v10, s20, v8
	v_mul_f32_e32 v3, 0x4f7ffffe, v3
	v_cvt_u32_f32_e32 v3, v3
	v_or_b32_e32 v12, 48, v24
	v_cmp_gt_u32_e64 s[8:9], s15, v12
	v_add_u32_e32 v12, s20, v10
	s_and_b64 s[20:21], s[0:1], s[2:3]
	s_sub_i32 s0, 0, s14
	v_mul_lo_u32 v14, s0, v3
	v_mul_hi_u32 v14, v3, v14
	v_mov_b32_e32 v9, v1
	v_mov_b32_e32 v11, v1
	;; [unrolled: 1-line block ×3, first 2 shown]
	s_and_b64 s[4:5], s[2:3], s[4:5]
	s_and_b64 s[6:7], s[2:3], s[6:7]
	;; [unrolled: 1-line block ×3, first 2 shown]
	v_add_u32_e32 v29, v3, v14
	v_or_b32_e32 v30, -16, v24
	s_mov_b64 s[22:23], 0
	v_mov_b32_e32 v14, v1
	v_mov_b32_e32 v15, v1
	s_mov_b64 s[24:25], 0x80
	s_mov_b64 s[26:27], 0x100
	;; [unrolled: 1-line block ×3, first 2 shown]
	v_mov_b32_e32 v31, 1
	v_mov_b32_e32 v3, v1
	s_branch .LBB132_10
.LBB132_8:                              ;   in Loop: Header=BB132_10 Depth=1
	s_or_b64 exec, exec, s[0:1]
	v_mov_b32_e32 v16, 1
.LBB132_9:                              ;   in Loop: Header=BB132_10 Depth=1
	s_or_b64 exec, exec, s[2:3]
	v_mov_b32_dpp v3, v32 row_shr:1 row_mask:0xf bank_mask:0xf
	v_min_i32_e32 v3, v3, v32
	v_add_u32_e32 v2, v16, v2
	s_waitcnt lgkmcnt(0)
	v_mov_b32_dpp v17, v3 row_shr:2 row_mask:0xf bank_mask:0xf
	v_min_i32_e32 v3, v17, v3
	s_nop 1
	v_mov_b32_dpp v17, v3 row_shr:4 row_mask:0xf bank_mask:0xe
	v_min_i32_e32 v3, v17, v3
	s_nop 1
	;; [unrolled: 3-line block ×3, first 2 shown]
	v_mov_b32_dpp v17, v3 row_bcast:15 row_mask:0xa bank_mask:0xf
	v_min_i32_e32 v3, v17, v3
	ds_bpermute_b32 v3, v27, v3
	s_waitcnt lgkmcnt(0)
	v_cmp_le_i32_e64 s[0:1], s13, v3
	s_or_b64 s[22:23], s[0:1], s[22:23]
	s_andn2_b64 exec, exec, s[22:23]
	s_cbranch_execz .LBB132_29
.LBB132_10:                             ; =>This Loop Header: Depth=1
                                        ;     Child Loop BB132_11 Depth 2
                                        ;     Child Loop BB132_15 Depth 2
	s_mov_b64 s[2:3], 0
	v_mov_b32_e32 v16, v28
	v_mov_b32_e32 v17, v30
	ds_write_b8 v22, v1 offset:8192
.LBB132_11:                             ;   Parent Loop BB132_10 Depth=1
                                        ; =>  This Inner Loop Header: Depth=2
	v_add_u32_e32 v17, 16, v17
	v_cmp_lt_u32_e64 s[0:1], 47, v17
	ds_write_b64 v16, v[14:15]
	s_or_b64 s[2:3], s[0:1], s[2:3]
	v_add_u32_e32 v16, 0x80, v16
	s_andn2_b64 exec, exec, s[2:3]
	s_cbranch_execnz .LBB132_11
; %bb.12:                               ;   in Loop: Header=BB132_10 Depth=1
	s_or_b64 exec, exec, s[2:3]
	v_add_u32_e32 v16, v20, v24
	v_cmp_lt_i32_e64 s[0:1], v16, v23
	v_mov_b32_e32 v32, s13
	v_mov_b32_e32 v17, v23
	s_waitcnt lgkmcnt(0)
	s_and_saveexec_b64 s[30:31], s[0:1]
	s_cbranch_execz .LBB132_20
; %bb.13:                               ;   in Loop: Header=BB132_10 Depth=1
	v_ashrrev_i32_e32 v17, 31, v16
	v_mul_lo_u32 v33, v3, s15
	v_lshl_add_u64 v[18:19], v[16:17], 2, s[18:19]
	v_lshl_add_u64 v[20:21], v[16:17], 3, s[10:11]
	s_mov_b64 s[34:35], 0
	v_mov_b32_e32 v32, s13
	v_mov_b32_e32 v17, v23
	s_branch .LBB132_15
.LBB132_14:                             ;   in Loop: Header=BB132_15 Depth=2
	s_or_b64 exec, exec, s[2:3]
	v_add_u32_e32 v16, 16, v16
	v_cmp_ge_i32_e64 s[2:3], v16, v23
	s_xor_b64 s[0:1], s[0:1], -1
	s_or_b64 s[0:1], s[0:1], s[2:3]
	s_and_b64 s[0:1], exec, s[0:1]
	v_lshl_add_u64 v[18:19], v[18:19], 0, 64
	s_or_b64 s[34:35], s[0:1], s[34:35]
	v_lshl_add_u64 v[20:21], v[20:21], 0, s[24:25]
	s_andn2_b64 exec, exec, s[34:35]
	s_cbranch_execz .LBB132_19
.LBB132_15:                             ;   Parent Loop BB132_10 Depth=1
                                        ; =>  This Inner Loop Header: Depth=2
	global_load_dword v34, v[18:19], off
	s_waitcnt vmcnt(0)
	v_subrev_u32_e32 v34, s33, v34
	v_sub_u32_e32 v36, 0, v34
	v_max_i32_e32 v36, v34, v36
	v_mul_hi_u32 v37, v36, v29
	v_mul_lo_u32 v38, v37, s14
	v_sub_u32_e32 v36, v36, v38
	v_add_u32_e32 v39, 1, v37
	v_cmp_le_u32_e64 s[0:1], s14, v36
	v_subrev_u32_e32 v38, s14, v36
	v_ashrrev_i32_e32 v35, 31, v34
	v_cndmask_b32_e64 v37, v37, v39, s[0:1]
	v_cndmask_b32_e64 v36, v36, v38, s[0:1]
	v_add_u32_e32 v38, 1, v37
	v_cmp_le_u32_e64 s[0:1], s14, v36
	v_xor_b32_e32 v35, s12, v35
	s_nop 0
	v_cndmask_b32_e64 v36, v37, v38, s[0:1]
	v_xor_b32_e32 v36, v36, v35
	v_sub_u32_e32 v36, v36, v35
	v_cmp_eq_u32_e64 s[0:1], v36, v3
	v_cmp_ne_u32_e64 s[2:3], v36, v3
	v_mov_b32_e32 v35, v17
	s_and_saveexec_b64 s[40:41], s[2:3]
	s_xor_b64 s[2:3], exec, s[40:41]
; %bb.16:                               ;   in Loop: Header=BB132_15 Depth=2
	v_min_i32_e32 v32, v36, v32
                                        ; implicit-def: $vgpr34
                                        ; implicit-def: $vgpr35
; %bb.17:                               ;   in Loop: Header=BB132_15 Depth=2
	s_or_saveexec_b64 s[2:3], s[2:3]
	v_mov_b32_e32 v17, v16
	s_xor_b64 exec, exec, s[2:3]
	s_cbranch_execz .LBB132_14
; %bb.18:                               ;   in Loop: Header=BB132_15 Depth=2
	global_load_dwordx2 v[36:37], v[20:21], off
	v_sub_u32_e32 v17, v34, v33
	v_add_lshl_u32 v17, v25, v17, 3
	ds_write_b8 v22, v31 offset:8192
	s_waitcnt vmcnt(0)
	ds_write_b64 v17, v[36:37]
	v_mov_b32_e32 v17, v35
	s_branch .LBB132_14
.LBB132_19:                             ;   in Loop: Header=BB132_10 Depth=1
	s_or_b64 exec, exec, s[34:35]
.LBB132_20:                             ;   in Loop: Header=BB132_10 Depth=1
	s_or_b64 exec, exec, s[30:31]
	v_mov_b32_dpp v16, v17 row_shr:1 row_mask:0xf bank_mask:0xf
	v_min_i32_e32 v16, v16, v17
	s_waitcnt lgkmcnt(0)
	s_nop 0
	v_mov_b32_dpp v17, v16 row_shr:2 row_mask:0xf bank_mask:0xf
	v_min_i32_e32 v16, v17, v16
	s_nop 1
	v_mov_b32_dpp v17, v16 row_shr:4 row_mask:0xf bank_mask:0xe
	v_min_i32_e32 v16, v17, v16
	ds_read_u8 v17, v22 offset:8192
	s_nop 0
	v_mov_b32_dpp v18, v16 row_shr:8 row_mask:0xf bank_mask:0xc
	v_min_i32_e32 v16, v18, v16
	ds_bpermute_b32 v20, v26, v16
	s_waitcnt lgkmcnt(1)
	v_and_b32_e32 v16, 1, v17
	v_cmp_eq_u32_e64 s[0:1], 1, v16
	v_mov_b32_e32 v16, 0
	s_and_saveexec_b64 s[2:3], s[0:1]
	s_cbranch_execz .LBB132_9
; %bb.21:                               ;   in Loop: Header=BB132_10 Depth=1
	v_add_u32_e32 v18, s36, v3
	v_ashrrev_i32_e32 v3, 31, v2
	v_lshl_add_u64 v[16:17], v[2:3], 2, s[16:17]
	global_store_dword v[16:17], v18, off
	v_mul_lo_u32 v18, s37, v2
	v_mul_lo_u32 v3, s38, v3
	v_mad_u64_u32 v[16:17], s[0:1], s38, v2, 0
	v_add3_u32 v17, v17, v3, v18
	v_lshlrev_b64 v[18:19], 3, v[16:17]
	v_lshl_add_u64 v[16:17], v[4:5], 0, v[18:19]
	v_lshl_add_u64 v[18:19], v[6:7], 0, v[18:19]
	s_and_saveexec_b64 s[0:1], s[20:21]
	s_cbranch_execnz .LBB132_25
; %bb.22:                               ;   in Loop: Header=BB132_10 Depth=1
	s_or_b64 exec, exec, s[0:1]
	s_and_saveexec_b64 s[0:1], s[4:5]
	s_cbranch_execnz .LBB132_26
.LBB132_23:                             ;   in Loop: Header=BB132_10 Depth=1
	s_or_b64 exec, exec, s[0:1]
	s_and_saveexec_b64 s[0:1], s[6:7]
	s_cbranch_execnz .LBB132_27
.LBB132_24:                             ;   in Loop: Header=BB132_10 Depth=1
	s_or_b64 exec, exec, s[0:1]
	s_and_saveexec_b64 s[0:1], s[8:9]
	s_cbranch_execz .LBB132_8
	s_branch .LBB132_28
.LBB132_25:                             ;   in Loop: Header=BB132_10 Depth=1
	ds_read_b64 v[34:35], v28
	v_lshl_add_u64 v[36:37], v[0:1], 3, v[16:17]
	v_cndmask_b32_e32 v37, v37, v19, vcc
	v_cndmask_b32_e32 v36, v36, v18, vcc
	s_waitcnt lgkmcnt(0)
	global_store_dwordx2 v[36:37], v[34:35], off
	s_or_b64 exec, exec, s[0:1]
	s_and_saveexec_b64 s[0:1], s[4:5]
	s_cbranch_execz .LBB132_23
.LBB132_26:                             ;   in Loop: Header=BB132_10 Depth=1
	ds_read_b64 v[34:35], v28 offset:128
	v_lshl_add_u64 v[36:37], v[18:19], 0, s[24:25]
	v_lshl_add_u64 v[38:39], v[8:9], 3, v[16:17]
	v_cndmask_b32_e32 v37, v39, v37, vcc
	v_cndmask_b32_e32 v36, v38, v36, vcc
	s_waitcnt lgkmcnt(0)
	global_store_dwordx2 v[36:37], v[34:35], off
	s_or_b64 exec, exec, s[0:1]
	s_and_saveexec_b64 s[0:1], s[6:7]
	s_cbranch_execz .LBB132_24
.LBB132_27:                             ;   in Loop: Header=BB132_10 Depth=1
	ds_read_b64 v[34:35], v28 offset:256
	v_lshl_add_u64 v[36:37], v[18:19], 0, s[26:27]
	v_lshl_add_u64 v[38:39], v[10:11], 3, v[16:17]
	v_cndmask_b32_e32 v37, v39, v37, vcc
	v_cndmask_b32_e32 v36, v38, v36, vcc
	s_waitcnt lgkmcnt(0)
	global_store_dwordx2 v[36:37], v[34:35], off
	s_or_b64 exec, exec, s[0:1]
	s_and_saveexec_b64 s[0:1], s[8:9]
	s_cbranch_execz .LBB132_8
.LBB132_28:                             ;   in Loop: Header=BB132_10 Depth=1
	ds_read_b64 v[34:35], v28 offset:384
	v_lshl_add_u64 v[18:19], v[18:19], 0, s[28:29]
	v_lshl_add_u64 v[16:17], v[12:13], 3, v[16:17]
	v_cndmask_b32_e32 v17, v17, v19, vcc
	v_cndmask_b32_e32 v16, v16, v18, vcc
	s_waitcnt lgkmcnt(0)
	global_store_dwordx2 v[16:17], v[34:35], off
	s_branch .LBB132_8
.LBB132_29:
	s_endpgm
	.section	.rodata,"a",@progbits
	.p2align	6, 0x0
	.amdhsa_kernel _ZN9rocsparseL44csr2gebsr_wavefront_per_row_multipass_kernelILi256ELi2ELi64ELi32E21rocsparse_complex_numIfEEEv20rocsparse_direction_iiiiii21rocsparse_index_base_PKT3_PKiS9_S4_PS5_PiSB_
		.amdhsa_group_segment_fixed_size 8200
		.amdhsa_private_segment_fixed_size 0
		.amdhsa_kernarg_size 88
		.amdhsa_user_sgpr_count 2
		.amdhsa_user_sgpr_dispatch_ptr 0
		.amdhsa_user_sgpr_queue_ptr 0
		.amdhsa_user_sgpr_kernarg_segment_ptr 1
		.amdhsa_user_sgpr_dispatch_id 0
		.amdhsa_user_sgpr_kernarg_preload_length 0
		.amdhsa_user_sgpr_kernarg_preload_offset 0
		.amdhsa_user_sgpr_private_segment_size 0
		.amdhsa_uses_dynamic_stack 0
		.amdhsa_enable_private_segment 0
		.amdhsa_system_sgpr_workgroup_id_x 1
		.amdhsa_system_sgpr_workgroup_id_y 0
		.amdhsa_system_sgpr_workgroup_id_z 0
		.amdhsa_system_sgpr_workgroup_info 0
		.amdhsa_system_vgpr_workitem_id 0
		.amdhsa_next_free_vgpr 40
		.amdhsa_next_free_sgpr 42
		.amdhsa_accum_offset 40
		.amdhsa_reserve_vcc 1
		.amdhsa_float_round_mode_32 0
		.amdhsa_float_round_mode_16_64 0
		.amdhsa_float_denorm_mode_32 3
		.amdhsa_float_denorm_mode_16_64 3
		.amdhsa_dx10_clamp 1
		.amdhsa_ieee_mode 1
		.amdhsa_fp16_overflow 0
		.amdhsa_tg_split 0
		.amdhsa_exception_fp_ieee_invalid_op 0
		.amdhsa_exception_fp_denorm_src 0
		.amdhsa_exception_fp_ieee_div_zero 0
		.amdhsa_exception_fp_ieee_overflow 0
		.amdhsa_exception_fp_ieee_underflow 0
		.amdhsa_exception_fp_ieee_inexact 0
		.amdhsa_exception_int_div_zero 0
	.end_amdhsa_kernel
	.section	.text._ZN9rocsparseL44csr2gebsr_wavefront_per_row_multipass_kernelILi256ELi2ELi64ELi32E21rocsparse_complex_numIfEEEv20rocsparse_direction_iiiiii21rocsparse_index_base_PKT3_PKiS9_S4_PS5_PiSB_,"axG",@progbits,_ZN9rocsparseL44csr2gebsr_wavefront_per_row_multipass_kernelILi256ELi2ELi64ELi32E21rocsparse_complex_numIfEEEv20rocsparse_direction_iiiiii21rocsparse_index_base_PKT3_PKiS9_S4_PS5_PiSB_,comdat
.Lfunc_end132:
	.size	_ZN9rocsparseL44csr2gebsr_wavefront_per_row_multipass_kernelILi256ELi2ELi64ELi32E21rocsparse_complex_numIfEEEv20rocsparse_direction_iiiiii21rocsparse_index_base_PKT3_PKiS9_S4_PS5_PiSB_, .Lfunc_end132-_ZN9rocsparseL44csr2gebsr_wavefront_per_row_multipass_kernelILi256ELi2ELi64ELi32E21rocsparse_complex_numIfEEEv20rocsparse_direction_iiiiii21rocsparse_index_base_PKT3_PKiS9_S4_PS5_PiSB_
                                        ; -- End function
	.section	.AMDGPU.csdata,"",@progbits
; Kernel info:
; codeLenInByte = 1596
; NumSgprs: 48
; NumVgprs: 40
; NumAgprs: 0
; TotalNumVgprs: 40
; ScratchSize: 0
; MemoryBound: 0
; FloatMode: 240
; IeeeMode: 1
; LDSByteSize: 8200 bytes/workgroup (compile time only)
; SGPRBlocks: 5
; VGPRBlocks: 4
; NumSGPRsForWavesPerEU: 48
; NumVGPRsForWavesPerEU: 40
; AccumOffset: 40
; Occupancy: 7
; WaveLimiterHint : 0
; COMPUTE_PGM_RSRC2:SCRATCH_EN: 0
; COMPUTE_PGM_RSRC2:USER_SGPR: 2
; COMPUTE_PGM_RSRC2:TRAP_HANDLER: 0
; COMPUTE_PGM_RSRC2:TGID_X_EN: 1
; COMPUTE_PGM_RSRC2:TGID_Y_EN: 0
; COMPUTE_PGM_RSRC2:TGID_Z_EN: 0
; COMPUTE_PGM_RSRC2:TIDIG_COMP_CNT: 0
; COMPUTE_PGM_RSRC3_GFX90A:ACCUM_OFFSET: 9
; COMPUTE_PGM_RSRC3_GFX90A:TG_SPLIT: 0
	.section	.text._ZN9rocsparseL44csr2gebsr_wavefront_per_row_multipass_kernelILi256ELi4ELi2ELi8E21rocsparse_complex_numIfEEEv20rocsparse_direction_iiiiii21rocsparse_index_base_PKT3_PKiS9_S4_PS5_PiSB_,"axG",@progbits,_ZN9rocsparseL44csr2gebsr_wavefront_per_row_multipass_kernelILi256ELi4ELi2ELi8E21rocsparse_complex_numIfEEEv20rocsparse_direction_iiiiii21rocsparse_index_base_PKT3_PKiS9_S4_PS5_PiSB_,comdat
	.globl	_ZN9rocsparseL44csr2gebsr_wavefront_per_row_multipass_kernelILi256ELi4ELi2ELi8E21rocsparse_complex_numIfEEEv20rocsparse_direction_iiiiii21rocsparse_index_base_PKT3_PKiS9_S4_PS5_PiSB_ ; -- Begin function _ZN9rocsparseL44csr2gebsr_wavefront_per_row_multipass_kernelILi256ELi4ELi2ELi8E21rocsparse_complex_numIfEEEv20rocsparse_direction_iiiiii21rocsparse_index_base_PKT3_PKiS9_S4_PS5_PiSB_
	.p2align	8
	.type	_ZN9rocsparseL44csr2gebsr_wavefront_per_row_multipass_kernelILi256ELi4ELi2ELi8E21rocsparse_complex_numIfEEEv20rocsparse_direction_iiiiii21rocsparse_index_base_PKT3_PKiS9_S4_PS5_PiSB_,@function
_ZN9rocsparseL44csr2gebsr_wavefront_per_row_multipass_kernelILi256ELi4ELi2ELi8E21rocsparse_complex_numIfEEEv20rocsparse_direction_iiiiii21rocsparse_index_base_PKT3_PKiS9_S4_PS5_PiSB_: ; @_ZN9rocsparseL44csr2gebsr_wavefront_per_row_multipass_kernelILi256ELi4ELi2ELi8E21rocsparse_complex_numIfEEEv20rocsparse_direction_iiiiii21rocsparse_index_base_PKT3_PKiS9_S4_PS5_PiSB_
; %bb.0:
	s_load_dwordx2 s[14:15], s[0:1], 0x0
	s_load_dwordx4 s[4:7], s[0:1], 0xc
	s_load_dword s20, s[0:1], 0x1c
	s_load_dwordx2 s[8:9], s[0:1], 0x28
	v_lshrrev_b32_e32 v12, 3, v0
	v_bfe_u32 v6, v0, 1, 2
	v_lshl_or_b32 v4, s2, 5, v12
	s_waitcnt lgkmcnt(0)
	v_mad_u64_u32 v[2:3], s[2:3], v4, s6, v[6:7]
	v_cmp_gt_i32_e64 s[2:3], s15, v2
	v_cmp_gt_i32_e32 vcc, s6, v6
	s_and_b64 s[2:3], vcc, s[2:3]
	v_mov_b32_e32 v13, 0
	v_mov_b32_e32 v8, 0
	s_and_saveexec_b64 s[10:11], s[2:3]
	s_cbranch_execz .LBB133_2
; %bb.1:
	v_ashrrev_i32_e32 v3, 31, v2
	v_lshl_add_u64 v[8:9], v[2:3], 2, s[8:9]
	global_load_dword v1, v[8:9], off
	s_waitcnt vmcnt(0)
	v_subrev_u32_e32 v8, s20, v1
.LBB133_2:
	s_or_b64 exec, exec, s[10:11]
	s_and_saveexec_b64 s[10:11], s[2:3]
	s_cbranch_execz .LBB133_4
; %bb.3:
	v_ashrrev_i32_e32 v3, 31, v2
	v_lshl_add_u64 v[2:3], v[2:3], 2, s[8:9]
	global_load_dword v1, v[2:3], off offset:4
	s_waitcnt vmcnt(0)
	v_subrev_u32_e32 v13, s20, v1
.LBB133_4:
	s_or_b64 exec, exec, s[10:11]
	s_load_dword s21, s[0:1], 0x38
	v_cmp_gt_i32_e64 s[2:3], s4, v4
	v_mov_b32_e32 v2, 0
	s_and_saveexec_b64 s[8:9], s[2:3]
	s_cbranch_execz .LBB133_6
; %bb.5:
	s_load_dwordx2 s[2:3], s[0:1], 0x48
	v_ashrrev_i32_e32 v5, 31, v4
	s_waitcnt lgkmcnt(0)
	v_lshl_add_u64 v[2:3], v[4:5], 2, s[2:3]
	global_load_dword v1, v[2:3], off
	s_waitcnt vmcnt(0)
	v_subrev_u32_e32 v2, s21, v1
.LBB133_6:
	s_or_b64 exec, exec, s[8:9]
	s_cmp_lt_i32 s5, 1
	s_cbranch_scc1 .LBB133_21
; %bb.7:
	v_and_b32_e32 v4, 1, v0
	s_load_dwordx2 s[2:3], s[0:1], 0x20
	s_load_dwordx2 s[8:9], s[0:1], 0x50
	;; [unrolled: 1-line block ×4, first 2 shown]
	v_cmp_gt_u32_e64 s[0:1], s7, v4
	s_and_b64 s[12:13], vcc, s[0:1]
	s_cmp_eq_u32 s14, 0
	s_cselect_b64 vcc, -1, 0
	s_abs_i32 s4, s7
	v_cvt_f32_u32_e32 v9, s4
	v_and_b32_e32 v0, 0xf8, v0
	v_lshl_or_b32 v14, v6, 1, v0
	v_mbcnt_lo_u32_b32 v0, -1, 0
	v_rcp_iflag_f32_e32 v9, v9
	v_mbcnt_hi_u32_b32 v0, -1, v0
	v_lshlrev_b32_e32 v3, 2, v0
	v_mov_b32_e32 v5, 0
	v_or_b32_e32 v15, 4, v3
	v_or_b32_e32 v0, v14, v4
	;; [unrolled: 1-line block ×3, first 2 shown]
	v_mul_f32_e32 v3, 0x4f7ffffe, v9
	v_lshlrev_b32_e32 v16, 3, v0
	v_mul_lo_u32 v0, v4, s6
	v_mov_b32_e32 v1, v5
	v_lshlrev_b32_e32 v10, 3, v6
	v_mul_lo_u32 v6, v6, s7
	v_cvt_u32_f32_e32 v3, v3
	s_waitcnt lgkmcnt(0)
	v_lshl_add_u64 v[0:1], v[0:1], 3, s[16:17]
	v_mov_b32_e32 v11, v5
	v_ashrrev_i32_e32 v7, 31, v6
	s_ashr_i32 s22, s7, 31
	v_lshl_add_u64 v[0:1], v[0:1], 0, v[10:11]
	v_lshl_add_u64 v[6:7], v[6:7], 3, s[16:17]
	v_lshlrev_b32_e32 v10, 3, v4
	s_mul_hi_u32 s0, s7, s6
	s_mul_i32 s1, s22, s6
	v_lshl_add_u64 v[6:7], v[6:7], 0, v[10:11]
	s_add_i32 s23, s0, s1
	s_sub_i32 s0, 0, s4
	v_cndmask_b32_e32 v0, v0, v6, vcc
	v_mul_lo_u32 v6, s0, v3
	v_mul_hi_u32 v6, v3, v6
	s_mul_i32 s6, s7, s6
	v_cndmask_b32_e32 v1, v1, v7, vcc
	v_add_u32_e32 v18, v3, v6
	s_mov_b64 s[14:15], 0
	v_mov_b32_e32 v6, v5
	v_mov_b32_e32 v7, v5
	;; [unrolled: 1-line block ×4, first 2 shown]
	s_branch .LBB133_10
.LBB133_8:                              ;   in Loop: Header=BB133_10 Depth=1
	s_or_b64 exec, exec, s[16:17]
	v_mov_b32_e32 v9, 1
.LBB133_9:                              ;   in Loop: Header=BB133_10 Depth=1
	s_or_b64 exec, exec, s[0:1]
	v_mov_b32_dpp v3, v20 row_shr:1 row_mask:0xf bank_mask:0xf
	v_min_i32_e32 v3, v3, v20
	v_add_u32_e32 v2, v9, v2
	s_waitcnt lgkmcnt(0)
	v_mov_b32_dpp v10, v3 row_shr:2 row_mask:0xf bank_mask:0xf
	v_min_i32_e32 v3, v10, v3
	s_nop 1
	v_mov_b32_dpp v10, v3 row_shr:4 row_mask:0xf bank_mask:0xe
	v_min_i32_e32 v3, v10, v3
	ds_bpermute_b32 v3, v17, v3
	s_waitcnt lgkmcnt(0)
	v_cmp_le_i32_e32 vcc, s5, v3
	s_or_b64 s[14:15], vcc, s[14:15]
	s_andn2_b64 exec, exec, s[14:15]
	s_cbranch_execz .LBB133_21
.LBB133_10:                             ; =>This Loop Header: Depth=1
                                        ;     Child Loop BB133_13 Depth 2
	v_add_u32_e32 v21, v8, v4
	v_cmp_lt_i32_e32 vcc, v21, v13
	v_mov_b32_e32 v20, s5
	v_mov_b32_e32 v23, v13
	ds_write_b8 v12, v5 offset:2048
	ds_write_b64 v16, v[6:7]
	s_waitcnt lgkmcnt(0)
	s_and_saveexec_b64 s[16:17], vcc
	s_cbranch_execz .LBB133_18
; %bb.11:                               ;   in Loop: Header=BB133_10 Depth=1
	v_ashrrev_i32_e32 v9, 31, v8
	v_lshl_add_u64 v[10:11], v[4:5], 0, v[8:9]
	v_mul_lo_u32 v22, v3, s7
	v_lshl_add_u64 v[8:9], v[10:11], 2, s[10:11]
	v_lshl_add_u64 v[10:11], v[10:11], 3, s[2:3]
	s_mov_b64 s[18:19], 0
	v_mov_b32_e32 v20, s5
	v_mov_b32_e32 v23, v13
	s_branch .LBB133_13
.LBB133_12:                             ;   in Loop: Header=BB133_13 Depth=2
	s_or_b64 exec, exec, s[0:1]
	v_add_u32_e32 v21, 2, v21
	v_cmp_ge_i32_e64 s[0:1], v21, v13
	s_xor_b64 s[24:25], vcc, -1
	s_or_b64 s[0:1], s[24:25], s[0:1]
	s_and_b64 s[0:1], exec, s[0:1]
	v_lshl_add_u64 v[8:9], v[8:9], 0, 8
	s_or_b64 s[18:19], s[0:1], s[18:19]
	v_lshl_add_u64 v[10:11], v[10:11], 0, 16
	s_andn2_b64 exec, exec, s[18:19]
	s_cbranch_execz .LBB133_17
.LBB133_13:                             ;   Parent Loop BB133_10 Depth=1
                                        ; =>  This Inner Loop Header: Depth=2
	global_load_dword v24, v[8:9], off
	s_waitcnt vmcnt(0)
	v_subrev_u32_e32 v24, s20, v24
	v_sub_u32_e32 v26, 0, v24
	v_max_i32_e32 v26, v24, v26
	v_mul_hi_u32 v27, v26, v18
	v_mul_lo_u32 v28, v27, s4
	v_sub_u32_e32 v26, v26, v28
	v_add_u32_e32 v29, 1, v27
	v_cmp_le_u32_e32 vcc, s4, v26
	v_subrev_u32_e32 v28, s4, v26
	v_ashrrev_i32_e32 v25, 31, v24
	v_cndmask_b32_e32 v27, v27, v29, vcc
	v_cndmask_b32_e32 v26, v26, v28, vcc
	v_add_u32_e32 v28, 1, v27
	v_cmp_le_u32_e32 vcc, s4, v26
	v_xor_b32_e32 v25, s22, v25
	s_nop 0
	v_cndmask_b32_e32 v26, v27, v28, vcc
	v_xor_b32_e32 v26, v26, v25
	v_sub_u32_e32 v26, v26, v25
	v_cmp_eq_u32_e32 vcc, v26, v3
	v_cmp_ne_u32_e64 s[0:1], v26, v3
	v_mov_b32_e32 v25, v23
	s_and_saveexec_b64 s[24:25], s[0:1]
	s_xor_b64 s[0:1], exec, s[24:25]
; %bb.14:                               ;   in Loop: Header=BB133_13 Depth=2
	v_min_i32_e32 v20, v26, v20
                                        ; implicit-def: $vgpr24
                                        ; implicit-def: $vgpr25
; %bb.15:                               ;   in Loop: Header=BB133_13 Depth=2
	s_or_saveexec_b64 s[0:1], s[0:1]
	v_mov_b32_e32 v23, v21
	s_xor_b64 exec, exec, s[0:1]
	s_cbranch_execz .LBB133_12
; %bb.16:                               ;   in Loop: Header=BB133_13 Depth=2
	global_load_dwordx2 v[26:27], v[10:11], off
	v_sub_u32_e32 v23, v24, v22
	v_add_lshl_u32 v23, v14, v23, 3
	ds_write_b8 v12, v19 offset:2048
	s_waitcnt vmcnt(0)
	ds_write_b64 v23, v[26:27]
	v_mov_b32_e32 v23, v25
	s_branch .LBB133_12
.LBB133_17:                             ;   in Loop: Header=BB133_10 Depth=1
	s_or_b64 exec, exec, s[18:19]
.LBB133_18:                             ;   in Loop: Header=BB133_10 Depth=1
	s_or_b64 exec, exec, s[16:17]
	s_waitcnt lgkmcnt(0)
	ds_read_u8 v9, v12 offset:2048
	v_mov_b32_dpp v8, v23 row_shr:1 row_mask:0xf bank_mask:0xf
	v_min_i32_e32 v8, v8, v23
	ds_bpermute_b32 v8, v15, v8
	s_waitcnt lgkmcnt(1)
	v_and_b32_e32 v9, 1, v9
	v_cmp_eq_u32_e32 vcc, 1, v9
	v_mov_b32_e32 v9, 0
	s_and_saveexec_b64 s[0:1], vcc
	s_cbranch_execz .LBB133_9
; %bb.19:                               ;   in Loop: Header=BB133_10 Depth=1
	v_add_u32_e32 v9, s21, v3
	v_ashrrev_i32_e32 v3, 31, v2
	v_lshl_add_u64 v[10:11], v[2:3], 2, s[8:9]
	global_store_dword v[10:11], v9, off
	s_and_saveexec_b64 s[16:17], s[12:13]
	s_cbranch_execz .LBB133_8
; %bb.20:                               ;   in Loop: Header=BB133_10 Depth=1
	ds_read_b64 v[10:11], v16
	v_mul_lo_u32 v9, s23, v2
	v_mul_lo_u32 v3, s6, v3
	v_mad_u64_u32 v[22:23], s[18:19], s6, v2, 0
	v_add3_u32 v23, v23, v3, v9
	v_lshl_add_u64 v[22:23], v[22:23], 3, v[0:1]
	s_waitcnt lgkmcnt(0)
	global_store_dwordx2 v[22:23], v[10:11], off
	s_branch .LBB133_8
.LBB133_21:
	s_endpgm
	.section	.rodata,"a",@progbits
	.p2align	6, 0x0
	.amdhsa_kernel _ZN9rocsparseL44csr2gebsr_wavefront_per_row_multipass_kernelILi256ELi4ELi2ELi8E21rocsparse_complex_numIfEEEv20rocsparse_direction_iiiiii21rocsparse_index_base_PKT3_PKiS9_S4_PS5_PiSB_
		.amdhsa_group_segment_fixed_size 2080
		.amdhsa_private_segment_fixed_size 0
		.amdhsa_kernarg_size 88
		.amdhsa_user_sgpr_count 2
		.amdhsa_user_sgpr_dispatch_ptr 0
		.amdhsa_user_sgpr_queue_ptr 0
		.amdhsa_user_sgpr_kernarg_segment_ptr 1
		.amdhsa_user_sgpr_dispatch_id 0
		.amdhsa_user_sgpr_kernarg_preload_length 0
		.amdhsa_user_sgpr_kernarg_preload_offset 0
		.amdhsa_user_sgpr_private_segment_size 0
		.amdhsa_uses_dynamic_stack 0
		.amdhsa_enable_private_segment 0
		.amdhsa_system_sgpr_workgroup_id_x 1
		.amdhsa_system_sgpr_workgroup_id_y 0
		.amdhsa_system_sgpr_workgroup_id_z 0
		.amdhsa_system_sgpr_workgroup_info 0
		.amdhsa_system_vgpr_workitem_id 0
		.amdhsa_next_free_vgpr 30
		.amdhsa_next_free_sgpr 26
		.amdhsa_accum_offset 32
		.amdhsa_reserve_vcc 1
		.amdhsa_float_round_mode_32 0
		.amdhsa_float_round_mode_16_64 0
		.amdhsa_float_denorm_mode_32 3
		.amdhsa_float_denorm_mode_16_64 3
		.amdhsa_dx10_clamp 1
		.amdhsa_ieee_mode 1
		.amdhsa_fp16_overflow 0
		.amdhsa_tg_split 0
		.amdhsa_exception_fp_ieee_invalid_op 0
		.amdhsa_exception_fp_denorm_src 0
		.amdhsa_exception_fp_ieee_div_zero 0
		.amdhsa_exception_fp_ieee_overflow 0
		.amdhsa_exception_fp_ieee_underflow 0
		.amdhsa_exception_fp_ieee_inexact 0
		.amdhsa_exception_int_div_zero 0
	.end_amdhsa_kernel
	.section	.text._ZN9rocsparseL44csr2gebsr_wavefront_per_row_multipass_kernelILi256ELi4ELi2ELi8E21rocsparse_complex_numIfEEEv20rocsparse_direction_iiiiii21rocsparse_index_base_PKT3_PKiS9_S4_PS5_PiSB_,"axG",@progbits,_ZN9rocsparseL44csr2gebsr_wavefront_per_row_multipass_kernelILi256ELi4ELi2ELi8E21rocsparse_complex_numIfEEEv20rocsparse_direction_iiiiii21rocsparse_index_base_PKT3_PKiS9_S4_PS5_PiSB_,comdat
.Lfunc_end133:
	.size	_ZN9rocsparseL44csr2gebsr_wavefront_per_row_multipass_kernelILi256ELi4ELi2ELi8E21rocsparse_complex_numIfEEEv20rocsparse_direction_iiiiii21rocsparse_index_base_PKT3_PKiS9_S4_PS5_PiSB_, .Lfunc_end133-_ZN9rocsparseL44csr2gebsr_wavefront_per_row_multipass_kernelILi256ELi4ELi2ELi8E21rocsparse_complex_numIfEEEv20rocsparse_direction_iiiiii21rocsparse_index_base_PKT3_PKiS9_S4_PS5_PiSB_
                                        ; -- End function
	.section	.AMDGPU.csdata,"",@progbits
; Kernel info:
; codeLenInByte = 1124
; NumSgprs: 32
; NumVgprs: 30
; NumAgprs: 0
; TotalNumVgprs: 30
; ScratchSize: 0
; MemoryBound: 0
; FloatMode: 240
; IeeeMode: 1
; LDSByteSize: 2080 bytes/workgroup (compile time only)
; SGPRBlocks: 3
; VGPRBlocks: 3
; NumSGPRsForWavesPerEU: 32
; NumVGPRsForWavesPerEU: 30
; AccumOffset: 32
; Occupancy: 8
; WaveLimiterHint : 0
; COMPUTE_PGM_RSRC2:SCRATCH_EN: 0
; COMPUTE_PGM_RSRC2:USER_SGPR: 2
; COMPUTE_PGM_RSRC2:TRAP_HANDLER: 0
; COMPUTE_PGM_RSRC2:TGID_X_EN: 1
; COMPUTE_PGM_RSRC2:TGID_Y_EN: 0
; COMPUTE_PGM_RSRC2:TGID_Z_EN: 0
; COMPUTE_PGM_RSRC2:TIDIG_COMP_CNT: 0
; COMPUTE_PGM_RSRC3_GFX90A:ACCUM_OFFSET: 7
; COMPUTE_PGM_RSRC3_GFX90A:TG_SPLIT: 0
	.section	.text._ZN9rocsparseL44csr2gebsr_wavefront_per_row_multipass_kernelILi256ELi4ELi4ELi16E21rocsparse_complex_numIfEEEv20rocsparse_direction_iiiiii21rocsparse_index_base_PKT3_PKiS9_S4_PS5_PiSB_,"axG",@progbits,_ZN9rocsparseL44csr2gebsr_wavefront_per_row_multipass_kernelILi256ELi4ELi4ELi16E21rocsparse_complex_numIfEEEv20rocsparse_direction_iiiiii21rocsparse_index_base_PKT3_PKiS9_S4_PS5_PiSB_,comdat
	.globl	_ZN9rocsparseL44csr2gebsr_wavefront_per_row_multipass_kernelILi256ELi4ELi4ELi16E21rocsparse_complex_numIfEEEv20rocsparse_direction_iiiiii21rocsparse_index_base_PKT3_PKiS9_S4_PS5_PiSB_ ; -- Begin function _ZN9rocsparseL44csr2gebsr_wavefront_per_row_multipass_kernelILi256ELi4ELi4ELi16E21rocsparse_complex_numIfEEEv20rocsparse_direction_iiiiii21rocsparse_index_base_PKT3_PKiS9_S4_PS5_PiSB_
	.p2align	8
	.type	_ZN9rocsparseL44csr2gebsr_wavefront_per_row_multipass_kernelILi256ELi4ELi4ELi16E21rocsparse_complex_numIfEEEv20rocsparse_direction_iiiiii21rocsparse_index_base_PKT3_PKiS9_S4_PS5_PiSB_,@function
_ZN9rocsparseL44csr2gebsr_wavefront_per_row_multipass_kernelILi256ELi4ELi4ELi16E21rocsparse_complex_numIfEEEv20rocsparse_direction_iiiiii21rocsparse_index_base_PKT3_PKiS9_S4_PS5_PiSB_: ; @_ZN9rocsparseL44csr2gebsr_wavefront_per_row_multipass_kernelILi256ELi4ELi4ELi16E21rocsparse_complex_numIfEEEv20rocsparse_direction_iiiiii21rocsparse_index_base_PKT3_PKiS9_S4_PS5_PiSB_
; %bb.0:
	s_load_dwordx2 s[14:15], s[0:1], 0x0
	s_load_dwordx4 s[4:7], s[0:1], 0xc
	s_load_dword s20, s[0:1], 0x1c
	s_load_dwordx2 s[8:9], s[0:1], 0x28
	v_lshrrev_b32_e32 v12, 4, v0
	v_bfe_u32 v6, v0, 2, 2
	v_lshl_or_b32 v4, s2, 4, v12
	s_waitcnt lgkmcnt(0)
	v_mad_u64_u32 v[2:3], s[2:3], v4, s6, v[6:7]
	v_cmp_gt_i32_e64 s[2:3], s15, v2
	v_cmp_gt_i32_e32 vcc, s6, v6
	s_and_b64 s[2:3], vcc, s[2:3]
	v_mov_b32_e32 v13, 0
	v_mov_b32_e32 v8, 0
	s_and_saveexec_b64 s[10:11], s[2:3]
	s_cbranch_execz .LBB134_2
; %bb.1:
	v_ashrrev_i32_e32 v3, 31, v2
	v_lshl_add_u64 v[8:9], v[2:3], 2, s[8:9]
	global_load_dword v1, v[8:9], off
	s_waitcnt vmcnt(0)
	v_subrev_u32_e32 v8, s20, v1
.LBB134_2:
	s_or_b64 exec, exec, s[10:11]
	s_and_saveexec_b64 s[10:11], s[2:3]
	s_cbranch_execz .LBB134_4
; %bb.3:
	v_ashrrev_i32_e32 v3, 31, v2
	v_lshl_add_u64 v[2:3], v[2:3], 2, s[8:9]
	global_load_dword v1, v[2:3], off offset:4
	s_waitcnt vmcnt(0)
	v_subrev_u32_e32 v13, s20, v1
.LBB134_4:
	s_or_b64 exec, exec, s[10:11]
	s_load_dword s21, s[0:1], 0x38
	v_cmp_gt_i32_e64 s[2:3], s4, v4
	v_mov_b32_e32 v2, 0
	s_and_saveexec_b64 s[8:9], s[2:3]
	s_cbranch_execz .LBB134_6
; %bb.5:
	s_load_dwordx2 s[2:3], s[0:1], 0x48
	v_ashrrev_i32_e32 v5, 31, v4
	s_waitcnt lgkmcnt(0)
	v_lshl_add_u64 v[2:3], v[4:5], 2, s[2:3]
	global_load_dword v1, v[2:3], off
	s_waitcnt vmcnt(0)
	v_subrev_u32_e32 v2, s21, v1
.LBB134_6:
	s_or_b64 exec, exec, s[8:9]
	s_cmp_lt_i32 s5, 1
	s_cbranch_scc1 .LBB134_21
; %bb.7:
	v_and_b32_e32 v4, 3, v0
	s_load_dwordx2 s[2:3], s[0:1], 0x20
	s_load_dwordx2 s[8:9], s[0:1], 0x50
	;; [unrolled: 1-line block ×4, first 2 shown]
	v_cmp_gt_u32_e64 s[0:1], s7, v4
	s_and_b64 s[12:13], vcc, s[0:1]
	s_cmp_eq_u32 s14, 0
	s_cselect_b64 vcc, -1, 0
	s_abs_i32 s4, s7
	v_cvt_f32_u32_e32 v9, s4
	v_and_b32_e32 v0, 0xf0, v0
	v_lshl_or_b32 v14, v6, 2, v0
	v_mbcnt_lo_u32_b32 v0, -1, 0
	v_rcp_iflag_f32_e32 v9, v9
	v_mbcnt_hi_u32_b32 v0, -1, v0
	v_lshlrev_b32_e32 v3, 2, v0
	v_mov_b32_e32 v5, 0
	v_or_b32_e32 v15, 12, v3
	v_or_b32_e32 v0, v14, v4
	;; [unrolled: 1-line block ×3, first 2 shown]
	v_mul_f32_e32 v3, 0x4f7ffffe, v9
	v_lshlrev_b32_e32 v16, 3, v0
	v_mul_lo_u32 v0, v4, s6
	v_mov_b32_e32 v1, v5
	v_lshlrev_b32_e32 v10, 3, v6
	v_mul_lo_u32 v6, v6, s7
	v_cvt_u32_f32_e32 v3, v3
	s_waitcnt lgkmcnt(0)
	v_lshl_add_u64 v[0:1], v[0:1], 3, s[16:17]
	v_mov_b32_e32 v11, v5
	v_ashrrev_i32_e32 v7, 31, v6
	s_ashr_i32 s22, s7, 31
	v_lshl_add_u64 v[0:1], v[0:1], 0, v[10:11]
	v_lshl_add_u64 v[6:7], v[6:7], 3, s[16:17]
	v_lshlrev_b32_e32 v10, 3, v4
	s_mul_hi_u32 s0, s7, s6
	s_mul_i32 s1, s22, s6
	v_lshl_add_u64 v[6:7], v[6:7], 0, v[10:11]
	s_add_i32 s23, s0, s1
	s_sub_i32 s0, 0, s4
	v_cndmask_b32_e32 v0, v0, v6, vcc
	v_mul_lo_u32 v6, s0, v3
	v_mul_hi_u32 v6, v3, v6
	s_mul_i32 s6, s7, s6
	v_cndmask_b32_e32 v1, v1, v7, vcc
	v_add_u32_e32 v18, v3, v6
	s_mov_b64 s[14:15], 0
	v_mov_b32_e32 v6, v5
	v_mov_b32_e32 v7, v5
	;; [unrolled: 1-line block ×4, first 2 shown]
	s_branch .LBB134_10
.LBB134_8:                              ;   in Loop: Header=BB134_10 Depth=1
	s_or_b64 exec, exec, s[16:17]
	v_mov_b32_e32 v9, 1
.LBB134_9:                              ;   in Loop: Header=BB134_10 Depth=1
	s_or_b64 exec, exec, s[0:1]
	v_mov_b32_dpp v3, v20 row_shr:1 row_mask:0xf bank_mask:0xf
	v_min_i32_e32 v3, v3, v20
	v_add_u32_e32 v2, v9, v2
	s_waitcnt lgkmcnt(0)
	v_mov_b32_dpp v10, v3 row_shr:2 row_mask:0xf bank_mask:0xf
	v_min_i32_e32 v3, v10, v3
	s_nop 1
	v_mov_b32_dpp v10, v3 row_shr:4 row_mask:0xf bank_mask:0xe
	v_min_i32_e32 v3, v10, v3
	s_nop 1
	v_mov_b32_dpp v10, v3 row_shr:8 row_mask:0xf bank_mask:0xc
	v_min_i32_e32 v3, v10, v3
	ds_bpermute_b32 v3, v17, v3
	s_waitcnt lgkmcnt(0)
	v_cmp_le_i32_e32 vcc, s5, v3
	s_or_b64 s[14:15], vcc, s[14:15]
	s_andn2_b64 exec, exec, s[14:15]
	s_cbranch_execz .LBB134_21
.LBB134_10:                             ; =>This Loop Header: Depth=1
                                        ;     Child Loop BB134_13 Depth 2
	v_add_u32_e32 v21, v8, v4
	v_cmp_lt_i32_e32 vcc, v21, v13
	v_mov_b32_e32 v20, s5
	v_mov_b32_e32 v23, v13
	ds_write_b8 v12, v5 offset:2048
	ds_write_b64 v16, v[6:7]
	s_waitcnt lgkmcnt(0)
	s_and_saveexec_b64 s[16:17], vcc
	s_cbranch_execz .LBB134_18
; %bb.11:                               ;   in Loop: Header=BB134_10 Depth=1
	v_ashrrev_i32_e32 v9, 31, v8
	v_lshl_add_u64 v[10:11], v[4:5], 0, v[8:9]
	v_mul_lo_u32 v22, v3, s7
	v_lshl_add_u64 v[8:9], v[10:11], 2, s[10:11]
	v_lshl_add_u64 v[10:11], v[10:11], 3, s[2:3]
	s_mov_b64 s[18:19], 0
	v_mov_b32_e32 v20, s5
	v_mov_b32_e32 v23, v13
	s_branch .LBB134_13
.LBB134_12:                             ;   in Loop: Header=BB134_13 Depth=2
	s_or_b64 exec, exec, s[0:1]
	v_add_u32_e32 v21, 4, v21
	v_cmp_ge_i32_e64 s[0:1], v21, v13
	s_xor_b64 s[24:25], vcc, -1
	s_or_b64 s[0:1], s[24:25], s[0:1]
	s_and_b64 s[0:1], exec, s[0:1]
	v_lshl_add_u64 v[8:9], v[8:9], 0, 16
	s_or_b64 s[18:19], s[0:1], s[18:19]
	v_lshl_add_u64 v[10:11], v[10:11], 0, 32
	s_andn2_b64 exec, exec, s[18:19]
	s_cbranch_execz .LBB134_17
.LBB134_13:                             ;   Parent Loop BB134_10 Depth=1
                                        ; =>  This Inner Loop Header: Depth=2
	global_load_dword v24, v[8:9], off
	s_waitcnt vmcnt(0)
	v_subrev_u32_e32 v24, s20, v24
	v_sub_u32_e32 v26, 0, v24
	v_max_i32_e32 v26, v24, v26
	v_mul_hi_u32 v27, v26, v18
	v_mul_lo_u32 v28, v27, s4
	v_sub_u32_e32 v26, v26, v28
	v_add_u32_e32 v29, 1, v27
	v_cmp_le_u32_e32 vcc, s4, v26
	v_subrev_u32_e32 v28, s4, v26
	v_ashrrev_i32_e32 v25, 31, v24
	v_cndmask_b32_e32 v27, v27, v29, vcc
	v_cndmask_b32_e32 v26, v26, v28, vcc
	v_add_u32_e32 v28, 1, v27
	v_cmp_le_u32_e32 vcc, s4, v26
	v_xor_b32_e32 v25, s22, v25
	s_nop 0
	v_cndmask_b32_e32 v26, v27, v28, vcc
	v_xor_b32_e32 v26, v26, v25
	v_sub_u32_e32 v26, v26, v25
	v_cmp_eq_u32_e32 vcc, v26, v3
	v_cmp_ne_u32_e64 s[0:1], v26, v3
	v_mov_b32_e32 v25, v23
	s_and_saveexec_b64 s[24:25], s[0:1]
	s_xor_b64 s[0:1], exec, s[24:25]
; %bb.14:                               ;   in Loop: Header=BB134_13 Depth=2
	v_min_i32_e32 v20, v26, v20
                                        ; implicit-def: $vgpr24
                                        ; implicit-def: $vgpr25
; %bb.15:                               ;   in Loop: Header=BB134_13 Depth=2
	s_or_saveexec_b64 s[0:1], s[0:1]
	v_mov_b32_e32 v23, v21
	s_xor_b64 exec, exec, s[0:1]
	s_cbranch_execz .LBB134_12
; %bb.16:                               ;   in Loop: Header=BB134_13 Depth=2
	global_load_dwordx2 v[26:27], v[10:11], off
	v_sub_u32_e32 v23, v24, v22
	v_add_lshl_u32 v23, v14, v23, 3
	ds_write_b8 v12, v19 offset:2048
	s_waitcnt vmcnt(0)
	ds_write_b64 v23, v[26:27]
	v_mov_b32_e32 v23, v25
	s_branch .LBB134_12
.LBB134_17:                             ;   in Loop: Header=BB134_10 Depth=1
	s_or_b64 exec, exec, s[18:19]
.LBB134_18:                             ;   in Loop: Header=BB134_10 Depth=1
	s_or_b64 exec, exec, s[16:17]
	v_mov_b32_dpp v8, v23 row_shr:1 row_mask:0xf bank_mask:0xf
	v_min_i32_e32 v8, v8, v23
	s_waitcnt lgkmcnt(0)
	ds_read_u8 v9, v12 offset:2048
	v_mov_b32_dpp v10, v8 row_shr:2 row_mask:0xf bank_mask:0xf
	v_min_i32_e32 v8, v10, v8
	ds_bpermute_b32 v8, v15, v8
	s_waitcnt lgkmcnt(1)
	v_and_b32_e32 v9, 1, v9
	v_cmp_eq_u32_e32 vcc, 1, v9
	v_mov_b32_e32 v9, 0
	s_and_saveexec_b64 s[0:1], vcc
	s_cbranch_execz .LBB134_9
; %bb.19:                               ;   in Loop: Header=BB134_10 Depth=1
	v_add_u32_e32 v9, s21, v3
	v_ashrrev_i32_e32 v3, 31, v2
	v_lshl_add_u64 v[10:11], v[2:3], 2, s[8:9]
	global_store_dword v[10:11], v9, off
	s_and_saveexec_b64 s[16:17], s[12:13]
	s_cbranch_execz .LBB134_8
; %bb.20:                               ;   in Loop: Header=BB134_10 Depth=1
	ds_read_b64 v[10:11], v16
	v_mul_lo_u32 v9, s23, v2
	v_mul_lo_u32 v3, s6, v3
	v_mad_u64_u32 v[22:23], s[18:19], s6, v2, 0
	v_add3_u32 v23, v23, v3, v9
	v_lshl_add_u64 v[22:23], v[22:23], 3, v[0:1]
	s_waitcnt lgkmcnt(0)
	global_store_dwordx2 v[22:23], v[10:11], off
	s_branch .LBB134_8
.LBB134_21:
	s_endpgm
	.section	.rodata,"a",@progbits
	.p2align	6, 0x0
	.amdhsa_kernel _ZN9rocsparseL44csr2gebsr_wavefront_per_row_multipass_kernelILi256ELi4ELi4ELi16E21rocsparse_complex_numIfEEEv20rocsparse_direction_iiiiii21rocsparse_index_base_PKT3_PKiS9_S4_PS5_PiSB_
		.amdhsa_group_segment_fixed_size 2064
		.amdhsa_private_segment_fixed_size 0
		.amdhsa_kernarg_size 88
		.amdhsa_user_sgpr_count 2
		.amdhsa_user_sgpr_dispatch_ptr 0
		.amdhsa_user_sgpr_queue_ptr 0
		.amdhsa_user_sgpr_kernarg_segment_ptr 1
		.amdhsa_user_sgpr_dispatch_id 0
		.amdhsa_user_sgpr_kernarg_preload_length 0
		.amdhsa_user_sgpr_kernarg_preload_offset 0
		.amdhsa_user_sgpr_private_segment_size 0
		.amdhsa_uses_dynamic_stack 0
		.amdhsa_enable_private_segment 0
		.amdhsa_system_sgpr_workgroup_id_x 1
		.amdhsa_system_sgpr_workgroup_id_y 0
		.amdhsa_system_sgpr_workgroup_id_z 0
		.amdhsa_system_sgpr_workgroup_info 0
		.amdhsa_system_vgpr_workitem_id 0
		.amdhsa_next_free_vgpr 30
		.amdhsa_next_free_sgpr 26
		.amdhsa_accum_offset 32
		.amdhsa_reserve_vcc 1
		.amdhsa_float_round_mode_32 0
		.amdhsa_float_round_mode_16_64 0
		.amdhsa_float_denorm_mode_32 3
		.amdhsa_float_denorm_mode_16_64 3
		.amdhsa_dx10_clamp 1
		.amdhsa_ieee_mode 1
		.amdhsa_fp16_overflow 0
		.amdhsa_tg_split 0
		.amdhsa_exception_fp_ieee_invalid_op 0
		.amdhsa_exception_fp_denorm_src 0
		.amdhsa_exception_fp_ieee_div_zero 0
		.amdhsa_exception_fp_ieee_overflow 0
		.amdhsa_exception_fp_ieee_underflow 0
		.amdhsa_exception_fp_ieee_inexact 0
		.amdhsa_exception_int_div_zero 0
	.end_amdhsa_kernel
	.section	.text._ZN9rocsparseL44csr2gebsr_wavefront_per_row_multipass_kernelILi256ELi4ELi4ELi16E21rocsparse_complex_numIfEEEv20rocsparse_direction_iiiiii21rocsparse_index_base_PKT3_PKiS9_S4_PS5_PiSB_,"axG",@progbits,_ZN9rocsparseL44csr2gebsr_wavefront_per_row_multipass_kernelILi256ELi4ELi4ELi16E21rocsparse_complex_numIfEEEv20rocsparse_direction_iiiiii21rocsparse_index_base_PKT3_PKiS9_S4_PS5_PiSB_,comdat
.Lfunc_end134:
	.size	_ZN9rocsparseL44csr2gebsr_wavefront_per_row_multipass_kernelILi256ELi4ELi4ELi16E21rocsparse_complex_numIfEEEv20rocsparse_direction_iiiiii21rocsparse_index_base_PKT3_PKiS9_S4_PS5_PiSB_, .Lfunc_end134-_ZN9rocsparseL44csr2gebsr_wavefront_per_row_multipass_kernelILi256ELi4ELi4ELi16E21rocsparse_complex_numIfEEEv20rocsparse_direction_iiiiii21rocsparse_index_base_PKT3_PKiS9_S4_PS5_PiSB_
                                        ; -- End function
	.section	.AMDGPU.csdata,"",@progbits
; Kernel info:
; codeLenInByte = 1152
; NumSgprs: 32
; NumVgprs: 30
; NumAgprs: 0
; TotalNumVgprs: 30
; ScratchSize: 0
; MemoryBound: 0
; FloatMode: 240
; IeeeMode: 1
; LDSByteSize: 2064 bytes/workgroup (compile time only)
; SGPRBlocks: 3
; VGPRBlocks: 3
; NumSGPRsForWavesPerEU: 32
; NumVGPRsForWavesPerEU: 30
; AccumOffset: 32
; Occupancy: 8
; WaveLimiterHint : 0
; COMPUTE_PGM_RSRC2:SCRATCH_EN: 0
; COMPUTE_PGM_RSRC2:USER_SGPR: 2
; COMPUTE_PGM_RSRC2:TRAP_HANDLER: 0
; COMPUTE_PGM_RSRC2:TGID_X_EN: 1
; COMPUTE_PGM_RSRC2:TGID_Y_EN: 0
; COMPUTE_PGM_RSRC2:TGID_Z_EN: 0
; COMPUTE_PGM_RSRC2:TIDIG_COMP_CNT: 0
; COMPUTE_PGM_RSRC3_GFX90A:ACCUM_OFFSET: 7
; COMPUTE_PGM_RSRC3_GFX90A:TG_SPLIT: 0
	.section	.text._ZN9rocsparseL44csr2gebsr_wavefront_per_row_multipass_kernelILi256ELi4ELi8ELi32E21rocsparse_complex_numIfEEEv20rocsparse_direction_iiiiii21rocsparse_index_base_PKT3_PKiS9_S4_PS5_PiSB_,"axG",@progbits,_ZN9rocsparseL44csr2gebsr_wavefront_per_row_multipass_kernelILi256ELi4ELi8ELi32E21rocsparse_complex_numIfEEEv20rocsparse_direction_iiiiii21rocsparse_index_base_PKT3_PKiS9_S4_PS5_PiSB_,comdat
	.globl	_ZN9rocsparseL44csr2gebsr_wavefront_per_row_multipass_kernelILi256ELi4ELi8ELi32E21rocsparse_complex_numIfEEEv20rocsparse_direction_iiiiii21rocsparse_index_base_PKT3_PKiS9_S4_PS5_PiSB_ ; -- Begin function _ZN9rocsparseL44csr2gebsr_wavefront_per_row_multipass_kernelILi256ELi4ELi8ELi32E21rocsparse_complex_numIfEEEv20rocsparse_direction_iiiiii21rocsparse_index_base_PKT3_PKiS9_S4_PS5_PiSB_
	.p2align	8
	.type	_ZN9rocsparseL44csr2gebsr_wavefront_per_row_multipass_kernelILi256ELi4ELi8ELi32E21rocsparse_complex_numIfEEEv20rocsparse_direction_iiiiii21rocsparse_index_base_PKT3_PKiS9_S4_PS5_PiSB_,@function
_ZN9rocsparseL44csr2gebsr_wavefront_per_row_multipass_kernelILi256ELi4ELi8ELi32E21rocsparse_complex_numIfEEEv20rocsparse_direction_iiiiii21rocsparse_index_base_PKT3_PKiS9_S4_PS5_PiSB_: ; @_ZN9rocsparseL44csr2gebsr_wavefront_per_row_multipass_kernelILi256ELi4ELi8ELi32E21rocsparse_complex_numIfEEEv20rocsparse_direction_iiiiii21rocsparse_index_base_PKT3_PKiS9_S4_PS5_PiSB_
; %bb.0:
	s_load_dwordx2 s[14:15], s[0:1], 0x0
	s_load_dwordx4 s[4:7], s[0:1], 0xc
	s_load_dword s20, s[0:1], 0x1c
	s_load_dwordx2 s[8:9], s[0:1], 0x28
	v_lshrrev_b32_e32 v12, 5, v0
	v_bfe_u32 v6, v0, 3, 2
	v_lshl_or_b32 v4, s2, 3, v12
	s_waitcnt lgkmcnt(0)
	v_mad_u64_u32 v[2:3], s[2:3], v4, s6, v[6:7]
	v_cmp_gt_i32_e64 s[2:3], s15, v2
	v_cmp_gt_i32_e32 vcc, s6, v6
	s_and_b64 s[2:3], vcc, s[2:3]
	v_mov_b32_e32 v13, 0
	v_mov_b32_e32 v8, 0
	s_and_saveexec_b64 s[10:11], s[2:3]
	s_cbranch_execz .LBB135_2
; %bb.1:
	v_ashrrev_i32_e32 v3, 31, v2
	v_lshl_add_u64 v[8:9], v[2:3], 2, s[8:9]
	global_load_dword v1, v[8:9], off
	s_waitcnt vmcnt(0)
	v_subrev_u32_e32 v8, s20, v1
.LBB135_2:
	s_or_b64 exec, exec, s[10:11]
	s_and_saveexec_b64 s[10:11], s[2:3]
	s_cbranch_execz .LBB135_4
; %bb.3:
	v_ashrrev_i32_e32 v3, 31, v2
	v_lshl_add_u64 v[2:3], v[2:3], 2, s[8:9]
	global_load_dword v1, v[2:3], off offset:4
	s_waitcnt vmcnt(0)
	v_subrev_u32_e32 v13, s20, v1
.LBB135_4:
	s_or_b64 exec, exec, s[10:11]
	s_load_dword s21, s[0:1], 0x38
	v_cmp_gt_i32_e64 s[2:3], s4, v4
	v_mov_b32_e32 v2, 0
	s_and_saveexec_b64 s[8:9], s[2:3]
	s_cbranch_execz .LBB135_6
; %bb.5:
	s_load_dwordx2 s[2:3], s[0:1], 0x48
	v_ashrrev_i32_e32 v5, 31, v4
	s_waitcnt lgkmcnt(0)
	v_lshl_add_u64 v[2:3], v[4:5], 2, s[2:3]
	global_load_dword v1, v[2:3], off
	s_waitcnt vmcnt(0)
	v_subrev_u32_e32 v2, s21, v1
.LBB135_6:
	s_or_b64 exec, exec, s[8:9]
	s_cmp_lt_i32 s5, 1
	s_cbranch_scc1 .LBB135_21
; %bb.7:
	s_load_dwordx2 s[2:3], s[0:1], 0x20
	s_load_dwordx2 s[8:9], s[0:1], 0x50
	;; [unrolled: 1-line block ×4, first 2 shown]
	v_and_b32_e32 v4, 7, v0
	v_lshlrev_b32_e32 v10, 3, v6
	s_movk_i32 s0, 0xe0
	v_and_or_b32 v14, v0, s0, v10
	v_cmp_gt_u32_e64 s[0:1], s7, v4
	s_and_b64 s[12:13], vcc, s[0:1]
	s_cmp_eq_u32 s14, 0
	s_cselect_b64 vcc, -1, 0
	s_abs_i32 s4, s7
	v_cvt_f32_u32_e32 v9, s4
	v_mbcnt_lo_u32_b32 v0, -1, 0
	v_mbcnt_hi_u32_b32 v0, -1, v0
	v_lshlrev_b32_e32 v3, 2, v0
	v_rcp_iflag_f32_e32 v9, v9
	v_mov_b32_e32 v5, 0
	v_or_b32_e32 v15, 28, v3
	v_or_b32_e32 v0, v14, v4
	v_or_b32_e32 v17, 0x7c, v3
	v_mul_f32_e32 v3, 0x4f7ffffe, v9
	v_lshlrev_b32_e32 v16, 3, v0
	v_mul_lo_u32 v0, v4, s6
	v_mov_b32_e32 v1, v5
	v_mul_lo_u32 v6, v6, s7
	v_cvt_u32_f32_e32 v3, v3
	s_waitcnt lgkmcnt(0)
	v_lshl_add_u64 v[0:1], v[0:1], 3, s[16:17]
	v_mov_b32_e32 v11, v5
	v_ashrrev_i32_e32 v7, 31, v6
	s_ashr_i32 s22, s7, 31
	v_lshl_add_u64 v[0:1], v[0:1], 0, v[10:11]
	v_lshl_add_u64 v[6:7], v[6:7], 3, s[16:17]
	v_lshlrev_b32_e32 v10, 3, v4
	s_mul_hi_u32 s0, s7, s6
	s_mul_i32 s1, s22, s6
	v_lshl_add_u64 v[6:7], v[6:7], 0, v[10:11]
	s_add_i32 s23, s0, s1
	s_sub_i32 s0, 0, s4
	v_cndmask_b32_e32 v0, v0, v6, vcc
	v_mul_lo_u32 v6, s0, v3
	v_mul_hi_u32 v6, v3, v6
	s_mul_i32 s6, s7, s6
	v_cndmask_b32_e32 v1, v1, v7, vcc
	v_add_u32_e32 v18, v3, v6
	s_mov_b64 s[14:15], 0
	v_mov_b32_e32 v6, v5
	v_mov_b32_e32 v7, v5
	;; [unrolled: 1-line block ×4, first 2 shown]
	s_branch .LBB135_10
.LBB135_8:                              ;   in Loop: Header=BB135_10 Depth=1
	s_or_b64 exec, exec, s[16:17]
	v_mov_b32_e32 v9, 1
.LBB135_9:                              ;   in Loop: Header=BB135_10 Depth=1
	s_or_b64 exec, exec, s[0:1]
	v_mov_b32_dpp v3, v20 row_shr:1 row_mask:0xf bank_mask:0xf
	v_min_i32_e32 v3, v3, v20
	v_add_u32_e32 v2, v9, v2
	s_waitcnt lgkmcnt(0)
	v_mov_b32_dpp v10, v3 row_shr:2 row_mask:0xf bank_mask:0xf
	v_min_i32_e32 v3, v10, v3
	s_nop 1
	v_mov_b32_dpp v10, v3 row_shr:4 row_mask:0xf bank_mask:0xe
	v_min_i32_e32 v3, v10, v3
	s_nop 1
	;; [unrolled: 3-line block ×3, first 2 shown]
	v_mov_b32_dpp v10, v3 row_bcast:15 row_mask:0xa bank_mask:0xf
	v_min_i32_e32 v3, v10, v3
	ds_bpermute_b32 v3, v17, v3
	s_waitcnt lgkmcnt(0)
	v_cmp_le_i32_e32 vcc, s5, v3
	s_or_b64 s[14:15], vcc, s[14:15]
	s_andn2_b64 exec, exec, s[14:15]
	s_cbranch_execz .LBB135_21
.LBB135_10:                             ; =>This Loop Header: Depth=1
                                        ;     Child Loop BB135_13 Depth 2
	v_add_u32_e32 v21, v8, v4
	v_cmp_lt_i32_e32 vcc, v21, v13
	v_mov_b32_e32 v20, s5
	v_mov_b32_e32 v23, v13
	ds_write_b8 v12, v5 offset:2048
	ds_write_b64 v16, v[6:7]
	s_waitcnt lgkmcnt(0)
	s_and_saveexec_b64 s[16:17], vcc
	s_cbranch_execz .LBB135_18
; %bb.11:                               ;   in Loop: Header=BB135_10 Depth=1
	v_ashrrev_i32_e32 v9, 31, v8
	v_lshl_add_u64 v[10:11], v[4:5], 0, v[8:9]
	v_mul_lo_u32 v22, v3, s7
	v_lshl_add_u64 v[8:9], v[10:11], 2, s[10:11]
	v_lshl_add_u64 v[10:11], v[10:11], 3, s[2:3]
	s_mov_b64 s[18:19], 0
	v_mov_b32_e32 v20, s5
	v_mov_b32_e32 v23, v13
	s_branch .LBB135_13
.LBB135_12:                             ;   in Loop: Header=BB135_13 Depth=2
	s_or_b64 exec, exec, s[0:1]
	v_add_u32_e32 v21, 8, v21
	v_cmp_ge_i32_e64 s[0:1], v21, v13
	s_xor_b64 s[24:25], vcc, -1
	s_or_b64 s[0:1], s[24:25], s[0:1]
	s_and_b64 s[0:1], exec, s[0:1]
	v_lshl_add_u64 v[8:9], v[8:9], 0, 32
	s_or_b64 s[18:19], s[0:1], s[18:19]
	v_lshl_add_u64 v[10:11], v[10:11], 0, 64
	s_andn2_b64 exec, exec, s[18:19]
	s_cbranch_execz .LBB135_17
.LBB135_13:                             ;   Parent Loop BB135_10 Depth=1
                                        ; =>  This Inner Loop Header: Depth=2
	global_load_dword v24, v[8:9], off
	s_waitcnt vmcnt(0)
	v_subrev_u32_e32 v24, s20, v24
	v_sub_u32_e32 v26, 0, v24
	v_max_i32_e32 v26, v24, v26
	v_mul_hi_u32 v27, v26, v18
	v_mul_lo_u32 v28, v27, s4
	v_sub_u32_e32 v26, v26, v28
	v_add_u32_e32 v29, 1, v27
	v_cmp_le_u32_e32 vcc, s4, v26
	v_subrev_u32_e32 v28, s4, v26
	v_ashrrev_i32_e32 v25, 31, v24
	v_cndmask_b32_e32 v27, v27, v29, vcc
	v_cndmask_b32_e32 v26, v26, v28, vcc
	v_add_u32_e32 v28, 1, v27
	v_cmp_le_u32_e32 vcc, s4, v26
	v_xor_b32_e32 v25, s22, v25
	s_nop 0
	v_cndmask_b32_e32 v26, v27, v28, vcc
	v_xor_b32_e32 v26, v26, v25
	v_sub_u32_e32 v26, v26, v25
	v_cmp_eq_u32_e32 vcc, v26, v3
	v_cmp_ne_u32_e64 s[0:1], v26, v3
	v_mov_b32_e32 v25, v23
	s_and_saveexec_b64 s[24:25], s[0:1]
	s_xor_b64 s[0:1], exec, s[24:25]
; %bb.14:                               ;   in Loop: Header=BB135_13 Depth=2
	v_min_i32_e32 v20, v26, v20
                                        ; implicit-def: $vgpr24
                                        ; implicit-def: $vgpr25
; %bb.15:                               ;   in Loop: Header=BB135_13 Depth=2
	s_or_saveexec_b64 s[0:1], s[0:1]
	v_mov_b32_e32 v23, v21
	s_xor_b64 exec, exec, s[0:1]
	s_cbranch_execz .LBB135_12
; %bb.16:                               ;   in Loop: Header=BB135_13 Depth=2
	global_load_dwordx2 v[26:27], v[10:11], off
	v_sub_u32_e32 v23, v24, v22
	v_add_lshl_u32 v23, v14, v23, 3
	ds_write_b8 v12, v19 offset:2048
	s_waitcnt vmcnt(0)
	ds_write_b64 v23, v[26:27]
	v_mov_b32_e32 v23, v25
	s_branch .LBB135_12
.LBB135_17:                             ;   in Loop: Header=BB135_10 Depth=1
	s_or_b64 exec, exec, s[18:19]
.LBB135_18:                             ;   in Loop: Header=BB135_10 Depth=1
	s_or_b64 exec, exec, s[16:17]
	v_mov_b32_dpp v8, v23 row_shr:1 row_mask:0xf bank_mask:0xf
	v_min_i32_e32 v8, v8, v23
	s_waitcnt lgkmcnt(0)
	s_nop 0
	v_mov_b32_dpp v9, v8 row_shr:2 row_mask:0xf bank_mask:0xf
	v_min_i32_e32 v8, v9, v8
	ds_read_u8 v9, v12 offset:2048
	s_waitcnt lgkmcnt(0)
	v_and_b32_e32 v9, 1, v9
	v_mov_b32_dpp v10, v8 row_shr:4 row_mask:0xf bank_mask:0xe
	v_min_i32_e32 v8, v10, v8
	ds_bpermute_b32 v8, v15, v8
	v_cmp_eq_u32_e32 vcc, 1, v9
	v_mov_b32_e32 v9, 0
	s_and_saveexec_b64 s[0:1], vcc
	s_cbranch_execz .LBB135_9
; %bb.19:                               ;   in Loop: Header=BB135_10 Depth=1
	v_add_u32_e32 v9, s21, v3
	v_ashrrev_i32_e32 v3, 31, v2
	v_lshl_add_u64 v[10:11], v[2:3], 2, s[8:9]
	global_store_dword v[10:11], v9, off
	s_and_saveexec_b64 s[16:17], s[12:13]
	s_cbranch_execz .LBB135_8
; %bb.20:                               ;   in Loop: Header=BB135_10 Depth=1
	ds_read_b64 v[10:11], v16
	v_mul_lo_u32 v9, s23, v2
	v_mul_lo_u32 v3, s6, v3
	v_mad_u64_u32 v[22:23], s[18:19], s6, v2, 0
	v_add3_u32 v23, v23, v3, v9
	v_lshl_add_u64 v[22:23], v[22:23], 3, v[0:1]
	s_waitcnt lgkmcnt(0)
	global_store_dwordx2 v[22:23], v[10:11], off
	s_branch .LBB135_8
.LBB135_21:
	s_endpgm
	.section	.rodata,"a",@progbits
	.p2align	6, 0x0
	.amdhsa_kernel _ZN9rocsparseL44csr2gebsr_wavefront_per_row_multipass_kernelILi256ELi4ELi8ELi32E21rocsparse_complex_numIfEEEv20rocsparse_direction_iiiiii21rocsparse_index_base_PKT3_PKiS9_S4_PS5_PiSB_
		.amdhsa_group_segment_fixed_size 2056
		.amdhsa_private_segment_fixed_size 0
		.amdhsa_kernarg_size 88
		.amdhsa_user_sgpr_count 2
		.amdhsa_user_sgpr_dispatch_ptr 0
		.amdhsa_user_sgpr_queue_ptr 0
		.amdhsa_user_sgpr_kernarg_segment_ptr 1
		.amdhsa_user_sgpr_dispatch_id 0
		.amdhsa_user_sgpr_kernarg_preload_length 0
		.amdhsa_user_sgpr_kernarg_preload_offset 0
		.amdhsa_user_sgpr_private_segment_size 0
		.amdhsa_uses_dynamic_stack 0
		.amdhsa_enable_private_segment 0
		.amdhsa_system_sgpr_workgroup_id_x 1
		.amdhsa_system_sgpr_workgroup_id_y 0
		.amdhsa_system_sgpr_workgroup_id_z 0
		.amdhsa_system_sgpr_workgroup_info 0
		.amdhsa_system_vgpr_workitem_id 0
		.amdhsa_next_free_vgpr 30
		.amdhsa_next_free_sgpr 26
		.amdhsa_accum_offset 32
		.amdhsa_reserve_vcc 1
		.amdhsa_float_round_mode_32 0
		.amdhsa_float_round_mode_16_64 0
		.amdhsa_float_denorm_mode_32 3
		.amdhsa_float_denorm_mode_16_64 3
		.amdhsa_dx10_clamp 1
		.amdhsa_ieee_mode 1
		.amdhsa_fp16_overflow 0
		.amdhsa_tg_split 0
		.amdhsa_exception_fp_ieee_invalid_op 0
		.amdhsa_exception_fp_denorm_src 0
		.amdhsa_exception_fp_ieee_div_zero 0
		.amdhsa_exception_fp_ieee_overflow 0
		.amdhsa_exception_fp_ieee_underflow 0
		.amdhsa_exception_fp_ieee_inexact 0
		.amdhsa_exception_int_div_zero 0
	.end_amdhsa_kernel
	.section	.text._ZN9rocsparseL44csr2gebsr_wavefront_per_row_multipass_kernelILi256ELi4ELi8ELi32E21rocsparse_complex_numIfEEEv20rocsparse_direction_iiiiii21rocsparse_index_base_PKT3_PKiS9_S4_PS5_PiSB_,"axG",@progbits,_ZN9rocsparseL44csr2gebsr_wavefront_per_row_multipass_kernelILi256ELi4ELi8ELi32E21rocsparse_complex_numIfEEEv20rocsparse_direction_iiiiii21rocsparse_index_base_PKT3_PKiS9_S4_PS5_PiSB_,comdat
.Lfunc_end135:
	.size	_ZN9rocsparseL44csr2gebsr_wavefront_per_row_multipass_kernelILi256ELi4ELi8ELi32E21rocsparse_complex_numIfEEEv20rocsparse_direction_iiiiii21rocsparse_index_base_PKT3_PKiS9_S4_PS5_PiSB_, .Lfunc_end135-_ZN9rocsparseL44csr2gebsr_wavefront_per_row_multipass_kernelILi256ELi4ELi8ELi32E21rocsparse_complex_numIfEEEv20rocsparse_direction_iiiiii21rocsparse_index_base_PKT3_PKiS9_S4_PS5_PiSB_
                                        ; -- End function
	.section	.AMDGPU.csdata,"",@progbits
; Kernel info:
; codeLenInByte = 1184
; NumSgprs: 32
; NumVgprs: 30
; NumAgprs: 0
; TotalNumVgprs: 30
; ScratchSize: 0
; MemoryBound: 0
; FloatMode: 240
; IeeeMode: 1
; LDSByteSize: 2056 bytes/workgroup (compile time only)
; SGPRBlocks: 3
; VGPRBlocks: 3
; NumSGPRsForWavesPerEU: 32
; NumVGPRsForWavesPerEU: 30
; AccumOffset: 32
; Occupancy: 8
; WaveLimiterHint : 0
; COMPUTE_PGM_RSRC2:SCRATCH_EN: 0
; COMPUTE_PGM_RSRC2:USER_SGPR: 2
; COMPUTE_PGM_RSRC2:TRAP_HANDLER: 0
; COMPUTE_PGM_RSRC2:TGID_X_EN: 1
; COMPUTE_PGM_RSRC2:TGID_Y_EN: 0
; COMPUTE_PGM_RSRC2:TGID_Z_EN: 0
; COMPUTE_PGM_RSRC2:TIDIG_COMP_CNT: 0
; COMPUTE_PGM_RSRC3_GFX90A:ACCUM_OFFSET: 7
; COMPUTE_PGM_RSRC3_GFX90A:TG_SPLIT: 0
	.section	.text._ZN9rocsparseL44csr2gebsr_wavefront_per_row_multipass_kernelILi256ELi4ELi16ELi64E21rocsparse_complex_numIfEEEv20rocsparse_direction_iiiiii21rocsparse_index_base_PKT3_PKiS9_S4_PS5_PiSB_,"axG",@progbits,_ZN9rocsparseL44csr2gebsr_wavefront_per_row_multipass_kernelILi256ELi4ELi16ELi64E21rocsparse_complex_numIfEEEv20rocsparse_direction_iiiiii21rocsparse_index_base_PKT3_PKiS9_S4_PS5_PiSB_,comdat
	.globl	_ZN9rocsparseL44csr2gebsr_wavefront_per_row_multipass_kernelILi256ELi4ELi16ELi64E21rocsparse_complex_numIfEEEv20rocsparse_direction_iiiiii21rocsparse_index_base_PKT3_PKiS9_S4_PS5_PiSB_ ; -- Begin function _ZN9rocsparseL44csr2gebsr_wavefront_per_row_multipass_kernelILi256ELi4ELi16ELi64E21rocsparse_complex_numIfEEEv20rocsparse_direction_iiiiii21rocsparse_index_base_PKT3_PKiS9_S4_PS5_PiSB_
	.p2align	8
	.type	_ZN9rocsparseL44csr2gebsr_wavefront_per_row_multipass_kernelILi256ELi4ELi16ELi64E21rocsparse_complex_numIfEEEv20rocsparse_direction_iiiiii21rocsparse_index_base_PKT3_PKiS9_S4_PS5_PiSB_,@function
_ZN9rocsparseL44csr2gebsr_wavefront_per_row_multipass_kernelILi256ELi4ELi16ELi64E21rocsparse_complex_numIfEEEv20rocsparse_direction_iiiiii21rocsparse_index_base_PKT3_PKiS9_S4_PS5_PiSB_: ; @_ZN9rocsparseL44csr2gebsr_wavefront_per_row_multipass_kernelILi256ELi4ELi16ELi64E21rocsparse_complex_numIfEEEv20rocsparse_direction_iiiiii21rocsparse_index_base_PKT3_PKiS9_S4_PS5_PiSB_
; %bb.0:
	s_load_dwordx2 s[14:15], s[0:1], 0x0
	s_load_dwordx4 s[4:7], s[0:1], 0xc
	s_load_dword s22, s[0:1], 0x1c
	s_load_dwordx2 s[8:9], s[0:1], 0x28
	v_lshrrev_b32_e32 v12, 6, v0
	v_bfe_u32 v6, v0, 4, 2
	v_lshl_or_b32 v4, s2, 2, v12
	s_waitcnt lgkmcnt(0)
	v_mad_u64_u32 v[2:3], s[2:3], v4, s6, v[6:7]
	v_cmp_gt_i32_e64 s[2:3], s15, v2
	v_cmp_gt_i32_e32 vcc, s6, v6
	s_and_b64 s[2:3], vcc, s[2:3]
	v_mov_b32_e32 v13, 0
	v_mov_b32_e32 v8, 0
	s_and_saveexec_b64 s[10:11], s[2:3]
	s_cbranch_execz .LBB136_2
; %bb.1:
	v_ashrrev_i32_e32 v3, 31, v2
	v_lshl_add_u64 v[8:9], v[2:3], 2, s[8:9]
	global_load_dword v1, v[8:9], off
	s_waitcnt vmcnt(0)
	v_subrev_u32_e32 v8, s22, v1
.LBB136_2:
	s_or_b64 exec, exec, s[10:11]
	s_and_saveexec_b64 s[10:11], s[2:3]
	s_cbranch_execz .LBB136_4
; %bb.3:
	v_ashrrev_i32_e32 v3, 31, v2
	v_lshl_add_u64 v[2:3], v[2:3], 2, s[8:9]
	global_load_dword v1, v[2:3], off offset:4
	s_waitcnt vmcnt(0)
	v_subrev_u32_e32 v13, s22, v1
.LBB136_4:
	s_or_b64 exec, exec, s[10:11]
	s_load_dword s23, s[0:1], 0x38
	v_cmp_gt_i32_e64 s[2:3], s4, v4
	v_mov_b32_e32 v2, 0
	s_and_saveexec_b64 s[8:9], s[2:3]
	s_cbranch_execz .LBB136_6
; %bb.5:
	s_load_dwordx2 s[2:3], s[0:1], 0x48
	v_ashrrev_i32_e32 v5, 31, v4
	s_waitcnt lgkmcnt(0)
	v_lshl_add_u64 v[2:3], v[4:5], 2, s[2:3]
	global_load_dword v1, v[2:3], off
	s_waitcnt vmcnt(0)
	v_subrev_u32_e32 v2, s23, v1
.LBB136_6:
	s_or_b64 exec, exec, s[8:9]
	s_cmp_lt_i32 s5, 1
	s_cbranch_scc1 .LBB136_21
; %bb.7:
	v_and_b32_e32 v4, 15, v0
	s_load_dwordx2 s[2:3], s[0:1], 0x20
	s_load_dwordx2 s[8:9], s[0:1], 0x50
	s_load_dwordx2 s[16:17], s[0:1], 0x40
	s_load_dwordx2 s[10:11], s[0:1], 0x30
	v_cmp_gt_u32_e64 s[0:1], s7, v4
	s_and_b64 s[12:13], vcc, s[0:1]
	s_cmp_eq_u32 s14, 0
	s_cselect_b64 vcc, -1, 0
	s_abs_i32 s4, s7
	v_cvt_f32_u32_e32 v9, s4
	v_and_b32_e32 v0, 0xc0, v0
	v_lshl_or_b32 v14, v6, 4, v0
	v_mbcnt_lo_u32_b32 v0, -1, 0
	v_rcp_iflag_f32_e32 v9, v9
	v_mbcnt_hi_u32_b32 v0, -1, v0
	v_lshlrev_b32_e32 v3, 2, v0
	v_mov_b32_e32 v5, 0
	v_or_b32_e32 v15, 60, v3
	v_or_b32_e32 v0, v14, v4
	;; [unrolled: 1-line block ×3, first 2 shown]
	v_mul_f32_e32 v3, 0x4f7ffffe, v9
	v_lshlrev_b32_e32 v16, 3, v0
	v_mul_lo_u32 v0, v4, s6
	v_mov_b32_e32 v1, v5
	v_lshlrev_b32_e32 v10, 3, v6
	v_mul_lo_u32 v6, v6, s7
	v_cvt_u32_f32_e32 v3, v3
	s_waitcnt lgkmcnt(0)
	v_lshl_add_u64 v[0:1], v[0:1], 3, s[16:17]
	v_mov_b32_e32 v11, v5
	v_ashrrev_i32_e32 v7, 31, v6
	s_ashr_i32 s24, s7, 31
	v_lshl_add_u64 v[0:1], v[0:1], 0, v[10:11]
	v_lshl_add_u64 v[6:7], v[6:7], 3, s[16:17]
	v_lshlrev_b32_e32 v10, 3, v4
	s_mul_hi_u32 s0, s7, s6
	s_mul_i32 s1, s24, s6
	v_lshl_add_u64 v[6:7], v[6:7], 0, v[10:11]
	s_add_i32 s25, s0, s1
	s_sub_i32 s0, 0, s4
	v_cndmask_b32_e32 v0, v0, v6, vcc
	v_mul_lo_u32 v6, s0, v3
	v_mul_hi_u32 v6, v3, v6
	s_mul_i32 s6, s7, s6
	v_cndmask_b32_e32 v1, v1, v7, vcc
	v_add_u32_e32 v18, v3, v6
	s_mov_b64 s[14:15], 0
	v_mov_b32_e32 v6, v5
	v_mov_b32_e32 v7, v5
	s_mov_b64 s[16:17], 0x80
	v_mov_b32_e32 v19, 1
	v_mov_b32_e32 v3, v5
	s_branch .LBB136_10
.LBB136_8:                              ;   in Loop: Header=BB136_10 Depth=1
	s_or_b64 exec, exec, s[18:19]
	v_mov_b32_e32 v9, 1
.LBB136_9:                              ;   in Loop: Header=BB136_10 Depth=1
	s_or_b64 exec, exec, s[0:1]
	v_mov_b32_dpp v3, v20 row_shr:1 row_mask:0xf bank_mask:0xf
	v_min_i32_e32 v3, v3, v20
	v_add_u32_e32 v2, v9, v2
	s_waitcnt lgkmcnt(0)
	v_mov_b32_dpp v10, v3 row_shr:2 row_mask:0xf bank_mask:0xf
	v_min_i32_e32 v3, v10, v3
	s_nop 1
	v_mov_b32_dpp v10, v3 row_shr:4 row_mask:0xf bank_mask:0xe
	v_min_i32_e32 v3, v10, v3
	s_nop 1
	;; [unrolled: 3-line block ×3, first 2 shown]
	v_mov_b32_dpp v10, v3 row_bcast:15 row_mask:0xa bank_mask:0xf
	v_min_i32_e32 v3, v10, v3
	s_nop 1
	v_mov_b32_dpp v10, v3 row_bcast:31 row_mask:0xc bank_mask:0xf
	v_min_i32_e32 v3, v10, v3
	ds_bpermute_b32 v3, v17, v3
	s_waitcnt lgkmcnt(0)
	v_cmp_le_i32_e32 vcc, s5, v3
	s_or_b64 s[14:15], vcc, s[14:15]
	s_andn2_b64 exec, exec, s[14:15]
	s_cbranch_execz .LBB136_21
.LBB136_10:                             ; =>This Loop Header: Depth=1
                                        ;     Child Loop BB136_13 Depth 2
	v_add_u32_e32 v21, v8, v4
	v_cmp_lt_i32_e32 vcc, v21, v13
	v_mov_b32_e32 v20, s5
	v_mov_b32_e32 v23, v13
	ds_write_b8 v12, v5 offset:2048
	ds_write_b64 v16, v[6:7]
	s_waitcnt lgkmcnt(0)
	s_and_saveexec_b64 s[18:19], vcc
	s_cbranch_execz .LBB136_18
; %bb.11:                               ;   in Loop: Header=BB136_10 Depth=1
	v_ashrrev_i32_e32 v9, 31, v8
	v_lshl_add_u64 v[10:11], v[4:5], 0, v[8:9]
	v_mul_lo_u32 v22, v3, s7
	v_lshl_add_u64 v[8:9], v[10:11], 2, s[10:11]
	v_lshl_add_u64 v[10:11], v[10:11], 3, s[2:3]
	s_mov_b64 s[20:21], 0
	v_mov_b32_e32 v20, s5
	v_mov_b32_e32 v23, v13
	s_branch .LBB136_13
.LBB136_12:                             ;   in Loop: Header=BB136_13 Depth=2
	s_or_b64 exec, exec, s[0:1]
	v_add_u32_e32 v21, 16, v21
	v_cmp_ge_i32_e64 s[0:1], v21, v13
	s_xor_b64 s[26:27], vcc, -1
	s_or_b64 s[0:1], s[26:27], s[0:1]
	s_and_b64 s[0:1], exec, s[0:1]
	v_lshl_add_u64 v[8:9], v[8:9], 0, 64
	s_or_b64 s[20:21], s[0:1], s[20:21]
	v_lshl_add_u64 v[10:11], v[10:11], 0, s[16:17]
	s_andn2_b64 exec, exec, s[20:21]
	s_cbranch_execz .LBB136_17
.LBB136_13:                             ;   Parent Loop BB136_10 Depth=1
                                        ; =>  This Inner Loop Header: Depth=2
	global_load_dword v24, v[8:9], off
	s_waitcnt vmcnt(0)
	v_subrev_u32_e32 v24, s22, v24
	v_sub_u32_e32 v26, 0, v24
	v_max_i32_e32 v26, v24, v26
	v_mul_hi_u32 v27, v26, v18
	v_mul_lo_u32 v28, v27, s4
	v_sub_u32_e32 v26, v26, v28
	v_add_u32_e32 v29, 1, v27
	v_cmp_le_u32_e32 vcc, s4, v26
	v_subrev_u32_e32 v28, s4, v26
	v_ashrrev_i32_e32 v25, 31, v24
	v_cndmask_b32_e32 v27, v27, v29, vcc
	v_cndmask_b32_e32 v26, v26, v28, vcc
	v_add_u32_e32 v28, 1, v27
	v_cmp_le_u32_e32 vcc, s4, v26
	v_xor_b32_e32 v25, s24, v25
	s_nop 0
	v_cndmask_b32_e32 v26, v27, v28, vcc
	v_xor_b32_e32 v26, v26, v25
	v_sub_u32_e32 v26, v26, v25
	v_cmp_eq_u32_e32 vcc, v26, v3
	v_cmp_ne_u32_e64 s[0:1], v26, v3
	v_mov_b32_e32 v25, v23
	s_and_saveexec_b64 s[26:27], s[0:1]
	s_xor_b64 s[0:1], exec, s[26:27]
; %bb.14:                               ;   in Loop: Header=BB136_13 Depth=2
	v_min_i32_e32 v20, v26, v20
                                        ; implicit-def: $vgpr24
                                        ; implicit-def: $vgpr25
; %bb.15:                               ;   in Loop: Header=BB136_13 Depth=2
	s_or_saveexec_b64 s[0:1], s[0:1]
	v_mov_b32_e32 v23, v21
	s_xor_b64 exec, exec, s[0:1]
	s_cbranch_execz .LBB136_12
; %bb.16:                               ;   in Loop: Header=BB136_13 Depth=2
	global_load_dwordx2 v[26:27], v[10:11], off
	v_sub_u32_e32 v23, v24, v22
	v_add_lshl_u32 v23, v14, v23, 3
	ds_write_b8 v12, v19 offset:2048
	s_waitcnt vmcnt(0)
	ds_write_b64 v23, v[26:27]
	v_mov_b32_e32 v23, v25
	s_branch .LBB136_12
.LBB136_17:                             ;   in Loop: Header=BB136_10 Depth=1
	s_or_b64 exec, exec, s[20:21]
.LBB136_18:                             ;   in Loop: Header=BB136_10 Depth=1
	s_or_b64 exec, exec, s[18:19]
	v_mov_b32_dpp v8, v23 row_shr:1 row_mask:0xf bank_mask:0xf
	v_min_i32_e32 v8, v8, v23
	s_waitcnt lgkmcnt(0)
	s_nop 0
	v_mov_b32_dpp v9, v8 row_shr:2 row_mask:0xf bank_mask:0xf
	v_min_i32_e32 v8, v9, v8
	s_nop 1
	v_mov_b32_dpp v9, v8 row_shr:4 row_mask:0xf bank_mask:0xe
	v_min_i32_e32 v8, v9, v8
	ds_read_u8 v9, v12 offset:2048
	s_waitcnt lgkmcnt(0)
	v_and_b32_e32 v9, 1, v9
	v_mov_b32_dpp v10, v8 row_shr:8 row_mask:0xf bank_mask:0xc
	v_min_i32_e32 v8, v10, v8
	ds_bpermute_b32 v8, v15, v8
	v_cmp_eq_u32_e32 vcc, 1, v9
	v_mov_b32_e32 v9, 0
	s_and_saveexec_b64 s[0:1], vcc
	s_cbranch_execz .LBB136_9
; %bb.19:                               ;   in Loop: Header=BB136_10 Depth=1
	v_add_u32_e32 v9, s23, v3
	v_ashrrev_i32_e32 v3, 31, v2
	v_lshl_add_u64 v[10:11], v[2:3], 2, s[8:9]
	global_store_dword v[10:11], v9, off
	s_and_saveexec_b64 s[18:19], s[12:13]
	s_cbranch_execz .LBB136_8
; %bb.20:                               ;   in Loop: Header=BB136_10 Depth=1
	ds_read_b64 v[10:11], v16
	v_mul_lo_u32 v9, s25, v2
	v_mul_lo_u32 v3, s6, v3
	v_mad_u64_u32 v[22:23], s[20:21], s6, v2, 0
	v_add3_u32 v23, v23, v3, v9
	v_lshl_add_u64 v[22:23], v[22:23], 3, v[0:1]
	s_waitcnt lgkmcnt(0)
	global_store_dwordx2 v[22:23], v[10:11], off
	s_branch .LBB136_8
.LBB136_21:
	s_endpgm
	.section	.rodata,"a",@progbits
	.p2align	6, 0x0
	.amdhsa_kernel _ZN9rocsparseL44csr2gebsr_wavefront_per_row_multipass_kernelILi256ELi4ELi16ELi64E21rocsparse_complex_numIfEEEv20rocsparse_direction_iiiiii21rocsparse_index_base_PKT3_PKiS9_S4_PS5_PiSB_
		.amdhsa_group_segment_fixed_size 2052
		.amdhsa_private_segment_fixed_size 0
		.amdhsa_kernarg_size 88
		.amdhsa_user_sgpr_count 2
		.amdhsa_user_sgpr_dispatch_ptr 0
		.amdhsa_user_sgpr_queue_ptr 0
		.amdhsa_user_sgpr_kernarg_segment_ptr 1
		.amdhsa_user_sgpr_dispatch_id 0
		.amdhsa_user_sgpr_kernarg_preload_length 0
		.amdhsa_user_sgpr_kernarg_preload_offset 0
		.amdhsa_user_sgpr_private_segment_size 0
		.amdhsa_uses_dynamic_stack 0
		.amdhsa_enable_private_segment 0
		.amdhsa_system_sgpr_workgroup_id_x 1
		.amdhsa_system_sgpr_workgroup_id_y 0
		.amdhsa_system_sgpr_workgroup_id_z 0
		.amdhsa_system_sgpr_workgroup_info 0
		.amdhsa_system_vgpr_workitem_id 0
		.amdhsa_next_free_vgpr 30
		.amdhsa_next_free_sgpr 28
		.amdhsa_accum_offset 32
		.amdhsa_reserve_vcc 1
		.amdhsa_float_round_mode_32 0
		.amdhsa_float_round_mode_16_64 0
		.amdhsa_float_denorm_mode_32 3
		.amdhsa_float_denorm_mode_16_64 3
		.amdhsa_dx10_clamp 1
		.amdhsa_ieee_mode 1
		.amdhsa_fp16_overflow 0
		.amdhsa_tg_split 0
		.amdhsa_exception_fp_ieee_invalid_op 0
		.amdhsa_exception_fp_denorm_src 0
		.amdhsa_exception_fp_ieee_div_zero 0
		.amdhsa_exception_fp_ieee_overflow 0
		.amdhsa_exception_fp_ieee_underflow 0
		.amdhsa_exception_fp_ieee_inexact 0
		.amdhsa_exception_int_div_zero 0
	.end_amdhsa_kernel
	.section	.text._ZN9rocsparseL44csr2gebsr_wavefront_per_row_multipass_kernelILi256ELi4ELi16ELi64E21rocsparse_complex_numIfEEEv20rocsparse_direction_iiiiii21rocsparse_index_base_PKT3_PKiS9_S4_PS5_PiSB_,"axG",@progbits,_ZN9rocsparseL44csr2gebsr_wavefront_per_row_multipass_kernelILi256ELi4ELi16ELi64E21rocsparse_complex_numIfEEEv20rocsparse_direction_iiiiii21rocsparse_index_base_PKT3_PKiS9_S4_PS5_PiSB_,comdat
.Lfunc_end136:
	.size	_ZN9rocsparseL44csr2gebsr_wavefront_per_row_multipass_kernelILi256ELi4ELi16ELi64E21rocsparse_complex_numIfEEEv20rocsparse_direction_iiiiii21rocsparse_index_base_PKT3_PKiS9_S4_PS5_PiSB_, .Lfunc_end136-_ZN9rocsparseL44csr2gebsr_wavefront_per_row_multipass_kernelILi256ELi4ELi16ELi64E21rocsparse_complex_numIfEEEv20rocsparse_direction_iiiiii21rocsparse_index_base_PKT3_PKiS9_S4_PS5_PiSB_
                                        ; -- End function
	.section	.AMDGPU.csdata,"",@progbits
; Kernel info:
; codeLenInByte = 1228
; NumSgprs: 34
; NumVgprs: 30
; NumAgprs: 0
; TotalNumVgprs: 30
; ScratchSize: 0
; MemoryBound: 0
; FloatMode: 240
; IeeeMode: 1
; LDSByteSize: 2052 bytes/workgroup (compile time only)
; SGPRBlocks: 4
; VGPRBlocks: 3
; NumSGPRsForWavesPerEU: 34
; NumVGPRsForWavesPerEU: 30
; AccumOffset: 32
; Occupancy: 8
; WaveLimiterHint : 0
; COMPUTE_PGM_RSRC2:SCRATCH_EN: 0
; COMPUTE_PGM_RSRC2:USER_SGPR: 2
; COMPUTE_PGM_RSRC2:TRAP_HANDLER: 0
; COMPUTE_PGM_RSRC2:TGID_X_EN: 1
; COMPUTE_PGM_RSRC2:TGID_Y_EN: 0
; COMPUTE_PGM_RSRC2:TGID_Z_EN: 0
; COMPUTE_PGM_RSRC2:TIDIG_COMP_CNT: 0
; COMPUTE_PGM_RSRC3_GFX90A:ACCUM_OFFSET: 7
; COMPUTE_PGM_RSRC3_GFX90A:TG_SPLIT: 0
	.section	.text._ZN9rocsparseL44csr2gebsr_wavefront_per_row_multipass_kernelILi256ELi4ELi16ELi32E21rocsparse_complex_numIfEEEv20rocsparse_direction_iiiiii21rocsparse_index_base_PKT3_PKiS9_S4_PS5_PiSB_,"axG",@progbits,_ZN9rocsparseL44csr2gebsr_wavefront_per_row_multipass_kernelILi256ELi4ELi16ELi32E21rocsparse_complex_numIfEEEv20rocsparse_direction_iiiiii21rocsparse_index_base_PKT3_PKiS9_S4_PS5_PiSB_,comdat
	.globl	_ZN9rocsparseL44csr2gebsr_wavefront_per_row_multipass_kernelILi256ELi4ELi16ELi32E21rocsparse_complex_numIfEEEv20rocsparse_direction_iiiiii21rocsparse_index_base_PKT3_PKiS9_S4_PS5_PiSB_ ; -- Begin function _ZN9rocsparseL44csr2gebsr_wavefront_per_row_multipass_kernelILi256ELi4ELi16ELi32E21rocsparse_complex_numIfEEEv20rocsparse_direction_iiiiii21rocsparse_index_base_PKT3_PKiS9_S4_PS5_PiSB_
	.p2align	8
	.type	_ZN9rocsparseL44csr2gebsr_wavefront_per_row_multipass_kernelILi256ELi4ELi16ELi32E21rocsparse_complex_numIfEEEv20rocsparse_direction_iiiiii21rocsparse_index_base_PKT3_PKiS9_S4_PS5_PiSB_,@function
_ZN9rocsparseL44csr2gebsr_wavefront_per_row_multipass_kernelILi256ELi4ELi16ELi32E21rocsparse_complex_numIfEEEv20rocsparse_direction_iiiiii21rocsparse_index_base_PKT3_PKiS9_S4_PS5_PiSB_: ; @_ZN9rocsparseL44csr2gebsr_wavefront_per_row_multipass_kernelILi256ELi4ELi16ELi32E21rocsparse_complex_numIfEEEv20rocsparse_direction_iiiiii21rocsparse_index_base_PKT3_PKiS9_S4_PS5_PiSB_
; %bb.0:
	s_load_dwordx2 s[4:5], s[0:1], 0x0
	s_load_dwordx4 s[8:11], s[0:1], 0xc
	s_load_dword s24, s[0:1], 0x1c
	s_load_dwordx2 s[6:7], s[0:1], 0x28
	v_lshrrev_b32_e32 v18, 5, v0
	v_bfe_u32 v6, v0, 3, 2
	v_lshl_or_b32 v4, s2, 3, v18
	s_waitcnt lgkmcnt(0)
	v_mad_u64_u32 v[2:3], s[2:3], v4, s10, v[6:7]
	v_cmp_gt_i32_e32 vcc, s5, v2
	v_cmp_gt_i32_e64 s[2:3], s10, v6
	s_and_b64 s[12:13], s[2:3], vcc
	v_mov_b32_e32 v19, 0
	v_mov_b32_e32 v16, 0
	s_and_saveexec_b64 s[14:15], s[12:13]
	s_cbranch_execz .LBB137_2
; %bb.1:
	v_ashrrev_i32_e32 v3, 31, v2
	v_lshl_add_u64 v[8:9], v[2:3], 2, s[6:7]
	global_load_dword v1, v[8:9], off
	s_waitcnt vmcnt(0)
	v_subrev_u32_e32 v16, s24, v1
.LBB137_2:
	s_or_b64 exec, exec, s[14:15]
	s_and_saveexec_b64 s[14:15], s[12:13]
	s_cbranch_execz .LBB137_4
; %bb.3:
	v_ashrrev_i32_e32 v3, 31, v2
	v_lshl_add_u64 v[2:3], v[2:3], 2, s[6:7]
	global_load_dword v1, v[2:3], off offset:4
	s_waitcnt vmcnt(0)
	v_subrev_u32_e32 v19, s24, v1
.LBB137_4:
	s_or_b64 exec, exec, s[14:15]
	s_load_dword s25, s[0:1], 0x38
	v_cmp_gt_i32_e32 vcc, s8, v4
	v_mov_b32_e32 v2, 0
	s_and_saveexec_b64 s[6:7], vcc
	s_cbranch_execz .LBB137_6
; %bb.5:
	s_load_dwordx2 s[12:13], s[0:1], 0x48
	v_ashrrev_i32_e32 v5, 31, v4
	s_waitcnt lgkmcnt(0)
	v_lshl_add_u64 v[2:3], v[4:5], 2, s[12:13]
	global_load_dword v1, v[2:3], off
	s_waitcnt vmcnt(0)
	v_subrev_u32_e32 v2, s25, v1
.LBB137_6:
	s_or_b64 exec, exec, s[6:7]
	s_cmp_lt_i32 s9, 1
	s_cbranch_scc1 .LBB137_25
; %bb.7:
	v_and_b32_e32 v20, 7, v0
	v_lshlrev_b32_e32 v0, 6, v18
	v_lshl_or_b32 v21, v6, 4, v0
	v_mbcnt_lo_u32_b32 v0, -1, 0
	v_mbcnt_hi_u32_b32 v0, -1, v0
	s_cmp_eq_u32 s4, 0
	v_lshlrev_b32_e32 v3, 2, v0
	s_cselect_b64 vcc, -1, 0
	s_abs_i32 s28, s11
	v_or_b32_e32 v22, 28, v3
	v_or_b32_e32 v23, 0x7c, v3
	v_cvt_f32_u32_e32 v3, s28
	s_load_dwordx2 s[6:7], s[0:1], 0x20
	s_load_dwordx2 s[12:13], s[0:1], 0x50
	;; [unrolled: 1-line block ×4, first 2 shown]
	s_ashr_i32 s8, s11, 31
	s_mul_hi_u32 s0, s11, s10
	v_rcp_iflag_f32_e32 v3, v3
	s_mul_i32 s1, s8, s10
	v_lshlrev_b32_e32 v0, 3, v6
	v_mul_lo_u32 v6, v6, s11
	v_mul_f32_e32 v3, 0x4f7ffffe, v3
	v_cvt_u32_f32_e32 v3, v3
	v_mov_b32_e32 v1, 0
	s_add_i32 s26, s0, s1
	v_ashrrev_i32_e32 v7, 31, v6
	v_cmp_gt_u32_e64 s[0:1], s11, v20
	v_or_b32_e32 v8, v21, v20
	s_waitcnt lgkmcnt(0)
	v_lshl_add_u64 v[4:5], s[16:17], 0, v[0:1]
	v_lshl_add_u64 v[6:7], v[6:7], 3, s[16:17]
	s_and_b64 s[16:17], s[0:1], s[2:3]
	s_sub_i32 s0, 0, s28
	v_lshlrev_b32_e32 v0, 3, v20
	v_lshlrev_b32_e32 v24, 3, v8
	v_or_b32_e32 v8, 8, v20
	v_mul_lo_u32 v10, s0, v3
	v_lshl_add_u64 v[6:7], v[6:7], 0, v[0:1]
	v_mul_lo_u32 v0, v20, s10
	v_cmp_gt_u32_e64 s[4:5], s11, v8
	v_mul_hi_u32 v10, v3, v10
	s_mul_i32 s27, s11, s10
	v_lshl_add_u32 v8, s10, 3, v0
	v_mov_b32_e32 v9, v1
	s_and_b64 s[4:5], s[2:3], s[4:5]
	v_add_u32_e32 v25, v3, v10
	v_or_b32_e32 v26, -8, v20
	s_mov_b64 s[18:19], 0
	v_mov_b32_e32 v10, v1
	v_mov_b32_e32 v11, v1
	;; [unrolled: 1-line block ×4, first 2 shown]
	s_branch .LBB137_10
.LBB137_8:                              ;   in Loop: Header=BB137_10 Depth=1
	s_or_b64 exec, exec, s[0:1]
	v_mov_b32_e32 v12, 1
.LBB137_9:                              ;   in Loop: Header=BB137_10 Depth=1
	s_or_b64 exec, exec, s[2:3]
	v_mov_b32_dpp v3, v28 row_shr:1 row_mask:0xf bank_mask:0xf
	v_min_i32_e32 v3, v3, v28
	v_add_u32_e32 v2, v12, v2
	s_waitcnt lgkmcnt(0)
	v_mov_b32_dpp v13, v3 row_shr:2 row_mask:0xf bank_mask:0xf
	v_min_i32_e32 v3, v13, v3
	s_nop 1
	v_mov_b32_dpp v13, v3 row_shr:4 row_mask:0xf bank_mask:0xe
	v_min_i32_e32 v3, v13, v3
	s_nop 1
	;; [unrolled: 3-line block ×3, first 2 shown]
	v_mov_b32_dpp v13, v3 row_bcast:15 row_mask:0xa bank_mask:0xf
	v_min_i32_e32 v3, v13, v3
	ds_bpermute_b32 v3, v23, v3
	s_waitcnt lgkmcnt(0)
	v_cmp_le_i32_e64 s[0:1], s9, v3
	s_or_b64 s[18:19], s[0:1], s[18:19]
	s_andn2_b64 exec, exec, s[18:19]
	s_cbranch_execz .LBB137_25
.LBB137_10:                             ; =>This Loop Header: Depth=1
                                        ;     Child Loop BB137_11 Depth 2
                                        ;     Child Loop BB137_15 Depth 2
	s_mov_b64 s[2:3], 0
	v_mov_b32_e32 v12, v24
	v_mov_b32_e32 v13, v26
	ds_write_b8 v18, v1 offset:4096
.LBB137_11:                             ;   Parent Loop BB137_10 Depth=1
                                        ; =>  This Inner Loop Header: Depth=2
	v_add_co_u32_e64 v13, s[0:1], 8, v13
	s_xor_b64 s[0:1], s[0:1], -1
	s_and_b64 s[0:1], exec, s[0:1]
	ds_write_b64 v12, v[10:11]
	s_or_b64 s[2:3], s[0:1], s[2:3]
	v_add_u32_e32 v12, 64, v12
	s_andn2_b64 exec, exec, s[2:3]
	s_cbranch_execnz .LBB137_11
; %bb.12:                               ;   in Loop: Header=BB137_10 Depth=1
	s_or_b64 exec, exec, s[2:3]
	v_add_u32_e32 v12, v16, v20
	v_cmp_lt_i32_e64 s[0:1], v12, v19
	v_mov_b32_e32 v28, s9
	v_mov_b32_e32 v13, v19
	s_waitcnt lgkmcnt(0)
	s_and_saveexec_b64 s[20:21], s[0:1]
	s_cbranch_execz .LBB137_20
; %bb.13:                               ;   in Loop: Header=BB137_10 Depth=1
	v_ashrrev_i32_e32 v13, 31, v12
	v_mul_lo_u32 v29, v3, s11
	v_lshl_add_u64 v[14:15], v[12:13], 2, s[14:15]
	v_lshl_add_u64 v[16:17], v[12:13], 3, s[6:7]
	s_mov_b64 s[22:23], 0
	v_mov_b32_e32 v28, s9
	v_mov_b32_e32 v13, v19
	s_branch .LBB137_15
.LBB137_14:                             ;   in Loop: Header=BB137_15 Depth=2
	s_or_b64 exec, exec, s[2:3]
	v_add_u32_e32 v12, 8, v12
	v_cmp_ge_i32_e64 s[2:3], v12, v19
	s_xor_b64 s[0:1], s[0:1], -1
	s_or_b64 s[0:1], s[0:1], s[2:3]
	s_and_b64 s[0:1], exec, s[0:1]
	v_lshl_add_u64 v[14:15], v[14:15], 0, 32
	s_or_b64 s[22:23], s[0:1], s[22:23]
	v_lshl_add_u64 v[16:17], v[16:17], 0, 64
	s_andn2_b64 exec, exec, s[22:23]
	s_cbranch_execz .LBB137_19
.LBB137_15:                             ;   Parent Loop BB137_10 Depth=1
                                        ; =>  This Inner Loop Header: Depth=2
	global_load_dword v30, v[14:15], off
	s_waitcnt vmcnt(0)
	v_subrev_u32_e32 v30, s24, v30
	v_sub_u32_e32 v32, 0, v30
	v_max_i32_e32 v32, v30, v32
	v_mul_hi_u32 v33, v32, v25
	v_mul_lo_u32 v34, v33, s28
	v_sub_u32_e32 v32, v32, v34
	v_add_u32_e32 v35, 1, v33
	v_cmp_le_u32_e64 s[0:1], s28, v32
	v_subrev_u32_e32 v34, s28, v32
	v_ashrrev_i32_e32 v31, 31, v30
	v_cndmask_b32_e64 v33, v33, v35, s[0:1]
	v_cndmask_b32_e64 v32, v32, v34, s[0:1]
	v_add_u32_e32 v34, 1, v33
	v_cmp_le_u32_e64 s[0:1], s28, v32
	v_xor_b32_e32 v31, s8, v31
	s_nop 0
	v_cndmask_b32_e64 v32, v33, v34, s[0:1]
	v_xor_b32_e32 v32, v32, v31
	v_sub_u32_e32 v32, v32, v31
	v_cmp_eq_u32_e64 s[0:1], v32, v3
	v_cmp_ne_u32_e64 s[2:3], v32, v3
	v_mov_b32_e32 v31, v13
	s_and_saveexec_b64 s[30:31], s[2:3]
	s_xor_b64 s[2:3], exec, s[30:31]
; %bb.16:                               ;   in Loop: Header=BB137_15 Depth=2
	v_min_i32_e32 v28, v32, v28
                                        ; implicit-def: $vgpr30
                                        ; implicit-def: $vgpr31
; %bb.17:                               ;   in Loop: Header=BB137_15 Depth=2
	s_or_saveexec_b64 s[2:3], s[2:3]
	v_mov_b32_e32 v13, v12
	s_xor_b64 exec, exec, s[2:3]
	s_cbranch_execz .LBB137_14
; %bb.18:                               ;   in Loop: Header=BB137_15 Depth=2
	global_load_dwordx2 v[32:33], v[16:17], off
	v_sub_u32_e32 v13, v30, v29
	v_add_lshl_u32 v13, v21, v13, 3
	ds_write_b8 v18, v27 offset:4096
	s_waitcnt vmcnt(0)
	ds_write_b64 v13, v[32:33]
	v_mov_b32_e32 v13, v31
	s_branch .LBB137_14
.LBB137_19:                             ;   in Loop: Header=BB137_10 Depth=1
	s_or_b64 exec, exec, s[22:23]
.LBB137_20:                             ;   in Loop: Header=BB137_10 Depth=1
	s_or_b64 exec, exec, s[20:21]
	v_mov_b32_dpp v12, v13 row_shr:1 row_mask:0xf bank_mask:0xf
	v_min_i32_e32 v12, v12, v13
	s_waitcnt lgkmcnt(0)
	s_nop 0
	v_mov_b32_dpp v13, v12 row_shr:2 row_mask:0xf bank_mask:0xf
	v_min_i32_e32 v12, v13, v12
	ds_read_u8 v13, v18 offset:4096
	s_nop 0
	v_mov_b32_dpp v14, v12 row_shr:4 row_mask:0xf bank_mask:0xe
	v_min_i32_e32 v12, v14, v12
	ds_bpermute_b32 v16, v22, v12
	s_waitcnt lgkmcnt(1)
	v_and_b32_e32 v12, 1, v13
	v_cmp_eq_u32_e64 s[0:1], 1, v12
	v_mov_b32_e32 v12, 0
	s_and_saveexec_b64 s[2:3], s[0:1]
	s_cbranch_execz .LBB137_9
; %bb.21:                               ;   in Loop: Header=BB137_10 Depth=1
	v_add_u32_e32 v14, s25, v3
	v_ashrrev_i32_e32 v3, 31, v2
	v_lshl_add_u64 v[12:13], v[2:3], 2, s[12:13]
	global_store_dword v[12:13], v14, off
	v_mul_lo_u32 v14, s26, v2
	v_mul_lo_u32 v3, s27, v3
	v_mad_u64_u32 v[12:13], s[0:1], s27, v2, 0
	v_add3_u32 v13, v13, v3, v14
	v_lshlrev_b64 v[14:15], 3, v[12:13]
	v_lshl_add_u64 v[12:13], v[4:5], 0, v[14:15]
	v_lshl_add_u64 v[14:15], v[6:7], 0, v[14:15]
	s_and_saveexec_b64 s[0:1], s[16:17]
	s_cbranch_execz .LBB137_23
; %bb.22:                               ;   in Loop: Header=BB137_10 Depth=1
	ds_read_b64 v[30:31], v24
	v_lshl_add_u64 v[32:33], v[0:1], 3, v[12:13]
	v_cndmask_b32_e32 v33, v33, v15, vcc
	v_cndmask_b32_e32 v32, v32, v14, vcc
	s_waitcnt lgkmcnt(0)
	global_store_dwordx2 v[32:33], v[30:31], off
.LBB137_23:                             ;   in Loop: Header=BB137_10 Depth=1
	s_or_b64 exec, exec, s[0:1]
	s_and_saveexec_b64 s[0:1], s[4:5]
	s_cbranch_execz .LBB137_8
; %bb.24:                               ;   in Loop: Header=BB137_10 Depth=1
	ds_read_b64 v[30:31], v24 offset:64
	v_lshl_add_u64 v[14:15], v[14:15], 0, 64
	v_lshl_add_u64 v[12:13], v[8:9], 3, v[12:13]
	v_cndmask_b32_e32 v13, v13, v15, vcc
	v_cndmask_b32_e32 v12, v12, v14, vcc
	s_waitcnt lgkmcnt(0)
	global_store_dwordx2 v[12:13], v[30:31], off
	s_branch .LBB137_8
.LBB137_25:
	s_endpgm
	.section	.rodata,"a",@progbits
	.p2align	6, 0x0
	.amdhsa_kernel _ZN9rocsparseL44csr2gebsr_wavefront_per_row_multipass_kernelILi256ELi4ELi16ELi32E21rocsparse_complex_numIfEEEv20rocsparse_direction_iiiiii21rocsparse_index_base_PKT3_PKiS9_S4_PS5_PiSB_
		.amdhsa_group_segment_fixed_size 4104
		.amdhsa_private_segment_fixed_size 0
		.amdhsa_kernarg_size 88
		.amdhsa_user_sgpr_count 2
		.amdhsa_user_sgpr_dispatch_ptr 0
		.amdhsa_user_sgpr_queue_ptr 0
		.amdhsa_user_sgpr_kernarg_segment_ptr 1
		.amdhsa_user_sgpr_dispatch_id 0
		.amdhsa_user_sgpr_kernarg_preload_length 0
		.amdhsa_user_sgpr_kernarg_preload_offset 0
		.amdhsa_user_sgpr_private_segment_size 0
		.amdhsa_uses_dynamic_stack 0
		.amdhsa_enable_private_segment 0
		.amdhsa_system_sgpr_workgroup_id_x 1
		.amdhsa_system_sgpr_workgroup_id_y 0
		.amdhsa_system_sgpr_workgroup_id_z 0
		.amdhsa_system_sgpr_workgroup_info 0
		.amdhsa_system_vgpr_workitem_id 0
		.amdhsa_next_free_vgpr 36
		.amdhsa_next_free_sgpr 32
		.amdhsa_accum_offset 36
		.amdhsa_reserve_vcc 1
		.amdhsa_float_round_mode_32 0
		.amdhsa_float_round_mode_16_64 0
		.amdhsa_float_denorm_mode_32 3
		.amdhsa_float_denorm_mode_16_64 3
		.amdhsa_dx10_clamp 1
		.amdhsa_ieee_mode 1
		.amdhsa_fp16_overflow 0
		.amdhsa_tg_split 0
		.amdhsa_exception_fp_ieee_invalid_op 0
		.amdhsa_exception_fp_denorm_src 0
		.amdhsa_exception_fp_ieee_div_zero 0
		.amdhsa_exception_fp_ieee_overflow 0
		.amdhsa_exception_fp_ieee_underflow 0
		.amdhsa_exception_fp_ieee_inexact 0
		.amdhsa_exception_int_div_zero 0
	.end_amdhsa_kernel
	.section	.text._ZN9rocsparseL44csr2gebsr_wavefront_per_row_multipass_kernelILi256ELi4ELi16ELi32E21rocsparse_complex_numIfEEEv20rocsparse_direction_iiiiii21rocsparse_index_base_PKT3_PKiS9_S4_PS5_PiSB_,"axG",@progbits,_ZN9rocsparseL44csr2gebsr_wavefront_per_row_multipass_kernelILi256ELi4ELi16ELi32E21rocsparse_complex_numIfEEEv20rocsparse_direction_iiiiii21rocsparse_index_base_PKT3_PKiS9_S4_PS5_PiSB_,comdat
.Lfunc_end137:
	.size	_ZN9rocsparseL44csr2gebsr_wavefront_per_row_multipass_kernelILi256ELi4ELi16ELi32E21rocsparse_complex_numIfEEEv20rocsparse_direction_iiiiii21rocsparse_index_base_PKT3_PKiS9_S4_PS5_PiSB_, .Lfunc_end137-_ZN9rocsparseL44csr2gebsr_wavefront_per_row_multipass_kernelILi256ELi4ELi16ELi32E21rocsparse_complex_numIfEEEv20rocsparse_direction_iiiiii21rocsparse_index_base_PKT3_PKiS9_S4_PS5_PiSB_
                                        ; -- End function
	.section	.AMDGPU.csdata,"",@progbits
; Kernel info:
; codeLenInByte = 1356
; NumSgprs: 38
; NumVgprs: 36
; NumAgprs: 0
; TotalNumVgprs: 36
; ScratchSize: 0
; MemoryBound: 0
; FloatMode: 240
; IeeeMode: 1
; LDSByteSize: 4104 bytes/workgroup (compile time only)
; SGPRBlocks: 4
; VGPRBlocks: 4
; NumSGPRsForWavesPerEU: 38
; NumVGPRsForWavesPerEU: 36
; AccumOffset: 36
; Occupancy: 8
; WaveLimiterHint : 0
; COMPUTE_PGM_RSRC2:SCRATCH_EN: 0
; COMPUTE_PGM_RSRC2:USER_SGPR: 2
; COMPUTE_PGM_RSRC2:TRAP_HANDLER: 0
; COMPUTE_PGM_RSRC2:TGID_X_EN: 1
; COMPUTE_PGM_RSRC2:TGID_Y_EN: 0
; COMPUTE_PGM_RSRC2:TGID_Z_EN: 0
; COMPUTE_PGM_RSRC2:TIDIG_COMP_CNT: 0
; COMPUTE_PGM_RSRC3_GFX90A:ACCUM_OFFSET: 8
; COMPUTE_PGM_RSRC3_GFX90A:TG_SPLIT: 0
	.section	.text._ZN9rocsparseL44csr2gebsr_wavefront_per_row_multipass_kernelILi256ELi4ELi32ELi64E21rocsparse_complex_numIfEEEv20rocsparse_direction_iiiiii21rocsparse_index_base_PKT3_PKiS9_S4_PS5_PiSB_,"axG",@progbits,_ZN9rocsparseL44csr2gebsr_wavefront_per_row_multipass_kernelILi256ELi4ELi32ELi64E21rocsparse_complex_numIfEEEv20rocsparse_direction_iiiiii21rocsparse_index_base_PKT3_PKiS9_S4_PS5_PiSB_,comdat
	.globl	_ZN9rocsparseL44csr2gebsr_wavefront_per_row_multipass_kernelILi256ELi4ELi32ELi64E21rocsparse_complex_numIfEEEv20rocsparse_direction_iiiiii21rocsparse_index_base_PKT3_PKiS9_S4_PS5_PiSB_ ; -- Begin function _ZN9rocsparseL44csr2gebsr_wavefront_per_row_multipass_kernelILi256ELi4ELi32ELi64E21rocsparse_complex_numIfEEEv20rocsparse_direction_iiiiii21rocsparse_index_base_PKT3_PKiS9_S4_PS5_PiSB_
	.p2align	8
	.type	_ZN9rocsparseL44csr2gebsr_wavefront_per_row_multipass_kernelILi256ELi4ELi32ELi64E21rocsparse_complex_numIfEEEv20rocsparse_direction_iiiiii21rocsparse_index_base_PKT3_PKiS9_S4_PS5_PiSB_,@function
_ZN9rocsparseL44csr2gebsr_wavefront_per_row_multipass_kernelILi256ELi4ELi32ELi64E21rocsparse_complex_numIfEEEv20rocsparse_direction_iiiiii21rocsparse_index_base_PKT3_PKiS9_S4_PS5_PiSB_: ; @_ZN9rocsparseL44csr2gebsr_wavefront_per_row_multipass_kernelILi256ELi4ELi32ELi64E21rocsparse_complex_numIfEEEv20rocsparse_direction_iiiiii21rocsparse_index_base_PKT3_PKiS9_S4_PS5_PiSB_
; %bb.0:
	s_load_dwordx2 s[4:5], s[0:1], 0x0
	s_load_dwordx4 s[8:11], s[0:1], 0xc
	s_load_dword s26, s[0:1], 0x1c
	s_load_dwordx2 s[6:7], s[0:1], 0x28
	v_lshrrev_b32_e32 v18, 6, v0
	v_bfe_u32 v6, v0, 4, 2
	v_lshl_or_b32 v4, s2, 2, v18
	s_waitcnt lgkmcnt(0)
	v_mad_u64_u32 v[2:3], s[2:3], v4, s10, v[6:7]
	v_cmp_gt_i32_e32 vcc, s5, v2
	v_cmp_gt_i32_e64 s[2:3], s10, v6
	s_and_b64 s[12:13], s[2:3], vcc
	v_mov_b32_e32 v19, 0
	v_mov_b32_e32 v16, 0
	s_and_saveexec_b64 s[14:15], s[12:13]
	s_cbranch_execz .LBB138_2
; %bb.1:
	v_ashrrev_i32_e32 v3, 31, v2
	v_lshl_add_u64 v[8:9], v[2:3], 2, s[6:7]
	global_load_dword v1, v[8:9], off
	s_waitcnt vmcnt(0)
	v_subrev_u32_e32 v16, s26, v1
.LBB138_2:
	s_or_b64 exec, exec, s[14:15]
	s_and_saveexec_b64 s[14:15], s[12:13]
	s_cbranch_execz .LBB138_4
; %bb.3:
	v_ashrrev_i32_e32 v3, 31, v2
	v_lshl_add_u64 v[2:3], v[2:3], 2, s[6:7]
	global_load_dword v1, v[2:3], off offset:4
	s_waitcnt vmcnt(0)
	v_subrev_u32_e32 v19, s26, v1
.LBB138_4:
	s_or_b64 exec, exec, s[14:15]
	s_load_dword s27, s[0:1], 0x38
	v_cmp_gt_i32_e32 vcc, s8, v4
	v_mov_b32_e32 v2, 0
	s_and_saveexec_b64 s[6:7], vcc
	s_cbranch_execz .LBB138_6
; %bb.5:
	s_load_dwordx2 s[12:13], s[0:1], 0x48
	v_ashrrev_i32_e32 v5, 31, v4
	s_waitcnt lgkmcnt(0)
	v_lshl_add_u64 v[2:3], v[4:5], 2, s[12:13]
	global_load_dword v1, v[2:3], off
	s_waitcnt vmcnt(0)
	v_subrev_u32_e32 v2, s27, v1
.LBB138_6:
	s_or_b64 exec, exec, s[6:7]
	s_cmp_lt_i32 s9, 1
	s_cbranch_scc1 .LBB138_25
; %bb.7:
	v_and_b32_e32 v20, 15, v0
	v_lshlrev_b32_e32 v0, 7, v18
	v_lshl_or_b32 v21, v6, 5, v0
	v_mbcnt_lo_u32_b32 v0, -1, 0
	v_mbcnt_hi_u32_b32 v0, -1, v0
	s_cmp_eq_u32 s4, 0
	v_lshlrev_b32_e32 v3, 2, v0
	s_cselect_b64 vcc, -1, 0
	s_abs_i32 s30, s11
	v_or_b32_e32 v22, 60, v3
	v_or_b32_e32 v23, 0xfc, v3
	v_cvt_f32_u32_e32 v3, s30
	s_load_dwordx2 s[6:7], s[0:1], 0x20
	s_load_dwordx2 s[12:13], s[0:1], 0x50
	;; [unrolled: 1-line block ×4, first 2 shown]
	s_ashr_i32 s8, s11, 31
	s_mul_hi_u32 s0, s11, s10
	v_rcp_iflag_f32_e32 v3, v3
	s_mul_i32 s1, s8, s10
	v_lshlrev_b32_e32 v0, 3, v6
	v_mul_lo_u32 v6, v6, s11
	v_mul_f32_e32 v3, 0x4f7ffffe, v3
	v_cvt_u32_f32_e32 v3, v3
	v_mov_b32_e32 v1, 0
	s_add_i32 s28, s0, s1
	v_ashrrev_i32_e32 v7, 31, v6
	v_cmp_gt_u32_e64 s[0:1], s11, v20
	v_or_b32_e32 v8, v21, v20
	s_waitcnt lgkmcnt(0)
	v_lshl_add_u64 v[4:5], s[16:17], 0, v[0:1]
	v_lshl_add_u64 v[6:7], v[6:7], 3, s[16:17]
	s_and_b64 s[16:17], s[0:1], s[2:3]
	s_sub_i32 s0, 0, s30
	v_lshlrev_b32_e32 v0, 3, v20
	v_lshlrev_b32_e32 v24, 3, v8
	v_or_b32_e32 v8, 16, v20
	v_mul_lo_u32 v10, s0, v3
	v_lshl_add_u64 v[6:7], v[6:7], 0, v[0:1]
	v_mul_lo_u32 v0, v20, s10
	v_cmp_gt_u32_e64 s[4:5], s11, v8
	v_mul_hi_u32 v10, v3, v10
	s_mul_i32 s29, s11, s10
	v_lshl_add_u32 v8, s10, 4, v0
	v_mov_b32_e32 v9, v1
	s_and_b64 s[4:5], s[2:3], s[4:5]
	v_add_u32_e32 v25, v3, v10
	v_or_b32_e32 v26, -16, v20
	s_mov_b64 s[18:19], 0
	v_mov_b32_e32 v10, v1
	v_mov_b32_e32 v11, v1
	s_mov_b64 s[20:21], 0x80
	v_mov_b32_e32 v27, 1
	v_mov_b32_e32 v3, v1
	s_branch .LBB138_10
.LBB138_8:                              ;   in Loop: Header=BB138_10 Depth=1
	s_or_b64 exec, exec, s[0:1]
	v_mov_b32_e32 v12, 1
.LBB138_9:                              ;   in Loop: Header=BB138_10 Depth=1
	s_or_b64 exec, exec, s[2:3]
	v_mov_b32_dpp v3, v28 row_shr:1 row_mask:0xf bank_mask:0xf
	v_min_i32_e32 v3, v3, v28
	v_add_u32_e32 v2, v12, v2
	s_waitcnt lgkmcnt(0)
	v_mov_b32_dpp v13, v3 row_shr:2 row_mask:0xf bank_mask:0xf
	v_min_i32_e32 v3, v13, v3
	s_nop 1
	v_mov_b32_dpp v13, v3 row_shr:4 row_mask:0xf bank_mask:0xe
	v_min_i32_e32 v3, v13, v3
	s_nop 1
	;; [unrolled: 3-line block ×3, first 2 shown]
	v_mov_b32_dpp v13, v3 row_bcast:15 row_mask:0xa bank_mask:0xf
	v_min_i32_e32 v3, v13, v3
	s_nop 1
	v_mov_b32_dpp v13, v3 row_bcast:31 row_mask:0xc bank_mask:0xf
	v_min_i32_e32 v3, v13, v3
	ds_bpermute_b32 v3, v23, v3
	s_waitcnt lgkmcnt(0)
	v_cmp_le_i32_e64 s[0:1], s9, v3
	s_or_b64 s[18:19], s[0:1], s[18:19]
	s_andn2_b64 exec, exec, s[18:19]
	s_cbranch_execz .LBB138_25
.LBB138_10:                             ; =>This Loop Header: Depth=1
                                        ;     Child Loop BB138_11 Depth 2
                                        ;     Child Loop BB138_15 Depth 2
	s_mov_b64 s[2:3], 0
	v_mov_b32_e32 v12, v24
	v_mov_b32_e32 v13, v26
	ds_write_b8 v18, v1 offset:4096
.LBB138_11:                             ;   Parent Loop BB138_10 Depth=1
                                        ; =>  This Inner Loop Header: Depth=2
	v_add_co_u32_e64 v13, s[0:1], 16, v13
	s_xor_b64 s[0:1], s[0:1], -1
	s_and_b64 s[0:1], exec, s[0:1]
	ds_write_b64 v12, v[10:11]
	s_or_b64 s[2:3], s[0:1], s[2:3]
	v_add_u32_e32 v12, 0x80, v12
	s_andn2_b64 exec, exec, s[2:3]
	s_cbranch_execnz .LBB138_11
; %bb.12:                               ;   in Loop: Header=BB138_10 Depth=1
	s_or_b64 exec, exec, s[2:3]
	v_add_u32_e32 v12, v16, v20
	v_cmp_lt_i32_e64 s[0:1], v12, v19
	v_mov_b32_e32 v28, s9
	v_mov_b32_e32 v13, v19
	s_waitcnt lgkmcnt(0)
	s_and_saveexec_b64 s[22:23], s[0:1]
	s_cbranch_execz .LBB138_20
; %bb.13:                               ;   in Loop: Header=BB138_10 Depth=1
	v_ashrrev_i32_e32 v13, 31, v12
	v_mul_lo_u32 v29, v3, s11
	v_lshl_add_u64 v[14:15], v[12:13], 2, s[14:15]
	v_lshl_add_u64 v[16:17], v[12:13], 3, s[6:7]
	s_mov_b64 s[24:25], 0
	v_mov_b32_e32 v28, s9
	v_mov_b32_e32 v13, v19
	s_branch .LBB138_15
.LBB138_14:                             ;   in Loop: Header=BB138_15 Depth=2
	s_or_b64 exec, exec, s[2:3]
	v_add_u32_e32 v12, 16, v12
	v_cmp_ge_i32_e64 s[2:3], v12, v19
	s_xor_b64 s[0:1], s[0:1], -1
	s_or_b64 s[0:1], s[0:1], s[2:3]
	s_and_b64 s[0:1], exec, s[0:1]
	v_lshl_add_u64 v[14:15], v[14:15], 0, 64
	s_or_b64 s[24:25], s[0:1], s[24:25]
	v_lshl_add_u64 v[16:17], v[16:17], 0, s[20:21]
	s_andn2_b64 exec, exec, s[24:25]
	s_cbranch_execz .LBB138_19
.LBB138_15:                             ;   Parent Loop BB138_10 Depth=1
                                        ; =>  This Inner Loop Header: Depth=2
	global_load_dword v30, v[14:15], off
	s_waitcnt vmcnt(0)
	v_subrev_u32_e32 v30, s26, v30
	v_sub_u32_e32 v32, 0, v30
	v_max_i32_e32 v32, v30, v32
	v_mul_hi_u32 v33, v32, v25
	v_mul_lo_u32 v34, v33, s30
	v_sub_u32_e32 v32, v32, v34
	v_add_u32_e32 v35, 1, v33
	v_cmp_le_u32_e64 s[0:1], s30, v32
	v_subrev_u32_e32 v34, s30, v32
	v_ashrrev_i32_e32 v31, 31, v30
	v_cndmask_b32_e64 v33, v33, v35, s[0:1]
	v_cndmask_b32_e64 v32, v32, v34, s[0:1]
	v_add_u32_e32 v34, 1, v33
	v_cmp_le_u32_e64 s[0:1], s30, v32
	v_xor_b32_e32 v31, s8, v31
	s_nop 0
	v_cndmask_b32_e64 v32, v33, v34, s[0:1]
	v_xor_b32_e32 v32, v32, v31
	v_sub_u32_e32 v32, v32, v31
	v_cmp_eq_u32_e64 s[0:1], v32, v3
	v_cmp_ne_u32_e64 s[2:3], v32, v3
	v_mov_b32_e32 v31, v13
	s_and_saveexec_b64 s[34:35], s[2:3]
	s_xor_b64 s[2:3], exec, s[34:35]
; %bb.16:                               ;   in Loop: Header=BB138_15 Depth=2
	v_min_i32_e32 v28, v32, v28
                                        ; implicit-def: $vgpr30
                                        ; implicit-def: $vgpr31
; %bb.17:                               ;   in Loop: Header=BB138_15 Depth=2
	s_or_saveexec_b64 s[2:3], s[2:3]
	v_mov_b32_e32 v13, v12
	s_xor_b64 exec, exec, s[2:3]
	s_cbranch_execz .LBB138_14
; %bb.18:                               ;   in Loop: Header=BB138_15 Depth=2
	global_load_dwordx2 v[32:33], v[16:17], off
	v_sub_u32_e32 v13, v30, v29
	v_add_lshl_u32 v13, v21, v13, 3
	ds_write_b8 v18, v27 offset:4096
	s_waitcnt vmcnt(0)
	ds_write_b64 v13, v[32:33]
	v_mov_b32_e32 v13, v31
	s_branch .LBB138_14
.LBB138_19:                             ;   in Loop: Header=BB138_10 Depth=1
	s_or_b64 exec, exec, s[24:25]
.LBB138_20:                             ;   in Loop: Header=BB138_10 Depth=1
	s_or_b64 exec, exec, s[22:23]
	v_mov_b32_dpp v12, v13 row_shr:1 row_mask:0xf bank_mask:0xf
	v_min_i32_e32 v12, v12, v13
	s_waitcnt lgkmcnt(0)
	s_nop 0
	v_mov_b32_dpp v13, v12 row_shr:2 row_mask:0xf bank_mask:0xf
	v_min_i32_e32 v12, v13, v12
	s_nop 1
	v_mov_b32_dpp v13, v12 row_shr:4 row_mask:0xf bank_mask:0xe
	v_min_i32_e32 v12, v13, v12
	ds_read_u8 v13, v18 offset:4096
	s_nop 0
	v_mov_b32_dpp v14, v12 row_shr:8 row_mask:0xf bank_mask:0xc
	v_min_i32_e32 v12, v14, v12
	ds_bpermute_b32 v16, v22, v12
	s_waitcnt lgkmcnt(1)
	v_and_b32_e32 v12, 1, v13
	v_cmp_eq_u32_e64 s[0:1], 1, v12
	v_mov_b32_e32 v12, 0
	s_and_saveexec_b64 s[2:3], s[0:1]
	s_cbranch_execz .LBB138_9
; %bb.21:                               ;   in Loop: Header=BB138_10 Depth=1
	v_add_u32_e32 v14, s27, v3
	v_ashrrev_i32_e32 v3, 31, v2
	v_lshl_add_u64 v[12:13], v[2:3], 2, s[12:13]
	global_store_dword v[12:13], v14, off
	v_mul_lo_u32 v14, s28, v2
	v_mul_lo_u32 v3, s29, v3
	v_mad_u64_u32 v[12:13], s[0:1], s29, v2, 0
	v_add3_u32 v13, v13, v3, v14
	v_lshlrev_b64 v[14:15], 3, v[12:13]
	v_lshl_add_u64 v[12:13], v[4:5], 0, v[14:15]
	v_lshl_add_u64 v[14:15], v[6:7], 0, v[14:15]
	s_and_saveexec_b64 s[0:1], s[16:17]
	s_cbranch_execz .LBB138_23
; %bb.22:                               ;   in Loop: Header=BB138_10 Depth=1
	ds_read_b64 v[30:31], v24
	v_lshl_add_u64 v[32:33], v[0:1], 3, v[12:13]
	v_cndmask_b32_e32 v33, v33, v15, vcc
	v_cndmask_b32_e32 v32, v32, v14, vcc
	s_waitcnt lgkmcnt(0)
	global_store_dwordx2 v[32:33], v[30:31], off
.LBB138_23:                             ;   in Loop: Header=BB138_10 Depth=1
	s_or_b64 exec, exec, s[0:1]
	s_and_saveexec_b64 s[0:1], s[4:5]
	s_cbranch_execz .LBB138_8
; %bb.24:                               ;   in Loop: Header=BB138_10 Depth=1
	ds_read_b64 v[30:31], v24 offset:128
	v_lshl_add_u64 v[14:15], v[14:15], 0, s[20:21]
	v_lshl_add_u64 v[12:13], v[8:9], 3, v[12:13]
	v_cndmask_b32_e32 v13, v13, v15, vcc
	v_cndmask_b32_e32 v12, v12, v14, vcc
	s_waitcnt lgkmcnt(0)
	global_store_dwordx2 v[12:13], v[30:31], off
	s_branch .LBB138_8
.LBB138_25:
	s_endpgm
	.section	.rodata,"a",@progbits
	.p2align	6, 0x0
	.amdhsa_kernel _ZN9rocsparseL44csr2gebsr_wavefront_per_row_multipass_kernelILi256ELi4ELi32ELi64E21rocsparse_complex_numIfEEEv20rocsparse_direction_iiiiii21rocsparse_index_base_PKT3_PKiS9_S4_PS5_PiSB_
		.amdhsa_group_segment_fixed_size 4100
		.amdhsa_private_segment_fixed_size 0
		.amdhsa_kernarg_size 88
		.amdhsa_user_sgpr_count 2
		.amdhsa_user_sgpr_dispatch_ptr 0
		.amdhsa_user_sgpr_queue_ptr 0
		.amdhsa_user_sgpr_kernarg_segment_ptr 1
		.amdhsa_user_sgpr_dispatch_id 0
		.amdhsa_user_sgpr_kernarg_preload_length 0
		.amdhsa_user_sgpr_kernarg_preload_offset 0
		.amdhsa_user_sgpr_private_segment_size 0
		.amdhsa_uses_dynamic_stack 0
		.amdhsa_enable_private_segment 0
		.amdhsa_system_sgpr_workgroup_id_x 1
		.amdhsa_system_sgpr_workgroup_id_y 0
		.amdhsa_system_sgpr_workgroup_id_z 0
		.amdhsa_system_sgpr_workgroup_info 0
		.amdhsa_system_vgpr_workitem_id 0
		.amdhsa_next_free_vgpr 36
		.amdhsa_next_free_sgpr 36
		.amdhsa_accum_offset 36
		.amdhsa_reserve_vcc 1
		.amdhsa_float_round_mode_32 0
		.amdhsa_float_round_mode_16_64 0
		.amdhsa_float_denorm_mode_32 3
		.amdhsa_float_denorm_mode_16_64 3
		.amdhsa_dx10_clamp 1
		.amdhsa_ieee_mode 1
		.amdhsa_fp16_overflow 0
		.amdhsa_tg_split 0
		.amdhsa_exception_fp_ieee_invalid_op 0
		.amdhsa_exception_fp_denorm_src 0
		.amdhsa_exception_fp_ieee_div_zero 0
		.amdhsa_exception_fp_ieee_overflow 0
		.amdhsa_exception_fp_ieee_underflow 0
		.amdhsa_exception_fp_ieee_inexact 0
		.amdhsa_exception_int_div_zero 0
	.end_amdhsa_kernel
	.section	.text._ZN9rocsparseL44csr2gebsr_wavefront_per_row_multipass_kernelILi256ELi4ELi32ELi64E21rocsparse_complex_numIfEEEv20rocsparse_direction_iiiiii21rocsparse_index_base_PKT3_PKiS9_S4_PS5_PiSB_,"axG",@progbits,_ZN9rocsparseL44csr2gebsr_wavefront_per_row_multipass_kernelILi256ELi4ELi32ELi64E21rocsparse_complex_numIfEEEv20rocsparse_direction_iiiiii21rocsparse_index_base_PKT3_PKiS9_S4_PS5_PiSB_,comdat
.Lfunc_end138:
	.size	_ZN9rocsparseL44csr2gebsr_wavefront_per_row_multipass_kernelILi256ELi4ELi32ELi64E21rocsparse_complex_numIfEEEv20rocsparse_direction_iiiiii21rocsparse_index_base_PKT3_PKiS9_S4_PS5_PiSB_, .Lfunc_end138-_ZN9rocsparseL44csr2gebsr_wavefront_per_row_multipass_kernelILi256ELi4ELi32ELi64E21rocsparse_complex_numIfEEEv20rocsparse_direction_iiiiii21rocsparse_index_base_PKT3_PKiS9_S4_PS5_PiSB_
                                        ; -- End function
	.section	.AMDGPU.csdata,"",@progbits
; Kernel info:
; codeLenInByte = 1400
; NumSgprs: 42
; NumVgprs: 36
; NumAgprs: 0
; TotalNumVgprs: 36
; ScratchSize: 0
; MemoryBound: 0
; FloatMode: 240
; IeeeMode: 1
; LDSByteSize: 4100 bytes/workgroup (compile time only)
; SGPRBlocks: 5
; VGPRBlocks: 4
; NumSGPRsForWavesPerEU: 42
; NumVGPRsForWavesPerEU: 36
; AccumOffset: 36
; Occupancy: 8
; WaveLimiterHint : 0
; COMPUTE_PGM_RSRC2:SCRATCH_EN: 0
; COMPUTE_PGM_RSRC2:USER_SGPR: 2
; COMPUTE_PGM_RSRC2:TRAP_HANDLER: 0
; COMPUTE_PGM_RSRC2:TGID_X_EN: 1
; COMPUTE_PGM_RSRC2:TGID_Y_EN: 0
; COMPUTE_PGM_RSRC2:TGID_Z_EN: 0
; COMPUTE_PGM_RSRC2:TIDIG_COMP_CNT: 0
; COMPUTE_PGM_RSRC3_GFX90A:ACCUM_OFFSET: 8
; COMPUTE_PGM_RSRC3_GFX90A:TG_SPLIT: 0
	.section	.text._ZN9rocsparseL44csr2gebsr_wavefront_per_row_multipass_kernelILi256ELi4ELi32ELi32E21rocsparse_complex_numIfEEEv20rocsparse_direction_iiiiii21rocsparse_index_base_PKT3_PKiS9_S4_PS5_PiSB_,"axG",@progbits,_ZN9rocsparseL44csr2gebsr_wavefront_per_row_multipass_kernelILi256ELi4ELi32ELi32E21rocsparse_complex_numIfEEEv20rocsparse_direction_iiiiii21rocsparse_index_base_PKT3_PKiS9_S4_PS5_PiSB_,comdat
	.globl	_ZN9rocsparseL44csr2gebsr_wavefront_per_row_multipass_kernelILi256ELi4ELi32ELi32E21rocsparse_complex_numIfEEEv20rocsparse_direction_iiiiii21rocsparse_index_base_PKT3_PKiS9_S4_PS5_PiSB_ ; -- Begin function _ZN9rocsparseL44csr2gebsr_wavefront_per_row_multipass_kernelILi256ELi4ELi32ELi32E21rocsparse_complex_numIfEEEv20rocsparse_direction_iiiiii21rocsparse_index_base_PKT3_PKiS9_S4_PS5_PiSB_
	.p2align	8
	.type	_ZN9rocsparseL44csr2gebsr_wavefront_per_row_multipass_kernelILi256ELi4ELi32ELi32E21rocsparse_complex_numIfEEEv20rocsparse_direction_iiiiii21rocsparse_index_base_PKT3_PKiS9_S4_PS5_PiSB_,@function
_ZN9rocsparseL44csr2gebsr_wavefront_per_row_multipass_kernelILi256ELi4ELi32ELi32E21rocsparse_complex_numIfEEEv20rocsparse_direction_iiiiii21rocsparse_index_base_PKT3_PKiS9_S4_PS5_PiSB_: ; @_ZN9rocsparseL44csr2gebsr_wavefront_per_row_multipass_kernelILi256ELi4ELi32ELi32E21rocsparse_complex_numIfEEEv20rocsparse_direction_iiiiii21rocsparse_index_base_PKT3_PKiS9_S4_PS5_PiSB_
; %bb.0:
	s_load_dwordx2 s[4:5], s[0:1], 0x0
	s_load_dwordx4 s[12:15], s[0:1], 0xc
	s_load_dword s33, s[0:1], 0x1c
	s_load_dwordx2 s[6:7], s[0:1], 0x28
	v_lshrrev_b32_e32 v22, 5, v0
	v_bfe_u32 v6, v0, 3, 2
	v_lshl_or_b32 v4, s2, 3, v22
	s_waitcnt lgkmcnt(0)
	v_mad_u64_u32 v[2:3], s[2:3], v4, s14, v[6:7]
	v_cmp_gt_i32_e32 vcc, s5, v2
	v_cmp_gt_i32_e64 s[2:3], s14, v6
	s_and_b64 s[8:9], s[2:3], vcc
	v_mov_b32_e32 v23, 0
	v_mov_b32_e32 v20, 0
	s_and_saveexec_b64 s[10:11], s[8:9]
	s_cbranch_execz .LBB139_2
; %bb.1:
	v_ashrrev_i32_e32 v3, 31, v2
	v_lshl_add_u64 v[8:9], v[2:3], 2, s[6:7]
	global_load_dword v1, v[8:9], off
	s_waitcnt vmcnt(0)
	v_subrev_u32_e32 v20, s33, v1
.LBB139_2:
	s_or_b64 exec, exec, s[10:11]
	s_and_saveexec_b64 s[10:11], s[8:9]
	s_cbranch_execz .LBB139_4
; %bb.3:
	v_ashrrev_i32_e32 v3, 31, v2
	v_lshl_add_u64 v[2:3], v[2:3], 2, s[6:7]
	global_load_dword v1, v[2:3], off offset:4
	s_waitcnt vmcnt(0)
	v_subrev_u32_e32 v23, s33, v1
.LBB139_4:
	s_or_b64 exec, exec, s[10:11]
	s_load_dword s34, s[0:1], 0x38
	v_cmp_gt_i32_e32 vcc, s12, v4
	v_mov_b32_e32 v2, 0
	s_and_saveexec_b64 s[6:7], vcc
	s_cbranch_execz .LBB139_6
; %bb.5:
	s_load_dwordx2 s[8:9], s[0:1], 0x48
	v_ashrrev_i32_e32 v5, 31, v4
	s_waitcnt lgkmcnt(0)
	v_lshl_add_u64 v[2:3], v[4:5], 2, s[8:9]
	global_load_dword v1, v[2:3], off
	s_waitcnt vmcnt(0)
	v_subrev_u32_e32 v2, s34, v1
.LBB139_6:
	s_or_b64 exec, exec, s[6:7]
	s_cmp_lt_i32 s13, 1
	s_cbranch_scc1 .LBB139_29
; %bb.7:
	v_and_b32_e32 v24, 7, v0
	v_lshlrev_b32_e32 v0, 7, v22
	s_load_dwordx2 s[10:11], s[0:1], 0x20
	s_load_dwordx2 s[16:17], s[0:1], 0x50
	;; [unrolled: 1-line block ×4, first 2 shown]
	v_lshl_or_b32 v25, v6, 5, v0
	v_mbcnt_lo_u32_b32 v0, -1, 0
	v_mbcnt_hi_u32_b32 v0, -1, v0
	v_lshlrev_b32_e32 v3, 2, v0
	v_lshlrev_b32_e32 v0, 3, v6
	v_mul_lo_u32 v6, v6, s15
	v_mov_b32_e32 v1, 0
	s_cmp_eq_u32 s4, 0
	v_ashrrev_i32_e32 v7, 31, v6
	v_or_b32_e32 v26, 28, v3
	s_cselect_b64 vcc, -1, 0
	s_ashr_i32 s12, s15, 31
	s_waitcnt lgkmcnt(0)
	v_lshl_add_u64 v[4:5], s[6:7], 0, v[0:1]
	v_lshl_add_u64 v[6:7], v[6:7], 3, s[6:7]
	v_lshlrev_b32_e32 v0, 3, v24
	v_or_b32_e32 v27, 0x7c, v3
	v_or_b32_e32 v3, 8, v24
	s_mul_hi_u32 s0, s15, s14
	s_mul_i32 s1, s12, s14
	s_mul_i32 s36, s15, s14
	v_lshl_add_u64 v[6:7], v[6:7], 0, v[0:1]
	v_mul_lo_u32 v0, v24, s14
	v_cmp_gt_u32_e64 s[4:5], s15, v3
	s_lshl_b32 s20, s14, 3
	v_or_b32_e32 v3, 16, v24
	s_abs_i32 s14, s15
	v_cmp_gt_u32_e64 s[6:7], s15, v3
	v_cvt_f32_u32_e32 v3, s14
	v_or_b32_e32 v8, v25, v24
	v_lshlrev_b32_e32 v28, 3, v8
	v_add_u32_e32 v8, s20, v0
	v_rcp_iflag_f32_e32 v3, v3
	s_add_i32 s35, s0, s1
	v_cmp_gt_u32_e64 s[0:1], s15, v24
	v_add_u32_e32 v10, s20, v8
	v_mul_f32_e32 v3, 0x4f7ffffe, v3
	v_cvt_u32_f32_e32 v3, v3
	v_or_b32_e32 v12, 24, v24
	v_cmp_gt_u32_e64 s[8:9], s15, v12
	v_add_u32_e32 v12, s20, v10
	s_and_b64 s[20:21], s[0:1], s[2:3]
	s_sub_i32 s0, 0, s14
	v_mul_lo_u32 v14, s0, v3
	v_mul_hi_u32 v14, v3, v14
	v_mov_b32_e32 v9, v1
	v_mov_b32_e32 v11, v1
	;; [unrolled: 1-line block ×3, first 2 shown]
	s_and_b64 s[4:5], s[2:3], s[4:5]
	s_and_b64 s[6:7], s[2:3], s[6:7]
	;; [unrolled: 1-line block ×3, first 2 shown]
	v_add_u32_e32 v29, v3, v14
	v_or_b32_e32 v30, -8, v24
	s_mov_b64 s[22:23], 0
	v_mov_b32_e32 v14, v1
	v_mov_b32_e32 v15, v1
	s_mov_b64 s[24:25], 0x80
	s_mov_b64 s[26:27], 0xc0
	v_mov_b32_e32 v31, 1
	v_mov_b32_e32 v3, v1
	s_branch .LBB139_10
.LBB139_8:                              ;   in Loop: Header=BB139_10 Depth=1
	s_or_b64 exec, exec, s[0:1]
	v_mov_b32_e32 v16, 1
.LBB139_9:                              ;   in Loop: Header=BB139_10 Depth=1
	s_or_b64 exec, exec, s[2:3]
	v_mov_b32_dpp v3, v32 row_shr:1 row_mask:0xf bank_mask:0xf
	v_min_i32_e32 v3, v3, v32
	v_add_u32_e32 v2, v16, v2
	s_waitcnt lgkmcnt(0)
	v_mov_b32_dpp v17, v3 row_shr:2 row_mask:0xf bank_mask:0xf
	v_min_i32_e32 v3, v17, v3
	s_nop 1
	v_mov_b32_dpp v17, v3 row_shr:4 row_mask:0xf bank_mask:0xe
	v_min_i32_e32 v3, v17, v3
	s_nop 1
	;; [unrolled: 3-line block ×3, first 2 shown]
	v_mov_b32_dpp v17, v3 row_bcast:15 row_mask:0xa bank_mask:0xf
	v_min_i32_e32 v3, v17, v3
	ds_bpermute_b32 v3, v27, v3
	s_waitcnt lgkmcnt(0)
	v_cmp_le_i32_e64 s[0:1], s13, v3
	s_or_b64 s[22:23], s[0:1], s[22:23]
	s_andn2_b64 exec, exec, s[22:23]
	s_cbranch_execz .LBB139_29
.LBB139_10:                             ; =>This Loop Header: Depth=1
                                        ;     Child Loop BB139_11 Depth 2
                                        ;     Child Loop BB139_15 Depth 2
	s_mov_b64 s[2:3], 0
	v_mov_b32_e32 v16, v28
	v_mov_b32_e32 v17, v30
	ds_write_b8 v22, v1 offset:8192
.LBB139_11:                             ;   Parent Loop BB139_10 Depth=1
                                        ; =>  This Inner Loop Header: Depth=2
	v_add_u32_e32 v17, 8, v17
	v_cmp_lt_u32_e64 s[0:1], 23, v17
	ds_write_b64 v16, v[14:15]
	s_or_b64 s[2:3], s[0:1], s[2:3]
	v_add_u32_e32 v16, 64, v16
	s_andn2_b64 exec, exec, s[2:3]
	s_cbranch_execnz .LBB139_11
; %bb.12:                               ;   in Loop: Header=BB139_10 Depth=1
	s_or_b64 exec, exec, s[2:3]
	v_add_u32_e32 v16, v20, v24
	v_cmp_lt_i32_e64 s[0:1], v16, v23
	v_mov_b32_e32 v32, s13
	v_mov_b32_e32 v17, v23
	s_waitcnt lgkmcnt(0)
	s_and_saveexec_b64 s[28:29], s[0:1]
	s_cbranch_execz .LBB139_20
; %bb.13:                               ;   in Loop: Header=BB139_10 Depth=1
	v_ashrrev_i32_e32 v17, 31, v16
	v_mul_lo_u32 v33, v3, s15
	v_lshl_add_u64 v[18:19], v[16:17], 2, s[18:19]
	v_lshl_add_u64 v[20:21], v[16:17], 3, s[10:11]
	s_mov_b64 s[30:31], 0
	v_mov_b32_e32 v32, s13
	v_mov_b32_e32 v17, v23
	s_branch .LBB139_15
.LBB139_14:                             ;   in Loop: Header=BB139_15 Depth=2
	s_or_b64 exec, exec, s[2:3]
	v_add_u32_e32 v16, 8, v16
	v_cmp_ge_i32_e64 s[2:3], v16, v23
	s_xor_b64 s[0:1], s[0:1], -1
	s_or_b64 s[0:1], s[0:1], s[2:3]
	s_and_b64 s[0:1], exec, s[0:1]
	v_lshl_add_u64 v[18:19], v[18:19], 0, 32
	s_or_b64 s[30:31], s[0:1], s[30:31]
	v_lshl_add_u64 v[20:21], v[20:21], 0, 64
	s_andn2_b64 exec, exec, s[30:31]
	s_cbranch_execz .LBB139_19
.LBB139_15:                             ;   Parent Loop BB139_10 Depth=1
                                        ; =>  This Inner Loop Header: Depth=2
	global_load_dword v34, v[18:19], off
	s_waitcnt vmcnt(0)
	v_subrev_u32_e32 v34, s33, v34
	v_sub_u32_e32 v36, 0, v34
	v_max_i32_e32 v36, v34, v36
	v_mul_hi_u32 v37, v36, v29
	v_mul_lo_u32 v38, v37, s14
	v_sub_u32_e32 v36, v36, v38
	v_add_u32_e32 v39, 1, v37
	v_cmp_le_u32_e64 s[0:1], s14, v36
	v_subrev_u32_e32 v38, s14, v36
	v_ashrrev_i32_e32 v35, 31, v34
	v_cndmask_b32_e64 v37, v37, v39, s[0:1]
	v_cndmask_b32_e64 v36, v36, v38, s[0:1]
	v_add_u32_e32 v38, 1, v37
	v_cmp_le_u32_e64 s[0:1], s14, v36
	v_xor_b32_e32 v35, s12, v35
	s_nop 0
	v_cndmask_b32_e64 v36, v37, v38, s[0:1]
	v_xor_b32_e32 v36, v36, v35
	v_sub_u32_e32 v36, v36, v35
	v_cmp_eq_u32_e64 s[0:1], v36, v3
	v_cmp_ne_u32_e64 s[2:3], v36, v3
	v_mov_b32_e32 v35, v17
	s_and_saveexec_b64 s[38:39], s[2:3]
	s_xor_b64 s[2:3], exec, s[38:39]
; %bb.16:                               ;   in Loop: Header=BB139_15 Depth=2
	v_min_i32_e32 v32, v36, v32
                                        ; implicit-def: $vgpr34
                                        ; implicit-def: $vgpr35
; %bb.17:                               ;   in Loop: Header=BB139_15 Depth=2
	s_or_saveexec_b64 s[2:3], s[2:3]
	v_mov_b32_e32 v17, v16
	s_xor_b64 exec, exec, s[2:3]
	s_cbranch_execz .LBB139_14
; %bb.18:                               ;   in Loop: Header=BB139_15 Depth=2
	global_load_dwordx2 v[36:37], v[20:21], off
	v_sub_u32_e32 v17, v34, v33
	v_add_lshl_u32 v17, v25, v17, 3
	ds_write_b8 v22, v31 offset:8192
	s_waitcnt vmcnt(0)
	ds_write_b64 v17, v[36:37]
	v_mov_b32_e32 v17, v35
	s_branch .LBB139_14
.LBB139_19:                             ;   in Loop: Header=BB139_10 Depth=1
	s_or_b64 exec, exec, s[30:31]
.LBB139_20:                             ;   in Loop: Header=BB139_10 Depth=1
	s_or_b64 exec, exec, s[28:29]
	v_mov_b32_dpp v16, v17 row_shr:1 row_mask:0xf bank_mask:0xf
	v_min_i32_e32 v16, v16, v17
	s_waitcnt lgkmcnt(0)
	s_nop 0
	v_mov_b32_dpp v17, v16 row_shr:2 row_mask:0xf bank_mask:0xf
	v_min_i32_e32 v16, v17, v16
	ds_read_u8 v17, v22 offset:8192
	s_nop 0
	v_mov_b32_dpp v18, v16 row_shr:4 row_mask:0xf bank_mask:0xe
	v_min_i32_e32 v16, v18, v16
	ds_bpermute_b32 v20, v26, v16
	s_waitcnt lgkmcnt(1)
	v_and_b32_e32 v16, 1, v17
	v_cmp_eq_u32_e64 s[0:1], 1, v16
	v_mov_b32_e32 v16, 0
	s_and_saveexec_b64 s[2:3], s[0:1]
	s_cbranch_execz .LBB139_9
; %bb.21:                               ;   in Loop: Header=BB139_10 Depth=1
	v_add_u32_e32 v18, s34, v3
	v_ashrrev_i32_e32 v3, 31, v2
	v_lshl_add_u64 v[16:17], v[2:3], 2, s[16:17]
	global_store_dword v[16:17], v18, off
	v_mul_lo_u32 v18, s35, v2
	v_mul_lo_u32 v3, s36, v3
	v_mad_u64_u32 v[16:17], s[0:1], s36, v2, 0
	v_add3_u32 v17, v17, v3, v18
	v_lshlrev_b64 v[18:19], 3, v[16:17]
	v_lshl_add_u64 v[16:17], v[4:5], 0, v[18:19]
	v_lshl_add_u64 v[18:19], v[6:7], 0, v[18:19]
	s_and_saveexec_b64 s[0:1], s[20:21]
	s_cbranch_execnz .LBB139_25
; %bb.22:                               ;   in Loop: Header=BB139_10 Depth=1
	s_or_b64 exec, exec, s[0:1]
	s_and_saveexec_b64 s[0:1], s[4:5]
	s_cbranch_execnz .LBB139_26
.LBB139_23:                             ;   in Loop: Header=BB139_10 Depth=1
	s_or_b64 exec, exec, s[0:1]
	s_and_saveexec_b64 s[0:1], s[6:7]
	s_cbranch_execnz .LBB139_27
.LBB139_24:                             ;   in Loop: Header=BB139_10 Depth=1
	s_or_b64 exec, exec, s[0:1]
	s_and_saveexec_b64 s[0:1], s[8:9]
	s_cbranch_execz .LBB139_8
	s_branch .LBB139_28
.LBB139_25:                             ;   in Loop: Header=BB139_10 Depth=1
	ds_read_b64 v[34:35], v28
	v_lshl_add_u64 v[36:37], v[0:1], 3, v[16:17]
	v_cndmask_b32_e32 v37, v37, v19, vcc
	v_cndmask_b32_e32 v36, v36, v18, vcc
	s_waitcnt lgkmcnt(0)
	global_store_dwordx2 v[36:37], v[34:35], off
	s_or_b64 exec, exec, s[0:1]
	s_and_saveexec_b64 s[0:1], s[4:5]
	s_cbranch_execz .LBB139_23
.LBB139_26:                             ;   in Loop: Header=BB139_10 Depth=1
	ds_read_b64 v[34:35], v28 offset:64
	v_lshl_add_u64 v[36:37], v[18:19], 0, 64
	v_lshl_add_u64 v[38:39], v[8:9], 3, v[16:17]
	v_cndmask_b32_e32 v37, v39, v37, vcc
	v_cndmask_b32_e32 v36, v38, v36, vcc
	s_waitcnt lgkmcnt(0)
	global_store_dwordx2 v[36:37], v[34:35], off
	s_or_b64 exec, exec, s[0:1]
	s_and_saveexec_b64 s[0:1], s[6:7]
	s_cbranch_execz .LBB139_24
.LBB139_27:                             ;   in Loop: Header=BB139_10 Depth=1
	ds_read_b64 v[34:35], v28 offset:128
	v_lshl_add_u64 v[36:37], v[18:19], 0, s[24:25]
	v_lshl_add_u64 v[38:39], v[10:11], 3, v[16:17]
	v_cndmask_b32_e32 v37, v39, v37, vcc
	v_cndmask_b32_e32 v36, v38, v36, vcc
	s_waitcnt lgkmcnt(0)
	global_store_dwordx2 v[36:37], v[34:35], off
	s_or_b64 exec, exec, s[0:1]
	s_and_saveexec_b64 s[0:1], s[8:9]
	s_cbranch_execz .LBB139_8
.LBB139_28:                             ;   in Loop: Header=BB139_10 Depth=1
	ds_read_b64 v[34:35], v28 offset:192
	v_lshl_add_u64 v[18:19], v[18:19], 0, s[26:27]
	v_lshl_add_u64 v[16:17], v[12:13], 3, v[16:17]
	v_cndmask_b32_e32 v17, v17, v19, vcc
	v_cndmask_b32_e32 v16, v16, v18, vcc
	s_waitcnt lgkmcnt(0)
	global_store_dwordx2 v[16:17], v[34:35], off
	s_branch .LBB139_8
.LBB139_29:
	s_endpgm
	.section	.rodata,"a",@progbits
	.p2align	6, 0x0
	.amdhsa_kernel _ZN9rocsparseL44csr2gebsr_wavefront_per_row_multipass_kernelILi256ELi4ELi32ELi32E21rocsparse_complex_numIfEEEv20rocsparse_direction_iiiiii21rocsparse_index_base_PKT3_PKiS9_S4_PS5_PiSB_
		.amdhsa_group_segment_fixed_size 8200
		.amdhsa_private_segment_fixed_size 0
		.amdhsa_kernarg_size 88
		.amdhsa_user_sgpr_count 2
		.amdhsa_user_sgpr_dispatch_ptr 0
		.amdhsa_user_sgpr_queue_ptr 0
		.amdhsa_user_sgpr_kernarg_segment_ptr 1
		.amdhsa_user_sgpr_dispatch_id 0
		.amdhsa_user_sgpr_kernarg_preload_length 0
		.amdhsa_user_sgpr_kernarg_preload_offset 0
		.amdhsa_user_sgpr_private_segment_size 0
		.amdhsa_uses_dynamic_stack 0
		.amdhsa_enable_private_segment 0
		.amdhsa_system_sgpr_workgroup_id_x 1
		.amdhsa_system_sgpr_workgroup_id_y 0
		.amdhsa_system_sgpr_workgroup_id_z 0
		.amdhsa_system_sgpr_workgroup_info 0
		.amdhsa_system_vgpr_workitem_id 0
		.amdhsa_next_free_vgpr 40
		.amdhsa_next_free_sgpr 40
		.amdhsa_accum_offset 40
		.amdhsa_reserve_vcc 1
		.amdhsa_float_round_mode_32 0
		.amdhsa_float_round_mode_16_64 0
		.amdhsa_float_denorm_mode_32 3
		.amdhsa_float_denorm_mode_16_64 3
		.amdhsa_dx10_clamp 1
		.amdhsa_ieee_mode 1
		.amdhsa_fp16_overflow 0
		.amdhsa_tg_split 0
		.amdhsa_exception_fp_ieee_invalid_op 0
		.amdhsa_exception_fp_denorm_src 0
		.amdhsa_exception_fp_ieee_div_zero 0
		.amdhsa_exception_fp_ieee_overflow 0
		.amdhsa_exception_fp_ieee_underflow 0
		.amdhsa_exception_fp_ieee_inexact 0
		.amdhsa_exception_int_div_zero 0
	.end_amdhsa_kernel
	.section	.text._ZN9rocsparseL44csr2gebsr_wavefront_per_row_multipass_kernelILi256ELi4ELi32ELi32E21rocsparse_complex_numIfEEEv20rocsparse_direction_iiiiii21rocsparse_index_base_PKT3_PKiS9_S4_PS5_PiSB_,"axG",@progbits,_ZN9rocsparseL44csr2gebsr_wavefront_per_row_multipass_kernelILi256ELi4ELi32ELi32E21rocsparse_complex_numIfEEEv20rocsparse_direction_iiiiii21rocsparse_index_base_PKT3_PKiS9_S4_PS5_PiSB_,comdat
.Lfunc_end139:
	.size	_ZN9rocsparseL44csr2gebsr_wavefront_per_row_multipass_kernelILi256ELi4ELi32ELi32E21rocsparse_complex_numIfEEEv20rocsparse_direction_iiiiii21rocsparse_index_base_PKT3_PKiS9_S4_PS5_PiSB_, .Lfunc_end139-_ZN9rocsparseL44csr2gebsr_wavefront_per_row_multipass_kernelILi256ELi4ELi32ELi32E21rocsparse_complex_numIfEEEv20rocsparse_direction_iiiiii21rocsparse_index_base_PKT3_PKiS9_S4_PS5_PiSB_
                                        ; -- End function
	.section	.AMDGPU.csdata,"",@progbits
; Kernel info:
; codeLenInByte = 1568
; NumSgprs: 46
; NumVgprs: 40
; NumAgprs: 0
; TotalNumVgprs: 40
; ScratchSize: 0
; MemoryBound: 0
; FloatMode: 240
; IeeeMode: 1
; LDSByteSize: 8200 bytes/workgroup (compile time only)
; SGPRBlocks: 5
; VGPRBlocks: 4
; NumSGPRsForWavesPerEU: 46
; NumVGPRsForWavesPerEU: 40
; AccumOffset: 40
; Occupancy: 7
; WaveLimiterHint : 0
; COMPUTE_PGM_RSRC2:SCRATCH_EN: 0
; COMPUTE_PGM_RSRC2:USER_SGPR: 2
; COMPUTE_PGM_RSRC2:TRAP_HANDLER: 0
; COMPUTE_PGM_RSRC2:TGID_X_EN: 1
; COMPUTE_PGM_RSRC2:TGID_Y_EN: 0
; COMPUTE_PGM_RSRC2:TGID_Z_EN: 0
; COMPUTE_PGM_RSRC2:TIDIG_COMP_CNT: 0
; COMPUTE_PGM_RSRC3_GFX90A:ACCUM_OFFSET: 9
; COMPUTE_PGM_RSRC3_GFX90A:TG_SPLIT: 0
	.section	.text._ZN9rocsparseL44csr2gebsr_wavefront_per_row_multipass_kernelILi256ELi4ELi64ELi64E21rocsparse_complex_numIfEEEv20rocsparse_direction_iiiiii21rocsparse_index_base_PKT3_PKiS9_S4_PS5_PiSB_,"axG",@progbits,_ZN9rocsparseL44csr2gebsr_wavefront_per_row_multipass_kernelILi256ELi4ELi64ELi64E21rocsparse_complex_numIfEEEv20rocsparse_direction_iiiiii21rocsparse_index_base_PKT3_PKiS9_S4_PS5_PiSB_,comdat
	.globl	_ZN9rocsparseL44csr2gebsr_wavefront_per_row_multipass_kernelILi256ELi4ELi64ELi64E21rocsparse_complex_numIfEEEv20rocsparse_direction_iiiiii21rocsparse_index_base_PKT3_PKiS9_S4_PS5_PiSB_ ; -- Begin function _ZN9rocsparseL44csr2gebsr_wavefront_per_row_multipass_kernelILi256ELi4ELi64ELi64E21rocsparse_complex_numIfEEEv20rocsparse_direction_iiiiii21rocsparse_index_base_PKT3_PKiS9_S4_PS5_PiSB_
	.p2align	8
	.type	_ZN9rocsparseL44csr2gebsr_wavefront_per_row_multipass_kernelILi256ELi4ELi64ELi64E21rocsparse_complex_numIfEEEv20rocsparse_direction_iiiiii21rocsparse_index_base_PKT3_PKiS9_S4_PS5_PiSB_,@function
_ZN9rocsparseL44csr2gebsr_wavefront_per_row_multipass_kernelILi256ELi4ELi64ELi64E21rocsparse_complex_numIfEEEv20rocsparse_direction_iiiiii21rocsparse_index_base_PKT3_PKiS9_S4_PS5_PiSB_: ; @_ZN9rocsparseL44csr2gebsr_wavefront_per_row_multipass_kernelILi256ELi4ELi64ELi64E21rocsparse_complex_numIfEEEv20rocsparse_direction_iiiiii21rocsparse_index_base_PKT3_PKiS9_S4_PS5_PiSB_
; %bb.0:
	s_load_dwordx2 s[4:5], s[0:1], 0x0
	s_load_dwordx4 s[12:15], s[0:1], 0xc
	s_load_dword s33, s[0:1], 0x1c
	s_load_dwordx2 s[6:7], s[0:1], 0x28
	v_lshrrev_b32_e32 v22, 6, v0
	v_bfe_u32 v6, v0, 4, 2
	v_lshl_or_b32 v4, s2, 2, v22
	s_waitcnt lgkmcnt(0)
	v_mad_u64_u32 v[2:3], s[2:3], v4, s14, v[6:7]
	v_cmp_gt_i32_e32 vcc, s5, v2
	v_cmp_gt_i32_e64 s[2:3], s14, v6
	s_and_b64 s[8:9], s[2:3], vcc
	v_mov_b32_e32 v23, 0
	v_mov_b32_e32 v20, 0
	s_and_saveexec_b64 s[10:11], s[8:9]
	s_cbranch_execz .LBB140_2
; %bb.1:
	v_ashrrev_i32_e32 v3, 31, v2
	v_lshl_add_u64 v[8:9], v[2:3], 2, s[6:7]
	global_load_dword v1, v[8:9], off
	s_waitcnt vmcnt(0)
	v_subrev_u32_e32 v20, s33, v1
.LBB140_2:
	s_or_b64 exec, exec, s[10:11]
	s_and_saveexec_b64 s[10:11], s[8:9]
	s_cbranch_execz .LBB140_4
; %bb.3:
	v_ashrrev_i32_e32 v3, 31, v2
	v_lshl_add_u64 v[2:3], v[2:3], 2, s[6:7]
	global_load_dword v1, v[2:3], off offset:4
	s_waitcnt vmcnt(0)
	v_subrev_u32_e32 v23, s33, v1
.LBB140_4:
	s_or_b64 exec, exec, s[10:11]
	s_load_dword s36, s[0:1], 0x38
	v_cmp_gt_i32_e32 vcc, s12, v4
	v_mov_b32_e32 v2, 0
	s_and_saveexec_b64 s[6:7], vcc
	s_cbranch_execz .LBB140_6
; %bb.5:
	s_load_dwordx2 s[8:9], s[0:1], 0x48
	v_ashrrev_i32_e32 v5, 31, v4
	s_waitcnt lgkmcnt(0)
	v_lshl_add_u64 v[2:3], v[4:5], 2, s[8:9]
	global_load_dword v1, v[2:3], off
	s_waitcnt vmcnt(0)
	v_subrev_u32_e32 v2, s36, v1
.LBB140_6:
	s_or_b64 exec, exec, s[6:7]
	s_cmp_lt_i32 s13, 1
	s_cbranch_scc1 .LBB140_29
; %bb.7:
	v_and_b32_e32 v24, 15, v0
	v_lshlrev_b32_e32 v0, 8, v22
	s_load_dwordx2 s[10:11], s[0:1], 0x20
	s_load_dwordx2 s[16:17], s[0:1], 0x50
	;; [unrolled: 1-line block ×4, first 2 shown]
	v_lshl_or_b32 v25, v6, 6, v0
	v_mbcnt_lo_u32_b32 v0, -1, 0
	v_mbcnt_hi_u32_b32 v0, -1, v0
	v_lshlrev_b32_e32 v3, 2, v0
	v_lshlrev_b32_e32 v0, 3, v6
	v_mul_lo_u32 v6, v6, s15
	v_mov_b32_e32 v1, 0
	s_cmp_eq_u32 s4, 0
	v_ashrrev_i32_e32 v7, 31, v6
	v_or_b32_e32 v26, 60, v3
	s_cselect_b64 vcc, -1, 0
	s_ashr_i32 s12, s15, 31
	s_waitcnt lgkmcnt(0)
	v_lshl_add_u64 v[4:5], s[6:7], 0, v[0:1]
	v_lshl_add_u64 v[6:7], v[6:7], 3, s[6:7]
	v_lshlrev_b32_e32 v0, 3, v24
	v_or_b32_e32 v27, 0xfc, v3
	v_or_b32_e32 v3, 16, v24
	s_mul_hi_u32 s0, s15, s14
	s_mul_i32 s1, s12, s14
	s_mul_i32 s38, s15, s14
	v_lshl_add_u64 v[6:7], v[6:7], 0, v[0:1]
	v_mul_lo_u32 v0, v24, s14
	v_cmp_gt_u32_e64 s[4:5], s15, v3
	s_lshl_b32 s20, s14, 4
	v_or_b32_e32 v3, 32, v24
	s_abs_i32 s14, s15
	v_cmp_gt_u32_e64 s[6:7], s15, v3
	v_cvt_f32_u32_e32 v3, s14
	v_or_b32_e32 v8, v25, v24
	v_lshlrev_b32_e32 v28, 3, v8
	v_add_u32_e32 v8, s20, v0
	v_rcp_iflag_f32_e32 v3, v3
	s_add_i32 s37, s0, s1
	v_cmp_gt_u32_e64 s[0:1], s15, v24
	v_add_u32_e32 v10, s20, v8
	v_mul_f32_e32 v3, 0x4f7ffffe, v3
	v_cvt_u32_f32_e32 v3, v3
	v_or_b32_e32 v12, 48, v24
	v_cmp_gt_u32_e64 s[8:9], s15, v12
	v_add_u32_e32 v12, s20, v10
	s_and_b64 s[20:21], s[0:1], s[2:3]
	s_sub_i32 s0, 0, s14
	v_mul_lo_u32 v14, s0, v3
	v_mul_hi_u32 v14, v3, v14
	v_mov_b32_e32 v9, v1
	v_mov_b32_e32 v11, v1
	;; [unrolled: 1-line block ×3, first 2 shown]
	s_and_b64 s[4:5], s[2:3], s[4:5]
	s_and_b64 s[6:7], s[2:3], s[6:7]
	;; [unrolled: 1-line block ×3, first 2 shown]
	v_add_u32_e32 v29, v3, v14
	v_or_b32_e32 v30, -16, v24
	s_mov_b64 s[22:23], 0
	v_mov_b32_e32 v14, v1
	v_mov_b32_e32 v15, v1
	s_mov_b64 s[24:25], 0x80
	s_mov_b64 s[26:27], 0x100
	;; [unrolled: 1-line block ×3, first 2 shown]
	v_mov_b32_e32 v31, 1
	v_mov_b32_e32 v3, v1
	s_branch .LBB140_10
.LBB140_8:                              ;   in Loop: Header=BB140_10 Depth=1
	s_or_b64 exec, exec, s[0:1]
	v_mov_b32_e32 v16, 1
.LBB140_9:                              ;   in Loop: Header=BB140_10 Depth=1
	s_or_b64 exec, exec, s[2:3]
	v_mov_b32_dpp v3, v32 row_shr:1 row_mask:0xf bank_mask:0xf
	v_min_i32_e32 v3, v3, v32
	v_add_u32_e32 v2, v16, v2
	s_waitcnt lgkmcnt(0)
	v_mov_b32_dpp v17, v3 row_shr:2 row_mask:0xf bank_mask:0xf
	v_min_i32_e32 v3, v17, v3
	s_nop 1
	v_mov_b32_dpp v17, v3 row_shr:4 row_mask:0xf bank_mask:0xe
	v_min_i32_e32 v3, v17, v3
	s_nop 1
	;; [unrolled: 3-line block ×3, first 2 shown]
	v_mov_b32_dpp v17, v3 row_bcast:15 row_mask:0xa bank_mask:0xf
	v_min_i32_e32 v3, v17, v3
	s_nop 1
	v_mov_b32_dpp v17, v3 row_bcast:31 row_mask:0xc bank_mask:0xf
	v_min_i32_e32 v3, v17, v3
	ds_bpermute_b32 v3, v27, v3
	s_waitcnt lgkmcnt(0)
	v_cmp_le_i32_e64 s[0:1], s13, v3
	s_or_b64 s[22:23], s[0:1], s[22:23]
	s_andn2_b64 exec, exec, s[22:23]
	s_cbranch_execz .LBB140_29
.LBB140_10:                             ; =>This Loop Header: Depth=1
                                        ;     Child Loop BB140_11 Depth 2
                                        ;     Child Loop BB140_15 Depth 2
	s_mov_b64 s[2:3], 0
	v_mov_b32_e32 v16, v28
	v_mov_b32_e32 v17, v30
	ds_write_b8 v22, v1 offset:8192
.LBB140_11:                             ;   Parent Loop BB140_10 Depth=1
                                        ; =>  This Inner Loop Header: Depth=2
	v_add_u32_e32 v17, 16, v17
	v_cmp_lt_u32_e64 s[0:1], 47, v17
	ds_write_b64 v16, v[14:15]
	s_or_b64 s[2:3], s[0:1], s[2:3]
	v_add_u32_e32 v16, 0x80, v16
	s_andn2_b64 exec, exec, s[2:3]
	s_cbranch_execnz .LBB140_11
; %bb.12:                               ;   in Loop: Header=BB140_10 Depth=1
	s_or_b64 exec, exec, s[2:3]
	v_add_u32_e32 v16, v20, v24
	v_cmp_lt_i32_e64 s[0:1], v16, v23
	v_mov_b32_e32 v32, s13
	v_mov_b32_e32 v17, v23
	s_waitcnt lgkmcnt(0)
	s_and_saveexec_b64 s[30:31], s[0:1]
	s_cbranch_execz .LBB140_20
; %bb.13:                               ;   in Loop: Header=BB140_10 Depth=1
	v_ashrrev_i32_e32 v17, 31, v16
	v_mul_lo_u32 v33, v3, s15
	v_lshl_add_u64 v[18:19], v[16:17], 2, s[18:19]
	v_lshl_add_u64 v[20:21], v[16:17], 3, s[10:11]
	s_mov_b64 s[34:35], 0
	v_mov_b32_e32 v32, s13
	v_mov_b32_e32 v17, v23
	s_branch .LBB140_15
.LBB140_14:                             ;   in Loop: Header=BB140_15 Depth=2
	s_or_b64 exec, exec, s[2:3]
	v_add_u32_e32 v16, 16, v16
	v_cmp_ge_i32_e64 s[2:3], v16, v23
	s_xor_b64 s[0:1], s[0:1], -1
	s_or_b64 s[0:1], s[0:1], s[2:3]
	s_and_b64 s[0:1], exec, s[0:1]
	v_lshl_add_u64 v[18:19], v[18:19], 0, 64
	s_or_b64 s[34:35], s[0:1], s[34:35]
	v_lshl_add_u64 v[20:21], v[20:21], 0, s[24:25]
	s_andn2_b64 exec, exec, s[34:35]
	s_cbranch_execz .LBB140_19
.LBB140_15:                             ;   Parent Loop BB140_10 Depth=1
                                        ; =>  This Inner Loop Header: Depth=2
	global_load_dword v34, v[18:19], off
	s_waitcnt vmcnt(0)
	v_subrev_u32_e32 v34, s33, v34
	v_sub_u32_e32 v36, 0, v34
	v_max_i32_e32 v36, v34, v36
	v_mul_hi_u32 v37, v36, v29
	v_mul_lo_u32 v38, v37, s14
	v_sub_u32_e32 v36, v36, v38
	v_add_u32_e32 v39, 1, v37
	v_cmp_le_u32_e64 s[0:1], s14, v36
	v_subrev_u32_e32 v38, s14, v36
	v_ashrrev_i32_e32 v35, 31, v34
	v_cndmask_b32_e64 v37, v37, v39, s[0:1]
	v_cndmask_b32_e64 v36, v36, v38, s[0:1]
	v_add_u32_e32 v38, 1, v37
	v_cmp_le_u32_e64 s[0:1], s14, v36
	v_xor_b32_e32 v35, s12, v35
	s_nop 0
	v_cndmask_b32_e64 v36, v37, v38, s[0:1]
	v_xor_b32_e32 v36, v36, v35
	v_sub_u32_e32 v36, v36, v35
	v_cmp_eq_u32_e64 s[0:1], v36, v3
	v_cmp_ne_u32_e64 s[2:3], v36, v3
	v_mov_b32_e32 v35, v17
	s_and_saveexec_b64 s[40:41], s[2:3]
	s_xor_b64 s[2:3], exec, s[40:41]
; %bb.16:                               ;   in Loop: Header=BB140_15 Depth=2
	v_min_i32_e32 v32, v36, v32
                                        ; implicit-def: $vgpr34
                                        ; implicit-def: $vgpr35
; %bb.17:                               ;   in Loop: Header=BB140_15 Depth=2
	s_or_saveexec_b64 s[2:3], s[2:3]
	v_mov_b32_e32 v17, v16
	s_xor_b64 exec, exec, s[2:3]
	s_cbranch_execz .LBB140_14
; %bb.18:                               ;   in Loop: Header=BB140_15 Depth=2
	global_load_dwordx2 v[36:37], v[20:21], off
	v_sub_u32_e32 v17, v34, v33
	v_add_lshl_u32 v17, v25, v17, 3
	ds_write_b8 v22, v31 offset:8192
	s_waitcnt vmcnt(0)
	ds_write_b64 v17, v[36:37]
	v_mov_b32_e32 v17, v35
	s_branch .LBB140_14
.LBB140_19:                             ;   in Loop: Header=BB140_10 Depth=1
	s_or_b64 exec, exec, s[34:35]
.LBB140_20:                             ;   in Loop: Header=BB140_10 Depth=1
	s_or_b64 exec, exec, s[30:31]
	v_mov_b32_dpp v16, v17 row_shr:1 row_mask:0xf bank_mask:0xf
	v_min_i32_e32 v16, v16, v17
	s_waitcnt lgkmcnt(0)
	s_nop 0
	v_mov_b32_dpp v17, v16 row_shr:2 row_mask:0xf bank_mask:0xf
	v_min_i32_e32 v16, v17, v16
	s_nop 1
	v_mov_b32_dpp v17, v16 row_shr:4 row_mask:0xf bank_mask:0xe
	v_min_i32_e32 v16, v17, v16
	ds_read_u8 v17, v22 offset:8192
	s_nop 0
	v_mov_b32_dpp v18, v16 row_shr:8 row_mask:0xf bank_mask:0xc
	v_min_i32_e32 v16, v18, v16
	ds_bpermute_b32 v20, v26, v16
	s_waitcnt lgkmcnt(1)
	v_and_b32_e32 v16, 1, v17
	v_cmp_eq_u32_e64 s[0:1], 1, v16
	v_mov_b32_e32 v16, 0
	s_and_saveexec_b64 s[2:3], s[0:1]
	s_cbranch_execz .LBB140_9
; %bb.21:                               ;   in Loop: Header=BB140_10 Depth=1
	v_add_u32_e32 v18, s36, v3
	v_ashrrev_i32_e32 v3, 31, v2
	v_lshl_add_u64 v[16:17], v[2:3], 2, s[16:17]
	global_store_dword v[16:17], v18, off
	v_mul_lo_u32 v18, s37, v2
	v_mul_lo_u32 v3, s38, v3
	v_mad_u64_u32 v[16:17], s[0:1], s38, v2, 0
	v_add3_u32 v17, v17, v3, v18
	v_lshlrev_b64 v[18:19], 3, v[16:17]
	v_lshl_add_u64 v[16:17], v[4:5], 0, v[18:19]
	v_lshl_add_u64 v[18:19], v[6:7], 0, v[18:19]
	s_and_saveexec_b64 s[0:1], s[20:21]
	s_cbranch_execnz .LBB140_25
; %bb.22:                               ;   in Loop: Header=BB140_10 Depth=1
	s_or_b64 exec, exec, s[0:1]
	s_and_saveexec_b64 s[0:1], s[4:5]
	s_cbranch_execnz .LBB140_26
.LBB140_23:                             ;   in Loop: Header=BB140_10 Depth=1
	s_or_b64 exec, exec, s[0:1]
	s_and_saveexec_b64 s[0:1], s[6:7]
	s_cbranch_execnz .LBB140_27
.LBB140_24:                             ;   in Loop: Header=BB140_10 Depth=1
	s_or_b64 exec, exec, s[0:1]
	s_and_saveexec_b64 s[0:1], s[8:9]
	s_cbranch_execz .LBB140_8
	s_branch .LBB140_28
.LBB140_25:                             ;   in Loop: Header=BB140_10 Depth=1
	ds_read_b64 v[34:35], v28
	v_lshl_add_u64 v[36:37], v[0:1], 3, v[16:17]
	v_cndmask_b32_e32 v37, v37, v19, vcc
	v_cndmask_b32_e32 v36, v36, v18, vcc
	s_waitcnt lgkmcnt(0)
	global_store_dwordx2 v[36:37], v[34:35], off
	s_or_b64 exec, exec, s[0:1]
	s_and_saveexec_b64 s[0:1], s[4:5]
	s_cbranch_execz .LBB140_23
.LBB140_26:                             ;   in Loop: Header=BB140_10 Depth=1
	ds_read_b64 v[34:35], v28 offset:128
	v_lshl_add_u64 v[36:37], v[18:19], 0, s[24:25]
	v_lshl_add_u64 v[38:39], v[8:9], 3, v[16:17]
	v_cndmask_b32_e32 v37, v39, v37, vcc
	v_cndmask_b32_e32 v36, v38, v36, vcc
	s_waitcnt lgkmcnt(0)
	global_store_dwordx2 v[36:37], v[34:35], off
	s_or_b64 exec, exec, s[0:1]
	s_and_saveexec_b64 s[0:1], s[6:7]
	s_cbranch_execz .LBB140_24
.LBB140_27:                             ;   in Loop: Header=BB140_10 Depth=1
	ds_read_b64 v[34:35], v28 offset:256
	v_lshl_add_u64 v[36:37], v[18:19], 0, s[26:27]
	v_lshl_add_u64 v[38:39], v[10:11], 3, v[16:17]
	v_cndmask_b32_e32 v37, v39, v37, vcc
	v_cndmask_b32_e32 v36, v38, v36, vcc
	s_waitcnt lgkmcnt(0)
	global_store_dwordx2 v[36:37], v[34:35], off
	s_or_b64 exec, exec, s[0:1]
	s_and_saveexec_b64 s[0:1], s[8:9]
	s_cbranch_execz .LBB140_8
.LBB140_28:                             ;   in Loop: Header=BB140_10 Depth=1
	ds_read_b64 v[34:35], v28 offset:384
	v_lshl_add_u64 v[18:19], v[18:19], 0, s[28:29]
	v_lshl_add_u64 v[16:17], v[12:13], 3, v[16:17]
	v_cndmask_b32_e32 v17, v17, v19, vcc
	v_cndmask_b32_e32 v16, v16, v18, vcc
	s_waitcnt lgkmcnt(0)
	global_store_dwordx2 v[16:17], v[34:35], off
	s_branch .LBB140_8
.LBB140_29:
	s_endpgm
	.section	.rodata,"a",@progbits
	.p2align	6, 0x0
	.amdhsa_kernel _ZN9rocsparseL44csr2gebsr_wavefront_per_row_multipass_kernelILi256ELi4ELi64ELi64E21rocsparse_complex_numIfEEEv20rocsparse_direction_iiiiii21rocsparse_index_base_PKT3_PKiS9_S4_PS5_PiSB_
		.amdhsa_group_segment_fixed_size 8196
		.amdhsa_private_segment_fixed_size 0
		.amdhsa_kernarg_size 88
		.amdhsa_user_sgpr_count 2
		.amdhsa_user_sgpr_dispatch_ptr 0
		.amdhsa_user_sgpr_queue_ptr 0
		.amdhsa_user_sgpr_kernarg_segment_ptr 1
		.amdhsa_user_sgpr_dispatch_id 0
		.amdhsa_user_sgpr_kernarg_preload_length 0
		.amdhsa_user_sgpr_kernarg_preload_offset 0
		.amdhsa_user_sgpr_private_segment_size 0
		.amdhsa_uses_dynamic_stack 0
		.amdhsa_enable_private_segment 0
		.amdhsa_system_sgpr_workgroup_id_x 1
		.amdhsa_system_sgpr_workgroup_id_y 0
		.amdhsa_system_sgpr_workgroup_id_z 0
		.amdhsa_system_sgpr_workgroup_info 0
		.amdhsa_system_vgpr_workitem_id 0
		.amdhsa_next_free_vgpr 40
		.amdhsa_next_free_sgpr 42
		.amdhsa_accum_offset 40
		.amdhsa_reserve_vcc 1
		.amdhsa_float_round_mode_32 0
		.amdhsa_float_round_mode_16_64 0
		.amdhsa_float_denorm_mode_32 3
		.amdhsa_float_denorm_mode_16_64 3
		.amdhsa_dx10_clamp 1
		.amdhsa_ieee_mode 1
		.amdhsa_fp16_overflow 0
		.amdhsa_tg_split 0
		.amdhsa_exception_fp_ieee_invalid_op 0
		.amdhsa_exception_fp_denorm_src 0
		.amdhsa_exception_fp_ieee_div_zero 0
		.amdhsa_exception_fp_ieee_overflow 0
		.amdhsa_exception_fp_ieee_underflow 0
		.amdhsa_exception_fp_ieee_inexact 0
		.amdhsa_exception_int_div_zero 0
	.end_amdhsa_kernel
	.section	.text._ZN9rocsparseL44csr2gebsr_wavefront_per_row_multipass_kernelILi256ELi4ELi64ELi64E21rocsparse_complex_numIfEEEv20rocsparse_direction_iiiiii21rocsparse_index_base_PKT3_PKiS9_S4_PS5_PiSB_,"axG",@progbits,_ZN9rocsparseL44csr2gebsr_wavefront_per_row_multipass_kernelILi256ELi4ELi64ELi64E21rocsparse_complex_numIfEEEv20rocsparse_direction_iiiiii21rocsparse_index_base_PKT3_PKiS9_S4_PS5_PiSB_,comdat
.Lfunc_end140:
	.size	_ZN9rocsparseL44csr2gebsr_wavefront_per_row_multipass_kernelILi256ELi4ELi64ELi64E21rocsparse_complex_numIfEEEv20rocsparse_direction_iiiiii21rocsparse_index_base_PKT3_PKiS9_S4_PS5_PiSB_, .Lfunc_end140-_ZN9rocsparseL44csr2gebsr_wavefront_per_row_multipass_kernelILi256ELi4ELi64ELi64E21rocsparse_complex_numIfEEEv20rocsparse_direction_iiiiii21rocsparse_index_base_PKT3_PKiS9_S4_PS5_PiSB_
                                        ; -- End function
	.section	.AMDGPU.csdata,"",@progbits
; Kernel info:
; codeLenInByte = 1612
; NumSgprs: 48
; NumVgprs: 40
; NumAgprs: 0
; TotalNumVgprs: 40
; ScratchSize: 0
; MemoryBound: 0
; FloatMode: 240
; IeeeMode: 1
; LDSByteSize: 8196 bytes/workgroup (compile time only)
; SGPRBlocks: 5
; VGPRBlocks: 4
; NumSGPRsForWavesPerEU: 48
; NumVGPRsForWavesPerEU: 40
; AccumOffset: 40
; Occupancy: 7
; WaveLimiterHint : 0
; COMPUTE_PGM_RSRC2:SCRATCH_EN: 0
; COMPUTE_PGM_RSRC2:USER_SGPR: 2
; COMPUTE_PGM_RSRC2:TRAP_HANDLER: 0
; COMPUTE_PGM_RSRC2:TGID_X_EN: 1
; COMPUTE_PGM_RSRC2:TGID_Y_EN: 0
; COMPUTE_PGM_RSRC2:TGID_Z_EN: 0
; COMPUTE_PGM_RSRC2:TIDIG_COMP_CNT: 0
; COMPUTE_PGM_RSRC3_GFX90A:ACCUM_OFFSET: 9
; COMPUTE_PGM_RSRC3_GFX90A:TG_SPLIT: 0
	.section	.text._ZN9rocsparseL44csr2gebsr_wavefront_per_row_multipass_kernelILi256ELi4ELi64ELi32E21rocsparse_complex_numIfEEEv20rocsparse_direction_iiiiii21rocsparse_index_base_PKT3_PKiS9_S4_PS5_PiSB_,"axG",@progbits,_ZN9rocsparseL44csr2gebsr_wavefront_per_row_multipass_kernelILi256ELi4ELi64ELi32E21rocsparse_complex_numIfEEEv20rocsparse_direction_iiiiii21rocsparse_index_base_PKT3_PKiS9_S4_PS5_PiSB_,comdat
	.globl	_ZN9rocsparseL44csr2gebsr_wavefront_per_row_multipass_kernelILi256ELi4ELi64ELi32E21rocsparse_complex_numIfEEEv20rocsparse_direction_iiiiii21rocsparse_index_base_PKT3_PKiS9_S4_PS5_PiSB_ ; -- Begin function _ZN9rocsparseL44csr2gebsr_wavefront_per_row_multipass_kernelILi256ELi4ELi64ELi32E21rocsparse_complex_numIfEEEv20rocsparse_direction_iiiiii21rocsparse_index_base_PKT3_PKiS9_S4_PS5_PiSB_
	.p2align	8
	.type	_ZN9rocsparseL44csr2gebsr_wavefront_per_row_multipass_kernelILi256ELi4ELi64ELi32E21rocsparse_complex_numIfEEEv20rocsparse_direction_iiiiii21rocsparse_index_base_PKT3_PKiS9_S4_PS5_PiSB_,@function
_ZN9rocsparseL44csr2gebsr_wavefront_per_row_multipass_kernelILi256ELi4ELi64ELi32E21rocsparse_complex_numIfEEEv20rocsparse_direction_iiiiii21rocsparse_index_base_PKT3_PKiS9_S4_PS5_PiSB_: ; @_ZN9rocsparseL44csr2gebsr_wavefront_per_row_multipass_kernelILi256ELi4ELi64ELi32E21rocsparse_complex_numIfEEEv20rocsparse_direction_iiiiii21rocsparse_index_base_PKT3_PKiS9_S4_PS5_PiSB_
; %bb.0:
	s_load_dwordx2 s[4:5], s[0:1], 0x0
	s_load_dwordx4 s[20:23], s[0:1], 0xc
	s_load_dword s33, s[0:1], 0x1c
	s_load_dwordx2 s[6:7], s[0:1], 0x28
	v_lshrrev_b32_e32 v32, 5, v0
	v_bfe_u32 v8, v0, 3, 2
	v_lshl_or_b32 v4, s2, 3, v32
	s_waitcnt lgkmcnt(0)
	v_mad_u64_u32 v[2:3], s[2:3], v4, s22, v[8:9]
	v_cmp_gt_i32_e32 vcc, s5, v2
	v_cmp_gt_i32_e64 s[2:3], s22, v8
	s_and_b64 s[8:9], s[2:3], vcc
	v_mov_b32_e32 v33, 0
	v_mov_b32_e32 v24, 0
	s_and_saveexec_b64 s[10:11], s[8:9]
	s_cbranch_execz .LBB141_2
; %bb.1:
	v_ashrrev_i32_e32 v3, 31, v2
	v_lshl_add_u64 v[6:7], v[2:3], 2, s[6:7]
	global_load_dword v1, v[6:7], off
	s_waitcnt vmcnt(0)
	v_subrev_u32_e32 v24, s33, v1
.LBB141_2:
	s_or_b64 exec, exec, s[10:11]
	s_and_saveexec_b64 s[10:11], s[8:9]
	s_cbranch_execz .LBB141_4
; %bb.3:
	v_ashrrev_i32_e32 v3, 31, v2
	v_lshl_add_u64 v[2:3], v[2:3], 2, s[6:7]
	global_load_dword v1, v[2:3], off offset:4
	s_waitcnt vmcnt(0)
	v_subrev_u32_e32 v33, s33, v1
.LBB141_4:
	s_or_b64 exec, exec, s[10:11]
	s_load_dword s50, s[0:1], 0x38
	v_cmp_gt_i32_e32 vcc, s20, v4
	v_mov_b32_e32 v2, 0
	s_and_saveexec_b64 s[6:7], vcc
	s_cbranch_execz .LBB141_6
; %bb.5:
	s_load_dwordx2 s[8:9], s[0:1], 0x48
	v_ashrrev_i32_e32 v5, 31, v4
	s_waitcnt lgkmcnt(0)
	v_lshl_add_u64 v[2:3], v[4:5], 2, s[8:9]
	global_load_dword v1, v[2:3], off
	s_waitcnt vmcnt(0)
	v_subrev_u32_e32 v2, s50, v1
.LBB141_6:
	s_or_b64 exec, exec, s[6:7]
	s_cmp_lt_i32 s21, 1
	s_cbranch_scc1 .LBB141_35
; %bb.7:
	s_load_dwordx2 s[18:19], s[0:1], 0x20
	s_load_dwordx2 s[24:25], s[0:1], 0x50
	;; [unrolled: 1-line block ×4, first 2 shown]
	v_lshlrev_b32_e32 v1, 8, v32
	v_lshl_or_b32 v34, v8, 6, v1
	v_lshlrev_b32_e32 v4, 3, v8
	v_mul_lo_u32 v8, v8, s23
	v_and_b32_e32 v0, 7, v0
	v_mbcnt_lo_u32_b32 v1, -1, 0
	s_cmp_eq_u32 s4, 0
	v_mov_b32_e32 v5, 0
	v_ashrrev_i32_e32 v9, 31, v8
	v_mbcnt_hi_u32_b32 v1, -1, v1
	s_cselect_b64 vcc, -1, 0
	s_ashr_i32 s20, s23, 31
	s_waitcnt lgkmcnt(0)
	v_lshl_add_u64 v[6:7], s[6:7], 0, v[4:5]
	v_lshl_add_u64 v[8:9], v[8:9], 3, s[6:7]
	v_lshlrev_b32_e32 v4, 3, v0
	v_lshlrev_b32_e32 v3, 2, v1
	v_or_b32_e32 v10, v34, v0
	s_mul_hi_u32 s0, s23, s22
	s_mul_i32 s1, s20, s22
	s_mul_i32 s52, s23, s22
	v_lshl_add_u64 v[8:9], v[8:9], 0, v[4:5]
	v_mul_lo_u32 v4, v0, s22
	s_lshl_b32 s22, s22, 3
	v_or_b32_e32 v36, 28, v3
	v_or_b32_e32 v37, 0x7c, v3
	v_lshlrev_b32_e32 v38, 3, v10
	v_or_b32_e32 v3, 8, v0
	v_add_u32_e32 v10, s22, v4
	v_cmp_gt_u32_e64 s[4:5], s23, v3
	v_or_b32_e32 v3, 16, v0
	v_add_u32_e32 v12, s22, v10
	v_cmp_gt_u32_e64 s[6:7], s23, v3
	;; [unrolled: 3-line block ×6, first 2 shown]
	v_or_b32_e32 v3, 56, v0
	v_add_u32_e32 v22, s22, v20
	s_abs_i32 s22, s23
	v_cmp_gt_u32_e64 s[16:17], s23, v3
	v_cvt_f32_u32_e32 v3, s22
	s_add_i32 s51, s0, s1
	v_cmp_gt_u32_e64 s[0:1], s23, v0
	s_and_b64 s[28:29], s[0:1], s[2:3]
	v_rcp_iflag_f32_e32 v3, v3
	s_sub_i32 s0, 0, s22
	s_mov_b32 s34, 0
	s_mov_b32 s35, s34
	v_mul_f32_e32 v3, 0x4f7ffffe, v3
	v_cvt_u32_f32_e32 v3, v3
	v_mov_b32_e32 v35, 0
	v_mov_b32_e32 v1, v5
	;; [unrolled: 1-line block ×3, first 2 shown]
	v_mul_lo_u32 v25, s0, v3
	v_mul_hi_u32 v25, v3, v25
	v_mov_b32_e32 v13, v5
	v_mov_b32_e32 v15, v5
	;; [unrolled: 1-line block ×6, first 2 shown]
	s_and_b64 s[4:5], s[2:3], s[4:5]
	s_and_b64 s[6:7], s[2:3], s[6:7]
	;; [unrolled: 1-line block ×7, first 2 shown]
	v_add_u32_e32 v39, v3, v25
	s_mov_b64 s[30:31], 0
	v_mov_b64_e32 v[26:27], s[34:35]
	s_mov_b64 s[34:35], 0x80
	s_mov_b64 s[36:37], 0xc0
	;; [unrolled: 1-line block ×6, first 2 shown]
	v_mov_b32_e32 v40, 1
	v_mov_b32_e32 v3, 0
	s_branch .LBB141_10
.LBB141_8:                              ;   in Loop: Header=BB141_10 Depth=1
	s_or_b64 exec, exec, s[0:1]
	v_mov_b32_e32 v25, 1
.LBB141_9:                              ;   in Loop: Header=BB141_10 Depth=1
	s_or_b64 exec, exec, s[2:3]
	v_mov_b32_dpp v3, v41 row_shr:1 row_mask:0xf bank_mask:0xf
	v_min_i32_e32 v3, v3, v41
	v_add_u32_e32 v2, v25, v2
	s_waitcnt lgkmcnt(0)
	v_mov_b32_dpp v28, v3 row_shr:2 row_mask:0xf bank_mask:0xf
	v_min_i32_e32 v3, v28, v3
	s_nop 1
	v_mov_b32_dpp v28, v3 row_shr:4 row_mask:0xf bank_mask:0xe
	v_min_i32_e32 v3, v28, v3
	s_nop 1
	;; [unrolled: 3-line block ×3, first 2 shown]
	v_mov_b32_dpp v28, v3 row_bcast:15 row_mask:0xa bank_mask:0xf
	v_min_i32_e32 v3, v28, v3
	ds_bpermute_b32 v3, v37, v3
	s_waitcnt lgkmcnt(0)
	v_cmp_le_i32_e64 s[0:1], s21, v3
	s_or_b64 s[30:31], s[0:1], s[30:31]
	s_andn2_b64 exec, exec, s[30:31]
	s_cbranch_execz .LBB141_35
.LBB141_10:                             ; =>This Loop Header: Depth=1
                                        ;     Child Loop BB141_13 Depth 2
	v_add_u32_e32 v30, v24, v0
	v_cmp_lt_i32_e64 s[0:1], v30, v33
	v_mov_b32_e32 v41, s21
	v_mov_b32_e32 v42, v33
	ds_write_b8 v32, v35 offset:16384
	ds_write2_b64 v38, v[26:27], v[26:27] offset1:8
	ds_write2_b64 v38, v[26:27], v[26:27] offset0:16 offset1:24
	ds_write2_b64 v38, v[26:27], v[26:27] offset0:32 offset1:40
	;; [unrolled: 1-line block ×3, first 2 shown]
	s_waitcnt lgkmcnt(0)
	s_and_saveexec_b64 s[46:47], s[0:1]
	s_cbranch_execz .LBB141_18
; %bb.11:                               ;   in Loop: Header=BB141_10 Depth=1
	v_ashrrev_i32_e32 v25, 31, v24
	v_lshl_add_u64 v[28:29], v[0:1], 0, v[24:25]
	v_mul_lo_u32 v31, v3, s23
	v_lshl_add_u64 v[24:25], v[28:29], 2, s[26:27]
	v_lshl_add_u64 v[28:29], v[28:29], 3, s[18:19]
	s_mov_b64 s[48:49], 0
	v_mov_b32_e32 v41, s21
	v_mov_b32_e32 v42, v33
	s_branch .LBB141_13
.LBB141_12:                             ;   in Loop: Header=BB141_13 Depth=2
	s_or_b64 exec, exec, s[2:3]
	v_add_u32_e32 v30, 8, v30
	v_cmp_ge_i32_e64 s[2:3], v30, v33
	s_xor_b64 s[0:1], s[0:1], -1
	s_or_b64 s[0:1], s[0:1], s[2:3]
	s_and_b64 s[0:1], exec, s[0:1]
	v_lshl_add_u64 v[24:25], v[24:25], 0, 32
	s_or_b64 s[48:49], s[0:1], s[48:49]
	v_lshl_add_u64 v[28:29], v[28:29], 0, 64
	s_andn2_b64 exec, exec, s[48:49]
	s_cbranch_execz .LBB141_17
.LBB141_13:                             ;   Parent Loop BB141_10 Depth=1
                                        ; =>  This Inner Loop Header: Depth=2
	global_load_dword v43, v[24:25], off
	s_waitcnt vmcnt(0)
	v_subrev_u32_e32 v43, s33, v43
	v_sub_u32_e32 v45, 0, v43
	v_max_i32_e32 v45, v43, v45
	v_mul_hi_u32 v46, v45, v39
	v_mul_lo_u32 v47, v46, s22
	v_sub_u32_e32 v45, v45, v47
	v_add_u32_e32 v48, 1, v46
	v_cmp_le_u32_e64 s[0:1], s22, v45
	v_subrev_u32_e32 v47, s22, v45
	v_ashrrev_i32_e32 v44, 31, v43
	v_cndmask_b32_e64 v46, v46, v48, s[0:1]
	v_cndmask_b32_e64 v45, v45, v47, s[0:1]
	v_add_u32_e32 v47, 1, v46
	v_cmp_le_u32_e64 s[0:1], s22, v45
	v_xor_b32_e32 v44, s20, v44
	s_nop 0
	v_cndmask_b32_e64 v45, v46, v47, s[0:1]
	v_xor_b32_e32 v45, v45, v44
	v_sub_u32_e32 v45, v45, v44
	v_cmp_eq_u32_e64 s[0:1], v45, v3
	v_cmp_ne_u32_e64 s[2:3], v45, v3
	v_mov_b32_e32 v44, v42
	s_and_saveexec_b64 s[54:55], s[2:3]
	s_xor_b64 s[2:3], exec, s[54:55]
; %bb.14:                               ;   in Loop: Header=BB141_13 Depth=2
	v_min_i32_e32 v41, v45, v41
                                        ; implicit-def: $vgpr43
                                        ; implicit-def: $vgpr44
; %bb.15:                               ;   in Loop: Header=BB141_13 Depth=2
	s_or_saveexec_b64 s[2:3], s[2:3]
	v_mov_b32_e32 v42, v30
	s_xor_b64 exec, exec, s[2:3]
	s_cbranch_execz .LBB141_12
; %bb.16:                               ;   in Loop: Header=BB141_13 Depth=2
	global_load_dwordx2 v[46:47], v[28:29], off
	v_sub_u32_e32 v42, v43, v31
	v_add_lshl_u32 v42, v34, v42, 3
	ds_write_b8 v32, v40 offset:16384
	s_waitcnt vmcnt(0)
	ds_write_b64 v42, v[46:47]
	v_mov_b32_e32 v42, v44
	s_branch .LBB141_12
.LBB141_17:                             ;   in Loop: Header=BB141_10 Depth=1
	s_or_b64 exec, exec, s[48:49]
.LBB141_18:                             ;   in Loop: Header=BB141_10 Depth=1
	s_or_b64 exec, exec, s[46:47]
	v_mov_b32_dpp v24, v42 row_shr:1 row_mask:0xf bank_mask:0xf
	v_min_i32_e32 v24, v24, v42
	s_waitcnt lgkmcnt(0)
	s_nop 0
	v_mov_b32_dpp v25, v24 row_shr:2 row_mask:0xf bank_mask:0xf
	v_min_i32_e32 v24, v25, v24
	ds_read_u8 v25, v32 offset:16384
	s_waitcnt lgkmcnt(0)
	v_and_b32_e32 v25, 1, v25
	v_mov_b32_dpp v28, v24 row_shr:4 row_mask:0xf bank_mask:0xe
	v_min_i32_e32 v24, v28, v24
	ds_bpermute_b32 v24, v36, v24
	v_cmp_eq_u32_e64 s[0:1], 1, v25
	v_mov_b32_e32 v25, 0
	s_and_saveexec_b64 s[2:3], s[0:1]
	s_cbranch_execz .LBB141_9
; %bb.19:                               ;   in Loop: Header=BB141_10 Depth=1
	v_add_u32_e32 v25, s50, v3
	v_ashrrev_i32_e32 v3, 31, v2
	v_lshl_add_u64 v[28:29], v[2:3], 2, s[24:25]
	global_store_dword v[28:29], v25, off
	v_mul_lo_u32 v25, s51, v2
	v_mul_lo_u32 v3, s52, v3
	v_mad_u64_u32 v[28:29], s[0:1], s52, v2, 0
	v_add3_u32 v29, v29, v3, v25
	v_lshlrev_b64 v[30:31], 3, v[28:29]
	v_lshl_add_u64 v[28:29], v[6:7], 0, v[30:31]
	v_lshl_add_u64 v[30:31], v[8:9], 0, v[30:31]
	s_and_saveexec_b64 s[0:1], s[28:29]
	s_cbranch_execnz .LBB141_27
; %bb.20:                               ;   in Loop: Header=BB141_10 Depth=1
	s_or_b64 exec, exec, s[0:1]
	s_and_saveexec_b64 s[0:1], s[4:5]
	s_cbranch_execnz .LBB141_28
.LBB141_21:                             ;   in Loop: Header=BB141_10 Depth=1
	s_or_b64 exec, exec, s[0:1]
	s_and_saveexec_b64 s[0:1], s[6:7]
	s_cbranch_execnz .LBB141_29
.LBB141_22:                             ;   in Loop: Header=BB141_10 Depth=1
	s_or_b64 exec, exec, s[0:1]
	s_and_saveexec_b64 s[0:1], s[8:9]
	s_cbranch_execnz .LBB141_30
.LBB141_23:                             ;   in Loop: Header=BB141_10 Depth=1
	s_or_b64 exec, exec, s[0:1]
	s_and_saveexec_b64 s[0:1], s[10:11]
	s_cbranch_execnz .LBB141_31
.LBB141_24:                             ;   in Loop: Header=BB141_10 Depth=1
	s_or_b64 exec, exec, s[0:1]
	s_and_saveexec_b64 s[0:1], s[12:13]
	s_cbranch_execnz .LBB141_32
.LBB141_25:                             ;   in Loop: Header=BB141_10 Depth=1
	s_or_b64 exec, exec, s[0:1]
	s_and_saveexec_b64 s[0:1], s[14:15]
	s_cbranch_execnz .LBB141_33
.LBB141_26:                             ;   in Loop: Header=BB141_10 Depth=1
	s_or_b64 exec, exec, s[0:1]
	s_and_saveexec_b64 s[0:1], s[16:17]
	s_cbranch_execz .LBB141_8
	s_branch .LBB141_34
.LBB141_27:                             ;   in Loop: Header=BB141_10 Depth=1
	ds_read_b64 v[42:43], v38
	v_lshl_add_u64 v[44:45], v[4:5], 3, v[28:29]
	v_cndmask_b32_e32 v45, v45, v31, vcc
	v_cndmask_b32_e32 v44, v44, v30, vcc
	s_waitcnt lgkmcnt(0)
	global_store_dwordx2 v[44:45], v[42:43], off
	s_or_b64 exec, exec, s[0:1]
	s_and_saveexec_b64 s[0:1], s[4:5]
	s_cbranch_execz .LBB141_21
.LBB141_28:                             ;   in Loop: Header=BB141_10 Depth=1
	ds_read_b64 v[42:43], v38 offset:64
	v_lshl_add_u64 v[44:45], v[30:31], 0, 64
	v_lshl_add_u64 v[46:47], v[10:11], 3, v[28:29]
	v_cndmask_b32_e32 v45, v47, v45, vcc
	v_cndmask_b32_e32 v44, v46, v44, vcc
	s_waitcnt lgkmcnt(0)
	global_store_dwordx2 v[44:45], v[42:43], off
	s_or_b64 exec, exec, s[0:1]
	s_and_saveexec_b64 s[0:1], s[6:7]
	s_cbranch_execz .LBB141_22
.LBB141_29:                             ;   in Loop: Header=BB141_10 Depth=1
	ds_read_b64 v[42:43], v38 offset:128
	v_lshl_add_u64 v[44:45], v[30:31], 0, s[34:35]
	v_lshl_add_u64 v[46:47], v[12:13], 3, v[28:29]
	v_cndmask_b32_e32 v45, v47, v45, vcc
	v_cndmask_b32_e32 v44, v46, v44, vcc
	s_waitcnt lgkmcnt(0)
	global_store_dwordx2 v[44:45], v[42:43], off
	s_or_b64 exec, exec, s[0:1]
	s_and_saveexec_b64 s[0:1], s[8:9]
	s_cbranch_execz .LBB141_23
.LBB141_30:                             ;   in Loop: Header=BB141_10 Depth=1
	ds_read_b64 v[42:43], v38 offset:192
	v_lshl_add_u64 v[44:45], v[30:31], 0, s[36:37]
	v_lshl_add_u64 v[46:47], v[14:15], 3, v[28:29]
	v_cndmask_b32_e32 v45, v47, v45, vcc
	v_cndmask_b32_e32 v44, v46, v44, vcc
	s_waitcnt lgkmcnt(0)
	global_store_dwordx2 v[44:45], v[42:43], off
	s_or_b64 exec, exec, s[0:1]
	s_and_saveexec_b64 s[0:1], s[10:11]
	s_cbranch_execz .LBB141_24
.LBB141_31:                             ;   in Loop: Header=BB141_10 Depth=1
	ds_read_b64 v[42:43], v38 offset:256
	v_lshl_add_u64 v[44:45], v[30:31], 0, s[38:39]
	v_lshl_add_u64 v[46:47], v[16:17], 3, v[28:29]
	v_cndmask_b32_e32 v45, v47, v45, vcc
	v_cndmask_b32_e32 v44, v46, v44, vcc
	s_waitcnt lgkmcnt(0)
	global_store_dwordx2 v[44:45], v[42:43], off
	s_or_b64 exec, exec, s[0:1]
	s_and_saveexec_b64 s[0:1], s[12:13]
	s_cbranch_execz .LBB141_25
.LBB141_32:                             ;   in Loop: Header=BB141_10 Depth=1
	ds_read_b64 v[42:43], v38 offset:320
	v_lshl_add_u64 v[44:45], v[30:31], 0, s[40:41]
	v_lshl_add_u64 v[46:47], v[18:19], 3, v[28:29]
	v_cndmask_b32_e32 v45, v47, v45, vcc
	v_cndmask_b32_e32 v44, v46, v44, vcc
	s_waitcnt lgkmcnt(0)
	global_store_dwordx2 v[44:45], v[42:43], off
	s_or_b64 exec, exec, s[0:1]
	s_and_saveexec_b64 s[0:1], s[14:15]
	s_cbranch_execz .LBB141_26
.LBB141_33:                             ;   in Loop: Header=BB141_10 Depth=1
	ds_read_b64 v[42:43], v38 offset:384
	v_lshl_add_u64 v[44:45], v[30:31], 0, s[42:43]
	v_lshl_add_u64 v[46:47], v[20:21], 3, v[28:29]
	v_cndmask_b32_e32 v45, v47, v45, vcc
	v_cndmask_b32_e32 v44, v46, v44, vcc
	s_waitcnt lgkmcnt(0)
	global_store_dwordx2 v[44:45], v[42:43], off
	s_or_b64 exec, exec, s[0:1]
	s_and_saveexec_b64 s[0:1], s[16:17]
	s_cbranch_execz .LBB141_8
.LBB141_34:                             ;   in Loop: Header=BB141_10 Depth=1
	ds_read_b64 v[42:43], v38 offset:448
	v_lshl_add_u64 v[30:31], v[30:31], 0, s[44:45]
	v_lshl_add_u64 v[28:29], v[22:23], 3, v[28:29]
	v_cndmask_b32_e32 v29, v29, v31, vcc
	v_cndmask_b32_e32 v28, v28, v30, vcc
	s_waitcnt lgkmcnt(0)
	global_store_dwordx2 v[28:29], v[42:43], off
	s_branch .LBB141_8
.LBB141_35:
	s_endpgm
	.section	.rodata,"a",@progbits
	.p2align	6, 0x0
	.amdhsa_kernel _ZN9rocsparseL44csr2gebsr_wavefront_per_row_multipass_kernelILi256ELi4ELi64ELi32E21rocsparse_complex_numIfEEEv20rocsparse_direction_iiiiii21rocsparse_index_base_PKT3_PKiS9_S4_PS5_PiSB_
		.amdhsa_group_segment_fixed_size 16392
		.amdhsa_private_segment_fixed_size 0
		.amdhsa_kernarg_size 88
		.amdhsa_user_sgpr_count 2
		.amdhsa_user_sgpr_dispatch_ptr 0
		.amdhsa_user_sgpr_queue_ptr 0
		.amdhsa_user_sgpr_kernarg_segment_ptr 1
		.amdhsa_user_sgpr_dispatch_id 0
		.amdhsa_user_sgpr_kernarg_preload_length 0
		.amdhsa_user_sgpr_kernarg_preload_offset 0
		.amdhsa_user_sgpr_private_segment_size 0
		.amdhsa_uses_dynamic_stack 0
		.amdhsa_enable_private_segment 0
		.amdhsa_system_sgpr_workgroup_id_x 1
		.amdhsa_system_sgpr_workgroup_id_y 0
		.amdhsa_system_sgpr_workgroup_id_z 0
		.amdhsa_system_sgpr_workgroup_info 0
		.amdhsa_system_vgpr_workitem_id 0
		.amdhsa_next_free_vgpr 49
		.amdhsa_next_free_sgpr 56
		.amdhsa_accum_offset 52
		.amdhsa_reserve_vcc 1
		.amdhsa_float_round_mode_32 0
		.amdhsa_float_round_mode_16_64 0
		.amdhsa_float_denorm_mode_32 3
		.amdhsa_float_denorm_mode_16_64 3
		.amdhsa_dx10_clamp 1
		.amdhsa_ieee_mode 1
		.amdhsa_fp16_overflow 0
		.amdhsa_tg_split 0
		.amdhsa_exception_fp_ieee_invalid_op 0
		.amdhsa_exception_fp_denorm_src 0
		.amdhsa_exception_fp_ieee_div_zero 0
		.amdhsa_exception_fp_ieee_overflow 0
		.amdhsa_exception_fp_ieee_underflow 0
		.amdhsa_exception_fp_ieee_inexact 0
		.amdhsa_exception_int_div_zero 0
	.end_amdhsa_kernel
	.section	.text._ZN9rocsparseL44csr2gebsr_wavefront_per_row_multipass_kernelILi256ELi4ELi64ELi32E21rocsparse_complex_numIfEEEv20rocsparse_direction_iiiiii21rocsparse_index_base_PKT3_PKiS9_S4_PS5_PiSB_,"axG",@progbits,_ZN9rocsparseL44csr2gebsr_wavefront_per_row_multipass_kernelILi256ELi4ELi64ELi32E21rocsparse_complex_numIfEEEv20rocsparse_direction_iiiiii21rocsparse_index_base_PKT3_PKiS9_S4_PS5_PiSB_,comdat
.Lfunc_end141:
	.size	_ZN9rocsparseL44csr2gebsr_wavefront_per_row_multipass_kernelILi256ELi4ELi64ELi32E21rocsparse_complex_numIfEEEv20rocsparse_direction_iiiiii21rocsparse_index_base_PKT3_PKiS9_S4_PS5_PiSB_, .Lfunc_end141-_ZN9rocsparseL44csr2gebsr_wavefront_per_row_multipass_kernelILi256ELi4ELi64ELi32E21rocsparse_complex_numIfEEEv20rocsparse_direction_iiiiii21rocsparse_index_base_PKT3_PKiS9_S4_PS5_PiSB_
                                        ; -- End function
	.section	.AMDGPU.csdata,"",@progbits
; Kernel info:
; codeLenInByte = 1960
; NumSgprs: 62
; NumVgprs: 49
; NumAgprs: 0
; TotalNumVgprs: 49
; ScratchSize: 0
; MemoryBound: 0
; FloatMode: 240
; IeeeMode: 1
; LDSByteSize: 16392 bytes/workgroup (compile time only)
; SGPRBlocks: 7
; VGPRBlocks: 6
; NumSGPRsForWavesPerEU: 62
; NumVGPRsForWavesPerEU: 49
; AccumOffset: 52
; Occupancy: 3
; WaveLimiterHint : 0
; COMPUTE_PGM_RSRC2:SCRATCH_EN: 0
; COMPUTE_PGM_RSRC2:USER_SGPR: 2
; COMPUTE_PGM_RSRC2:TRAP_HANDLER: 0
; COMPUTE_PGM_RSRC2:TGID_X_EN: 1
; COMPUTE_PGM_RSRC2:TGID_Y_EN: 0
; COMPUTE_PGM_RSRC2:TGID_Z_EN: 0
; COMPUTE_PGM_RSRC2:TIDIG_COMP_CNT: 0
; COMPUTE_PGM_RSRC3_GFX90A:ACCUM_OFFSET: 12
; COMPUTE_PGM_RSRC3_GFX90A:TG_SPLIT: 0
	.section	.text._ZN9rocsparseL44csr2gebsr_wavefront_per_row_multipass_kernelILi256ELi8ELi2ELi16E21rocsparse_complex_numIfEEEv20rocsparse_direction_iiiiii21rocsparse_index_base_PKT3_PKiS9_S4_PS5_PiSB_,"axG",@progbits,_ZN9rocsparseL44csr2gebsr_wavefront_per_row_multipass_kernelILi256ELi8ELi2ELi16E21rocsparse_complex_numIfEEEv20rocsparse_direction_iiiiii21rocsparse_index_base_PKT3_PKiS9_S4_PS5_PiSB_,comdat
	.globl	_ZN9rocsparseL44csr2gebsr_wavefront_per_row_multipass_kernelILi256ELi8ELi2ELi16E21rocsparse_complex_numIfEEEv20rocsparse_direction_iiiiii21rocsparse_index_base_PKT3_PKiS9_S4_PS5_PiSB_ ; -- Begin function _ZN9rocsparseL44csr2gebsr_wavefront_per_row_multipass_kernelILi256ELi8ELi2ELi16E21rocsparse_complex_numIfEEEv20rocsparse_direction_iiiiii21rocsparse_index_base_PKT3_PKiS9_S4_PS5_PiSB_
	.p2align	8
	.type	_ZN9rocsparseL44csr2gebsr_wavefront_per_row_multipass_kernelILi256ELi8ELi2ELi16E21rocsparse_complex_numIfEEEv20rocsparse_direction_iiiiii21rocsparse_index_base_PKT3_PKiS9_S4_PS5_PiSB_,@function
_ZN9rocsparseL44csr2gebsr_wavefront_per_row_multipass_kernelILi256ELi8ELi2ELi16E21rocsparse_complex_numIfEEEv20rocsparse_direction_iiiiii21rocsparse_index_base_PKT3_PKiS9_S4_PS5_PiSB_: ; @_ZN9rocsparseL44csr2gebsr_wavefront_per_row_multipass_kernelILi256ELi8ELi2ELi16E21rocsparse_complex_numIfEEEv20rocsparse_direction_iiiiii21rocsparse_index_base_PKT3_PKiS9_S4_PS5_PiSB_
; %bb.0:
	s_load_dwordx2 s[14:15], s[0:1], 0x0
	s_load_dwordx4 s[4:7], s[0:1], 0xc
	s_load_dword s20, s[0:1], 0x1c
	s_load_dwordx2 s[8:9], s[0:1], 0x28
	v_lshrrev_b32_e32 v12, 4, v0
	v_bfe_u32 v6, v0, 1, 3
	v_lshl_or_b32 v4, s2, 4, v12
	s_waitcnt lgkmcnt(0)
	v_mad_u64_u32 v[2:3], s[2:3], v4, s6, v[6:7]
	v_cmp_gt_i32_e64 s[2:3], s15, v2
	v_cmp_gt_i32_e32 vcc, s6, v6
	s_and_b64 s[2:3], vcc, s[2:3]
	v_mov_b32_e32 v13, 0
	v_mov_b32_e32 v8, 0
	s_and_saveexec_b64 s[10:11], s[2:3]
	s_cbranch_execz .LBB142_2
; %bb.1:
	v_ashrrev_i32_e32 v3, 31, v2
	v_lshl_add_u64 v[8:9], v[2:3], 2, s[8:9]
	global_load_dword v1, v[8:9], off
	s_waitcnt vmcnt(0)
	v_subrev_u32_e32 v8, s20, v1
.LBB142_2:
	s_or_b64 exec, exec, s[10:11]
	s_and_saveexec_b64 s[10:11], s[2:3]
	s_cbranch_execz .LBB142_4
; %bb.3:
	v_ashrrev_i32_e32 v3, 31, v2
	v_lshl_add_u64 v[2:3], v[2:3], 2, s[8:9]
	global_load_dword v1, v[2:3], off offset:4
	s_waitcnt vmcnt(0)
	v_subrev_u32_e32 v13, s20, v1
.LBB142_4:
	s_or_b64 exec, exec, s[10:11]
	s_load_dword s21, s[0:1], 0x38
	v_cmp_gt_i32_e64 s[2:3], s4, v4
	v_mov_b32_e32 v2, 0
	s_and_saveexec_b64 s[8:9], s[2:3]
	s_cbranch_execz .LBB142_6
; %bb.5:
	s_load_dwordx2 s[2:3], s[0:1], 0x48
	v_ashrrev_i32_e32 v5, 31, v4
	s_waitcnt lgkmcnt(0)
	v_lshl_add_u64 v[2:3], v[4:5], 2, s[2:3]
	global_load_dword v1, v[2:3], off
	s_waitcnt vmcnt(0)
	v_subrev_u32_e32 v2, s21, v1
.LBB142_6:
	s_or_b64 exec, exec, s[8:9]
	s_cmp_lt_i32 s5, 1
	s_cbranch_scc1 .LBB142_21
; %bb.7:
	v_and_b32_e32 v4, 1, v0
	s_load_dwordx2 s[2:3], s[0:1], 0x20
	s_load_dwordx2 s[8:9], s[0:1], 0x50
	;; [unrolled: 1-line block ×4, first 2 shown]
	v_cmp_gt_u32_e64 s[0:1], s7, v4
	s_and_b64 s[12:13], vcc, s[0:1]
	s_cmp_eq_u32 s14, 0
	s_cselect_b64 vcc, -1, 0
	s_abs_i32 s4, s7
	v_cvt_f32_u32_e32 v9, s4
	v_and_b32_e32 v0, 0xf0, v0
	v_lshl_or_b32 v14, v6, 1, v0
	v_mbcnt_lo_u32_b32 v0, -1, 0
	v_rcp_iflag_f32_e32 v9, v9
	v_mbcnt_hi_u32_b32 v0, -1, v0
	v_lshlrev_b32_e32 v3, 2, v0
	v_mov_b32_e32 v5, 0
	v_or_b32_e32 v15, 4, v3
	v_or_b32_e32 v0, v14, v4
	;; [unrolled: 1-line block ×3, first 2 shown]
	v_mul_f32_e32 v3, 0x4f7ffffe, v9
	v_lshlrev_b32_e32 v16, 3, v0
	v_mul_lo_u32 v0, v4, s6
	v_mov_b32_e32 v1, v5
	v_lshlrev_b32_e32 v10, 3, v6
	v_mul_lo_u32 v6, v6, s7
	v_cvt_u32_f32_e32 v3, v3
	s_waitcnt lgkmcnt(0)
	v_lshl_add_u64 v[0:1], v[0:1], 3, s[16:17]
	v_mov_b32_e32 v11, v5
	v_ashrrev_i32_e32 v7, 31, v6
	s_ashr_i32 s22, s7, 31
	v_lshl_add_u64 v[0:1], v[0:1], 0, v[10:11]
	v_lshl_add_u64 v[6:7], v[6:7], 3, s[16:17]
	v_lshlrev_b32_e32 v10, 3, v4
	s_mul_hi_u32 s0, s7, s6
	s_mul_i32 s1, s22, s6
	v_lshl_add_u64 v[6:7], v[6:7], 0, v[10:11]
	s_add_i32 s23, s0, s1
	s_sub_i32 s0, 0, s4
	v_cndmask_b32_e32 v0, v0, v6, vcc
	v_mul_lo_u32 v6, s0, v3
	v_mul_hi_u32 v6, v3, v6
	s_mul_i32 s6, s7, s6
	v_cndmask_b32_e32 v1, v1, v7, vcc
	v_add_u32_e32 v18, v3, v6
	s_mov_b64 s[14:15], 0
	v_mov_b32_e32 v6, v5
	v_mov_b32_e32 v7, v5
	;; [unrolled: 1-line block ×4, first 2 shown]
	s_branch .LBB142_10
.LBB142_8:                              ;   in Loop: Header=BB142_10 Depth=1
	s_or_b64 exec, exec, s[16:17]
	v_mov_b32_e32 v9, 1
.LBB142_9:                              ;   in Loop: Header=BB142_10 Depth=1
	s_or_b64 exec, exec, s[0:1]
	v_mov_b32_dpp v3, v20 row_shr:1 row_mask:0xf bank_mask:0xf
	v_min_i32_e32 v3, v3, v20
	v_add_u32_e32 v2, v9, v2
	s_waitcnt lgkmcnt(0)
	v_mov_b32_dpp v10, v3 row_shr:2 row_mask:0xf bank_mask:0xf
	v_min_i32_e32 v3, v10, v3
	s_nop 1
	v_mov_b32_dpp v10, v3 row_shr:4 row_mask:0xf bank_mask:0xe
	v_min_i32_e32 v3, v10, v3
	s_nop 1
	v_mov_b32_dpp v10, v3 row_shr:8 row_mask:0xf bank_mask:0xc
	v_min_i32_e32 v3, v10, v3
	ds_bpermute_b32 v3, v17, v3
	s_waitcnt lgkmcnt(0)
	v_cmp_le_i32_e32 vcc, s5, v3
	s_or_b64 s[14:15], vcc, s[14:15]
	s_andn2_b64 exec, exec, s[14:15]
	s_cbranch_execz .LBB142_21
.LBB142_10:                             ; =>This Loop Header: Depth=1
                                        ;     Child Loop BB142_13 Depth 2
	v_add_u32_e32 v21, v8, v4
	v_cmp_lt_i32_e32 vcc, v21, v13
	v_mov_b32_e32 v20, s5
	v_mov_b32_e32 v23, v13
	ds_write_b8 v12, v5 offset:2048
	ds_write_b64 v16, v[6:7]
	s_waitcnt lgkmcnt(0)
	s_and_saveexec_b64 s[16:17], vcc
	s_cbranch_execz .LBB142_18
; %bb.11:                               ;   in Loop: Header=BB142_10 Depth=1
	v_ashrrev_i32_e32 v9, 31, v8
	v_lshl_add_u64 v[10:11], v[4:5], 0, v[8:9]
	v_mul_lo_u32 v22, v3, s7
	v_lshl_add_u64 v[8:9], v[10:11], 2, s[10:11]
	v_lshl_add_u64 v[10:11], v[10:11], 3, s[2:3]
	s_mov_b64 s[18:19], 0
	v_mov_b32_e32 v20, s5
	v_mov_b32_e32 v23, v13
	s_branch .LBB142_13
.LBB142_12:                             ;   in Loop: Header=BB142_13 Depth=2
	s_or_b64 exec, exec, s[0:1]
	v_add_u32_e32 v21, 2, v21
	v_cmp_ge_i32_e64 s[0:1], v21, v13
	s_xor_b64 s[24:25], vcc, -1
	s_or_b64 s[0:1], s[24:25], s[0:1]
	s_and_b64 s[0:1], exec, s[0:1]
	v_lshl_add_u64 v[8:9], v[8:9], 0, 8
	s_or_b64 s[18:19], s[0:1], s[18:19]
	v_lshl_add_u64 v[10:11], v[10:11], 0, 16
	s_andn2_b64 exec, exec, s[18:19]
	s_cbranch_execz .LBB142_17
.LBB142_13:                             ;   Parent Loop BB142_10 Depth=1
                                        ; =>  This Inner Loop Header: Depth=2
	global_load_dword v24, v[8:9], off
	s_waitcnt vmcnt(0)
	v_subrev_u32_e32 v24, s20, v24
	v_sub_u32_e32 v26, 0, v24
	v_max_i32_e32 v26, v24, v26
	v_mul_hi_u32 v27, v26, v18
	v_mul_lo_u32 v28, v27, s4
	v_sub_u32_e32 v26, v26, v28
	v_add_u32_e32 v29, 1, v27
	v_cmp_le_u32_e32 vcc, s4, v26
	v_subrev_u32_e32 v28, s4, v26
	v_ashrrev_i32_e32 v25, 31, v24
	v_cndmask_b32_e32 v27, v27, v29, vcc
	v_cndmask_b32_e32 v26, v26, v28, vcc
	v_add_u32_e32 v28, 1, v27
	v_cmp_le_u32_e32 vcc, s4, v26
	v_xor_b32_e32 v25, s22, v25
	s_nop 0
	v_cndmask_b32_e32 v26, v27, v28, vcc
	v_xor_b32_e32 v26, v26, v25
	v_sub_u32_e32 v26, v26, v25
	v_cmp_eq_u32_e32 vcc, v26, v3
	v_cmp_ne_u32_e64 s[0:1], v26, v3
	v_mov_b32_e32 v25, v23
	s_and_saveexec_b64 s[24:25], s[0:1]
	s_xor_b64 s[0:1], exec, s[24:25]
; %bb.14:                               ;   in Loop: Header=BB142_13 Depth=2
	v_min_i32_e32 v20, v26, v20
                                        ; implicit-def: $vgpr24
                                        ; implicit-def: $vgpr25
; %bb.15:                               ;   in Loop: Header=BB142_13 Depth=2
	s_or_saveexec_b64 s[0:1], s[0:1]
	v_mov_b32_e32 v23, v21
	s_xor_b64 exec, exec, s[0:1]
	s_cbranch_execz .LBB142_12
; %bb.16:                               ;   in Loop: Header=BB142_13 Depth=2
	global_load_dwordx2 v[26:27], v[10:11], off
	v_sub_u32_e32 v23, v24, v22
	v_add_lshl_u32 v23, v14, v23, 3
	ds_write_b8 v12, v19 offset:2048
	s_waitcnt vmcnt(0)
	ds_write_b64 v23, v[26:27]
	v_mov_b32_e32 v23, v25
	s_branch .LBB142_12
.LBB142_17:                             ;   in Loop: Header=BB142_10 Depth=1
	s_or_b64 exec, exec, s[18:19]
.LBB142_18:                             ;   in Loop: Header=BB142_10 Depth=1
	s_or_b64 exec, exec, s[16:17]
	s_waitcnt lgkmcnt(0)
	ds_read_u8 v9, v12 offset:2048
	v_mov_b32_dpp v8, v23 row_shr:1 row_mask:0xf bank_mask:0xf
	v_min_i32_e32 v8, v8, v23
	ds_bpermute_b32 v8, v15, v8
	s_waitcnt lgkmcnt(1)
	v_and_b32_e32 v9, 1, v9
	v_cmp_eq_u32_e32 vcc, 1, v9
	v_mov_b32_e32 v9, 0
	s_and_saveexec_b64 s[0:1], vcc
	s_cbranch_execz .LBB142_9
; %bb.19:                               ;   in Loop: Header=BB142_10 Depth=1
	v_add_u32_e32 v9, s21, v3
	v_ashrrev_i32_e32 v3, 31, v2
	v_lshl_add_u64 v[10:11], v[2:3], 2, s[8:9]
	global_store_dword v[10:11], v9, off
	s_and_saveexec_b64 s[16:17], s[12:13]
	s_cbranch_execz .LBB142_8
; %bb.20:                               ;   in Loop: Header=BB142_10 Depth=1
	ds_read_b64 v[10:11], v16
	v_mul_lo_u32 v9, s23, v2
	v_mul_lo_u32 v3, s6, v3
	v_mad_u64_u32 v[22:23], s[18:19], s6, v2, 0
	v_add3_u32 v23, v23, v3, v9
	v_lshl_add_u64 v[22:23], v[22:23], 3, v[0:1]
	s_waitcnt lgkmcnt(0)
	global_store_dwordx2 v[22:23], v[10:11], off
	s_branch .LBB142_8
.LBB142_21:
	s_endpgm
	.section	.rodata,"a",@progbits
	.p2align	6, 0x0
	.amdhsa_kernel _ZN9rocsparseL44csr2gebsr_wavefront_per_row_multipass_kernelILi256ELi8ELi2ELi16E21rocsparse_complex_numIfEEEv20rocsparse_direction_iiiiii21rocsparse_index_base_PKT3_PKiS9_S4_PS5_PiSB_
		.amdhsa_group_segment_fixed_size 2064
		.amdhsa_private_segment_fixed_size 0
		.amdhsa_kernarg_size 88
		.amdhsa_user_sgpr_count 2
		.amdhsa_user_sgpr_dispatch_ptr 0
		.amdhsa_user_sgpr_queue_ptr 0
		.amdhsa_user_sgpr_kernarg_segment_ptr 1
		.amdhsa_user_sgpr_dispatch_id 0
		.amdhsa_user_sgpr_kernarg_preload_length 0
		.amdhsa_user_sgpr_kernarg_preload_offset 0
		.amdhsa_user_sgpr_private_segment_size 0
		.amdhsa_uses_dynamic_stack 0
		.amdhsa_enable_private_segment 0
		.amdhsa_system_sgpr_workgroup_id_x 1
		.amdhsa_system_sgpr_workgroup_id_y 0
		.amdhsa_system_sgpr_workgroup_id_z 0
		.amdhsa_system_sgpr_workgroup_info 0
		.amdhsa_system_vgpr_workitem_id 0
		.amdhsa_next_free_vgpr 30
		.amdhsa_next_free_sgpr 26
		.amdhsa_accum_offset 32
		.amdhsa_reserve_vcc 1
		.amdhsa_float_round_mode_32 0
		.amdhsa_float_round_mode_16_64 0
		.amdhsa_float_denorm_mode_32 3
		.amdhsa_float_denorm_mode_16_64 3
		.amdhsa_dx10_clamp 1
		.amdhsa_ieee_mode 1
		.amdhsa_fp16_overflow 0
		.amdhsa_tg_split 0
		.amdhsa_exception_fp_ieee_invalid_op 0
		.amdhsa_exception_fp_denorm_src 0
		.amdhsa_exception_fp_ieee_div_zero 0
		.amdhsa_exception_fp_ieee_overflow 0
		.amdhsa_exception_fp_ieee_underflow 0
		.amdhsa_exception_fp_ieee_inexact 0
		.amdhsa_exception_int_div_zero 0
	.end_amdhsa_kernel
	.section	.text._ZN9rocsparseL44csr2gebsr_wavefront_per_row_multipass_kernelILi256ELi8ELi2ELi16E21rocsparse_complex_numIfEEEv20rocsparse_direction_iiiiii21rocsparse_index_base_PKT3_PKiS9_S4_PS5_PiSB_,"axG",@progbits,_ZN9rocsparseL44csr2gebsr_wavefront_per_row_multipass_kernelILi256ELi8ELi2ELi16E21rocsparse_complex_numIfEEEv20rocsparse_direction_iiiiii21rocsparse_index_base_PKT3_PKiS9_S4_PS5_PiSB_,comdat
.Lfunc_end142:
	.size	_ZN9rocsparseL44csr2gebsr_wavefront_per_row_multipass_kernelILi256ELi8ELi2ELi16E21rocsparse_complex_numIfEEEv20rocsparse_direction_iiiiii21rocsparse_index_base_PKT3_PKiS9_S4_PS5_PiSB_, .Lfunc_end142-_ZN9rocsparseL44csr2gebsr_wavefront_per_row_multipass_kernelILi256ELi8ELi2ELi16E21rocsparse_complex_numIfEEEv20rocsparse_direction_iiiiii21rocsparse_index_base_PKT3_PKiS9_S4_PS5_PiSB_
                                        ; -- End function
	.section	.AMDGPU.csdata,"",@progbits
; Kernel info:
; codeLenInByte = 1140
; NumSgprs: 32
; NumVgprs: 30
; NumAgprs: 0
; TotalNumVgprs: 30
; ScratchSize: 0
; MemoryBound: 0
; FloatMode: 240
; IeeeMode: 1
; LDSByteSize: 2064 bytes/workgroup (compile time only)
; SGPRBlocks: 3
; VGPRBlocks: 3
; NumSGPRsForWavesPerEU: 32
; NumVGPRsForWavesPerEU: 30
; AccumOffset: 32
; Occupancy: 8
; WaveLimiterHint : 0
; COMPUTE_PGM_RSRC2:SCRATCH_EN: 0
; COMPUTE_PGM_RSRC2:USER_SGPR: 2
; COMPUTE_PGM_RSRC2:TRAP_HANDLER: 0
; COMPUTE_PGM_RSRC2:TGID_X_EN: 1
; COMPUTE_PGM_RSRC2:TGID_Y_EN: 0
; COMPUTE_PGM_RSRC2:TGID_Z_EN: 0
; COMPUTE_PGM_RSRC2:TIDIG_COMP_CNT: 0
; COMPUTE_PGM_RSRC3_GFX90A:ACCUM_OFFSET: 7
; COMPUTE_PGM_RSRC3_GFX90A:TG_SPLIT: 0
	.section	.text._ZN9rocsparseL44csr2gebsr_wavefront_per_row_multipass_kernelILi256ELi8ELi4ELi32E21rocsparse_complex_numIfEEEv20rocsparse_direction_iiiiii21rocsparse_index_base_PKT3_PKiS9_S4_PS5_PiSB_,"axG",@progbits,_ZN9rocsparseL44csr2gebsr_wavefront_per_row_multipass_kernelILi256ELi8ELi4ELi32E21rocsparse_complex_numIfEEEv20rocsparse_direction_iiiiii21rocsparse_index_base_PKT3_PKiS9_S4_PS5_PiSB_,comdat
	.globl	_ZN9rocsparseL44csr2gebsr_wavefront_per_row_multipass_kernelILi256ELi8ELi4ELi32E21rocsparse_complex_numIfEEEv20rocsparse_direction_iiiiii21rocsparse_index_base_PKT3_PKiS9_S4_PS5_PiSB_ ; -- Begin function _ZN9rocsparseL44csr2gebsr_wavefront_per_row_multipass_kernelILi256ELi8ELi4ELi32E21rocsparse_complex_numIfEEEv20rocsparse_direction_iiiiii21rocsparse_index_base_PKT3_PKiS9_S4_PS5_PiSB_
	.p2align	8
	.type	_ZN9rocsparseL44csr2gebsr_wavefront_per_row_multipass_kernelILi256ELi8ELi4ELi32E21rocsparse_complex_numIfEEEv20rocsparse_direction_iiiiii21rocsparse_index_base_PKT3_PKiS9_S4_PS5_PiSB_,@function
_ZN9rocsparseL44csr2gebsr_wavefront_per_row_multipass_kernelILi256ELi8ELi4ELi32E21rocsparse_complex_numIfEEEv20rocsparse_direction_iiiiii21rocsparse_index_base_PKT3_PKiS9_S4_PS5_PiSB_: ; @_ZN9rocsparseL44csr2gebsr_wavefront_per_row_multipass_kernelILi256ELi8ELi4ELi32E21rocsparse_complex_numIfEEEv20rocsparse_direction_iiiiii21rocsparse_index_base_PKT3_PKiS9_S4_PS5_PiSB_
; %bb.0:
	s_load_dwordx2 s[14:15], s[0:1], 0x0
	s_load_dwordx4 s[4:7], s[0:1], 0xc
	s_load_dword s20, s[0:1], 0x1c
	s_load_dwordx2 s[8:9], s[0:1], 0x28
	v_lshrrev_b32_e32 v12, 5, v0
	v_bfe_u32 v6, v0, 2, 3
	v_lshl_or_b32 v4, s2, 3, v12
	s_waitcnt lgkmcnt(0)
	v_mad_u64_u32 v[2:3], s[2:3], v4, s6, v[6:7]
	v_cmp_gt_i32_e64 s[2:3], s15, v2
	v_cmp_gt_i32_e32 vcc, s6, v6
	s_and_b64 s[2:3], vcc, s[2:3]
	v_mov_b32_e32 v13, 0
	v_mov_b32_e32 v8, 0
	s_and_saveexec_b64 s[10:11], s[2:3]
	s_cbranch_execz .LBB143_2
; %bb.1:
	v_ashrrev_i32_e32 v3, 31, v2
	v_lshl_add_u64 v[8:9], v[2:3], 2, s[8:9]
	global_load_dword v1, v[8:9], off
	s_waitcnt vmcnt(0)
	v_subrev_u32_e32 v8, s20, v1
.LBB143_2:
	s_or_b64 exec, exec, s[10:11]
	s_and_saveexec_b64 s[10:11], s[2:3]
	s_cbranch_execz .LBB143_4
; %bb.3:
	v_ashrrev_i32_e32 v3, 31, v2
	v_lshl_add_u64 v[2:3], v[2:3], 2, s[8:9]
	global_load_dword v1, v[2:3], off offset:4
	s_waitcnt vmcnt(0)
	v_subrev_u32_e32 v13, s20, v1
.LBB143_4:
	s_or_b64 exec, exec, s[10:11]
	s_load_dword s21, s[0:1], 0x38
	v_cmp_gt_i32_e64 s[2:3], s4, v4
	v_mov_b32_e32 v2, 0
	s_and_saveexec_b64 s[8:9], s[2:3]
	s_cbranch_execz .LBB143_6
; %bb.5:
	s_load_dwordx2 s[2:3], s[0:1], 0x48
	v_ashrrev_i32_e32 v5, 31, v4
	s_waitcnt lgkmcnt(0)
	v_lshl_add_u64 v[2:3], v[4:5], 2, s[2:3]
	global_load_dword v1, v[2:3], off
	s_waitcnt vmcnt(0)
	v_subrev_u32_e32 v2, s21, v1
.LBB143_6:
	s_or_b64 exec, exec, s[8:9]
	s_cmp_lt_i32 s5, 1
	s_cbranch_scc1 .LBB143_21
; %bb.7:
	v_and_b32_e32 v4, 3, v0
	s_load_dwordx2 s[2:3], s[0:1], 0x20
	s_load_dwordx2 s[8:9], s[0:1], 0x50
	;; [unrolled: 1-line block ×4, first 2 shown]
	v_cmp_gt_u32_e64 s[0:1], s7, v4
	s_and_b64 s[12:13], vcc, s[0:1]
	s_cmp_eq_u32 s14, 0
	s_cselect_b64 vcc, -1, 0
	s_abs_i32 s4, s7
	v_cvt_f32_u32_e32 v9, s4
	v_and_b32_e32 v0, 0xe0, v0
	v_lshl_or_b32 v14, v6, 2, v0
	v_mbcnt_lo_u32_b32 v0, -1, 0
	v_rcp_iflag_f32_e32 v9, v9
	v_mbcnt_hi_u32_b32 v0, -1, v0
	v_lshlrev_b32_e32 v3, 2, v0
	v_mov_b32_e32 v5, 0
	v_or_b32_e32 v15, 12, v3
	v_or_b32_e32 v0, v14, v4
	v_or_b32_e32 v17, 0x7c, v3
	v_mul_f32_e32 v3, 0x4f7ffffe, v9
	v_lshlrev_b32_e32 v16, 3, v0
	v_mul_lo_u32 v0, v4, s6
	v_mov_b32_e32 v1, v5
	v_lshlrev_b32_e32 v10, 3, v6
	v_mul_lo_u32 v6, v6, s7
	v_cvt_u32_f32_e32 v3, v3
	s_waitcnt lgkmcnt(0)
	v_lshl_add_u64 v[0:1], v[0:1], 3, s[16:17]
	v_mov_b32_e32 v11, v5
	v_ashrrev_i32_e32 v7, 31, v6
	s_ashr_i32 s22, s7, 31
	v_lshl_add_u64 v[0:1], v[0:1], 0, v[10:11]
	v_lshl_add_u64 v[6:7], v[6:7], 3, s[16:17]
	v_lshlrev_b32_e32 v10, 3, v4
	s_mul_hi_u32 s0, s7, s6
	s_mul_i32 s1, s22, s6
	v_lshl_add_u64 v[6:7], v[6:7], 0, v[10:11]
	s_add_i32 s23, s0, s1
	s_sub_i32 s0, 0, s4
	v_cndmask_b32_e32 v0, v0, v6, vcc
	v_mul_lo_u32 v6, s0, v3
	v_mul_hi_u32 v6, v3, v6
	s_mul_i32 s6, s7, s6
	v_cndmask_b32_e32 v1, v1, v7, vcc
	v_add_u32_e32 v18, v3, v6
	s_mov_b64 s[14:15], 0
	v_mov_b32_e32 v6, v5
	v_mov_b32_e32 v7, v5
	;; [unrolled: 1-line block ×4, first 2 shown]
	s_branch .LBB143_10
.LBB143_8:                              ;   in Loop: Header=BB143_10 Depth=1
	s_or_b64 exec, exec, s[16:17]
	v_mov_b32_e32 v9, 1
.LBB143_9:                              ;   in Loop: Header=BB143_10 Depth=1
	s_or_b64 exec, exec, s[0:1]
	v_mov_b32_dpp v3, v20 row_shr:1 row_mask:0xf bank_mask:0xf
	v_min_i32_e32 v3, v3, v20
	v_add_u32_e32 v2, v9, v2
	s_waitcnt lgkmcnt(0)
	v_mov_b32_dpp v10, v3 row_shr:2 row_mask:0xf bank_mask:0xf
	v_min_i32_e32 v3, v10, v3
	s_nop 1
	v_mov_b32_dpp v10, v3 row_shr:4 row_mask:0xf bank_mask:0xe
	v_min_i32_e32 v3, v10, v3
	s_nop 1
	v_mov_b32_dpp v10, v3 row_shr:8 row_mask:0xf bank_mask:0xc
	v_min_i32_e32 v3, v10, v3
	s_nop 1
	v_mov_b32_dpp v10, v3 row_bcast:15 row_mask:0xa bank_mask:0xf
	v_min_i32_e32 v3, v10, v3
	ds_bpermute_b32 v3, v17, v3
	s_waitcnt lgkmcnt(0)
	v_cmp_le_i32_e32 vcc, s5, v3
	s_or_b64 s[14:15], vcc, s[14:15]
	s_andn2_b64 exec, exec, s[14:15]
	s_cbranch_execz .LBB143_21
.LBB143_10:                             ; =>This Loop Header: Depth=1
                                        ;     Child Loop BB143_13 Depth 2
	v_add_u32_e32 v21, v8, v4
	v_cmp_lt_i32_e32 vcc, v21, v13
	v_mov_b32_e32 v20, s5
	v_mov_b32_e32 v23, v13
	ds_write_b8 v12, v5 offset:2048
	ds_write_b64 v16, v[6:7]
	s_waitcnt lgkmcnt(0)
	s_and_saveexec_b64 s[16:17], vcc
	s_cbranch_execz .LBB143_18
; %bb.11:                               ;   in Loop: Header=BB143_10 Depth=1
	v_ashrrev_i32_e32 v9, 31, v8
	v_lshl_add_u64 v[10:11], v[4:5], 0, v[8:9]
	v_mul_lo_u32 v22, v3, s7
	v_lshl_add_u64 v[8:9], v[10:11], 2, s[10:11]
	v_lshl_add_u64 v[10:11], v[10:11], 3, s[2:3]
	s_mov_b64 s[18:19], 0
	v_mov_b32_e32 v20, s5
	v_mov_b32_e32 v23, v13
	s_branch .LBB143_13
.LBB143_12:                             ;   in Loop: Header=BB143_13 Depth=2
	s_or_b64 exec, exec, s[0:1]
	v_add_u32_e32 v21, 4, v21
	v_cmp_ge_i32_e64 s[0:1], v21, v13
	s_xor_b64 s[24:25], vcc, -1
	s_or_b64 s[0:1], s[24:25], s[0:1]
	s_and_b64 s[0:1], exec, s[0:1]
	v_lshl_add_u64 v[8:9], v[8:9], 0, 16
	s_or_b64 s[18:19], s[0:1], s[18:19]
	v_lshl_add_u64 v[10:11], v[10:11], 0, 32
	s_andn2_b64 exec, exec, s[18:19]
	s_cbranch_execz .LBB143_17
.LBB143_13:                             ;   Parent Loop BB143_10 Depth=1
                                        ; =>  This Inner Loop Header: Depth=2
	global_load_dword v24, v[8:9], off
	s_waitcnt vmcnt(0)
	v_subrev_u32_e32 v24, s20, v24
	v_sub_u32_e32 v26, 0, v24
	v_max_i32_e32 v26, v24, v26
	v_mul_hi_u32 v27, v26, v18
	v_mul_lo_u32 v28, v27, s4
	v_sub_u32_e32 v26, v26, v28
	v_add_u32_e32 v29, 1, v27
	v_cmp_le_u32_e32 vcc, s4, v26
	v_subrev_u32_e32 v28, s4, v26
	v_ashrrev_i32_e32 v25, 31, v24
	v_cndmask_b32_e32 v27, v27, v29, vcc
	v_cndmask_b32_e32 v26, v26, v28, vcc
	v_add_u32_e32 v28, 1, v27
	v_cmp_le_u32_e32 vcc, s4, v26
	v_xor_b32_e32 v25, s22, v25
	s_nop 0
	v_cndmask_b32_e32 v26, v27, v28, vcc
	v_xor_b32_e32 v26, v26, v25
	v_sub_u32_e32 v26, v26, v25
	v_cmp_eq_u32_e32 vcc, v26, v3
	v_cmp_ne_u32_e64 s[0:1], v26, v3
	v_mov_b32_e32 v25, v23
	s_and_saveexec_b64 s[24:25], s[0:1]
	s_xor_b64 s[0:1], exec, s[24:25]
; %bb.14:                               ;   in Loop: Header=BB143_13 Depth=2
	v_min_i32_e32 v20, v26, v20
                                        ; implicit-def: $vgpr24
                                        ; implicit-def: $vgpr25
; %bb.15:                               ;   in Loop: Header=BB143_13 Depth=2
	s_or_saveexec_b64 s[0:1], s[0:1]
	v_mov_b32_e32 v23, v21
	s_xor_b64 exec, exec, s[0:1]
	s_cbranch_execz .LBB143_12
; %bb.16:                               ;   in Loop: Header=BB143_13 Depth=2
	global_load_dwordx2 v[26:27], v[10:11], off
	v_sub_u32_e32 v23, v24, v22
	v_add_lshl_u32 v23, v14, v23, 3
	ds_write_b8 v12, v19 offset:2048
	s_waitcnt vmcnt(0)
	ds_write_b64 v23, v[26:27]
	v_mov_b32_e32 v23, v25
	s_branch .LBB143_12
.LBB143_17:                             ;   in Loop: Header=BB143_10 Depth=1
	s_or_b64 exec, exec, s[18:19]
.LBB143_18:                             ;   in Loop: Header=BB143_10 Depth=1
	s_or_b64 exec, exec, s[16:17]
	v_mov_b32_dpp v8, v23 row_shr:1 row_mask:0xf bank_mask:0xf
	v_min_i32_e32 v8, v8, v23
	s_waitcnt lgkmcnt(0)
	ds_read_u8 v9, v12 offset:2048
	v_mov_b32_dpp v10, v8 row_shr:2 row_mask:0xf bank_mask:0xf
	v_min_i32_e32 v8, v10, v8
	ds_bpermute_b32 v8, v15, v8
	s_waitcnt lgkmcnt(1)
	v_and_b32_e32 v9, 1, v9
	v_cmp_eq_u32_e32 vcc, 1, v9
	v_mov_b32_e32 v9, 0
	s_and_saveexec_b64 s[0:1], vcc
	s_cbranch_execz .LBB143_9
; %bb.19:                               ;   in Loop: Header=BB143_10 Depth=1
	v_add_u32_e32 v9, s21, v3
	v_ashrrev_i32_e32 v3, 31, v2
	v_lshl_add_u64 v[10:11], v[2:3], 2, s[8:9]
	global_store_dword v[10:11], v9, off
	s_and_saveexec_b64 s[16:17], s[12:13]
	s_cbranch_execz .LBB143_8
; %bb.20:                               ;   in Loop: Header=BB143_10 Depth=1
	ds_read_b64 v[10:11], v16
	v_mul_lo_u32 v9, s23, v2
	v_mul_lo_u32 v3, s6, v3
	v_mad_u64_u32 v[22:23], s[18:19], s6, v2, 0
	v_add3_u32 v23, v23, v3, v9
	v_lshl_add_u64 v[22:23], v[22:23], 3, v[0:1]
	s_waitcnt lgkmcnt(0)
	global_store_dwordx2 v[22:23], v[10:11], off
	s_branch .LBB143_8
.LBB143_21:
	s_endpgm
	.section	.rodata,"a",@progbits
	.p2align	6, 0x0
	.amdhsa_kernel _ZN9rocsparseL44csr2gebsr_wavefront_per_row_multipass_kernelILi256ELi8ELi4ELi32E21rocsparse_complex_numIfEEEv20rocsparse_direction_iiiiii21rocsparse_index_base_PKT3_PKiS9_S4_PS5_PiSB_
		.amdhsa_group_segment_fixed_size 2056
		.amdhsa_private_segment_fixed_size 0
		.amdhsa_kernarg_size 88
		.amdhsa_user_sgpr_count 2
		.amdhsa_user_sgpr_dispatch_ptr 0
		.amdhsa_user_sgpr_queue_ptr 0
		.amdhsa_user_sgpr_kernarg_segment_ptr 1
		.amdhsa_user_sgpr_dispatch_id 0
		.amdhsa_user_sgpr_kernarg_preload_length 0
		.amdhsa_user_sgpr_kernarg_preload_offset 0
		.amdhsa_user_sgpr_private_segment_size 0
		.amdhsa_uses_dynamic_stack 0
		.amdhsa_enable_private_segment 0
		.amdhsa_system_sgpr_workgroup_id_x 1
		.amdhsa_system_sgpr_workgroup_id_y 0
		.amdhsa_system_sgpr_workgroup_id_z 0
		.amdhsa_system_sgpr_workgroup_info 0
		.amdhsa_system_vgpr_workitem_id 0
		.amdhsa_next_free_vgpr 30
		.amdhsa_next_free_sgpr 26
		.amdhsa_accum_offset 32
		.amdhsa_reserve_vcc 1
		.amdhsa_float_round_mode_32 0
		.amdhsa_float_round_mode_16_64 0
		.amdhsa_float_denorm_mode_32 3
		.amdhsa_float_denorm_mode_16_64 3
		.amdhsa_dx10_clamp 1
		.amdhsa_ieee_mode 1
		.amdhsa_fp16_overflow 0
		.amdhsa_tg_split 0
		.amdhsa_exception_fp_ieee_invalid_op 0
		.amdhsa_exception_fp_denorm_src 0
		.amdhsa_exception_fp_ieee_div_zero 0
		.amdhsa_exception_fp_ieee_overflow 0
		.amdhsa_exception_fp_ieee_underflow 0
		.amdhsa_exception_fp_ieee_inexact 0
		.amdhsa_exception_int_div_zero 0
	.end_amdhsa_kernel
	.section	.text._ZN9rocsparseL44csr2gebsr_wavefront_per_row_multipass_kernelILi256ELi8ELi4ELi32E21rocsparse_complex_numIfEEEv20rocsparse_direction_iiiiii21rocsparse_index_base_PKT3_PKiS9_S4_PS5_PiSB_,"axG",@progbits,_ZN9rocsparseL44csr2gebsr_wavefront_per_row_multipass_kernelILi256ELi8ELi4ELi32E21rocsparse_complex_numIfEEEv20rocsparse_direction_iiiiii21rocsparse_index_base_PKT3_PKiS9_S4_PS5_PiSB_,comdat
.Lfunc_end143:
	.size	_ZN9rocsparseL44csr2gebsr_wavefront_per_row_multipass_kernelILi256ELi8ELi4ELi32E21rocsparse_complex_numIfEEEv20rocsparse_direction_iiiiii21rocsparse_index_base_PKT3_PKiS9_S4_PS5_PiSB_, .Lfunc_end143-_ZN9rocsparseL44csr2gebsr_wavefront_per_row_multipass_kernelILi256ELi8ELi4ELi32E21rocsparse_complex_numIfEEEv20rocsparse_direction_iiiiii21rocsparse_index_base_PKT3_PKiS9_S4_PS5_PiSB_
                                        ; -- End function
	.section	.AMDGPU.csdata,"",@progbits
; Kernel info:
; codeLenInByte = 1172
; NumSgprs: 32
; NumVgprs: 30
; NumAgprs: 0
; TotalNumVgprs: 30
; ScratchSize: 0
; MemoryBound: 0
; FloatMode: 240
; IeeeMode: 1
; LDSByteSize: 2056 bytes/workgroup (compile time only)
; SGPRBlocks: 3
; VGPRBlocks: 3
; NumSGPRsForWavesPerEU: 32
; NumVGPRsForWavesPerEU: 30
; AccumOffset: 32
; Occupancy: 8
; WaveLimiterHint : 0
; COMPUTE_PGM_RSRC2:SCRATCH_EN: 0
; COMPUTE_PGM_RSRC2:USER_SGPR: 2
; COMPUTE_PGM_RSRC2:TRAP_HANDLER: 0
; COMPUTE_PGM_RSRC2:TGID_X_EN: 1
; COMPUTE_PGM_RSRC2:TGID_Y_EN: 0
; COMPUTE_PGM_RSRC2:TGID_Z_EN: 0
; COMPUTE_PGM_RSRC2:TIDIG_COMP_CNT: 0
; COMPUTE_PGM_RSRC3_GFX90A:ACCUM_OFFSET: 7
; COMPUTE_PGM_RSRC3_GFX90A:TG_SPLIT: 0
	.section	.text._ZN9rocsparseL44csr2gebsr_wavefront_per_row_multipass_kernelILi256ELi8ELi8ELi64E21rocsparse_complex_numIfEEEv20rocsparse_direction_iiiiii21rocsparse_index_base_PKT3_PKiS9_S4_PS5_PiSB_,"axG",@progbits,_ZN9rocsparseL44csr2gebsr_wavefront_per_row_multipass_kernelILi256ELi8ELi8ELi64E21rocsparse_complex_numIfEEEv20rocsparse_direction_iiiiii21rocsparse_index_base_PKT3_PKiS9_S4_PS5_PiSB_,comdat
	.globl	_ZN9rocsparseL44csr2gebsr_wavefront_per_row_multipass_kernelILi256ELi8ELi8ELi64E21rocsparse_complex_numIfEEEv20rocsparse_direction_iiiiii21rocsparse_index_base_PKT3_PKiS9_S4_PS5_PiSB_ ; -- Begin function _ZN9rocsparseL44csr2gebsr_wavefront_per_row_multipass_kernelILi256ELi8ELi8ELi64E21rocsparse_complex_numIfEEEv20rocsparse_direction_iiiiii21rocsparse_index_base_PKT3_PKiS9_S4_PS5_PiSB_
	.p2align	8
	.type	_ZN9rocsparseL44csr2gebsr_wavefront_per_row_multipass_kernelILi256ELi8ELi8ELi64E21rocsparse_complex_numIfEEEv20rocsparse_direction_iiiiii21rocsparse_index_base_PKT3_PKiS9_S4_PS5_PiSB_,@function
_ZN9rocsparseL44csr2gebsr_wavefront_per_row_multipass_kernelILi256ELi8ELi8ELi64E21rocsparse_complex_numIfEEEv20rocsparse_direction_iiiiii21rocsparse_index_base_PKT3_PKiS9_S4_PS5_PiSB_: ; @_ZN9rocsparseL44csr2gebsr_wavefront_per_row_multipass_kernelILi256ELi8ELi8ELi64E21rocsparse_complex_numIfEEEv20rocsparse_direction_iiiiii21rocsparse_index_base_PKT3_PKiS9_S4_PS5_PiSB_
; %bb.0:
	s_load_dwordx2 s[14:15], s[0:1], 0x0
	s_load_dwordx4 s[4:7], s[0:1], 0xc
	s_load_dword s20, s[0:1], 0x1c
	s_load_dwordx2 s[8:9], s[0:1], 0x28
	v_lshrrev_b32_e32 v12, 6, v0
	v_bfe_u32 v6, v0, 3, 3
	v_lshl_or_b32 v4, s2, 2, v12
	s_waitcnt lgkmcnt(0)
	v_mad_u64_u32 v[2:3], s[2:3], v4, s6, v[6:7]
	v_cmp_gt_i32_e64 s[2:3], s15, v2
	v_cmp_gt_i32_e32 vcc, s6, v6
	s_and_b64 s[2:3], vcc, s[2:3]
	v_mov_b32_e32 v13, 0
	v_mov_b32_e32 v8, 0
	s_and_saveexec_b64 s[10:11], s[2:3]
	s_cbranch_execz .LBB144_2
; %bb.1:
	v_ashrrev_i32_e32 v3, 31, v2
	v_lshl_add_u64 v[8:9], v[2:3], 2, s[8:9]
	global_load_dword v1, v[8:9], off
	s_waitcnt vmcnt(0)
	v_subrev_u32_e32 v8, s20, v1
.LBB144_2:
	s_or_b64 exec, exec, s[10:11]
	s_and_saveexec_b64 s[10:11], s[2:3]
	s_cbranch_execz .LBB144_4
; %bb.3:
	v_ashrrev_i32_e32 v3, 31, v2
	v_lshl_add_u64 v[2:3], v[2:3], 2, s[8:9]
	global_load_dword v1, v[2:3], off offset:4
	s_waitcnt vmcnt(0)
	v_subrev_u32_e32 v13, s20, v1
.LBB144_4:
	s_or_b64 exec, exec, s[10:11]
	s_load_dword s21, s[0:1], 0x38
	v_cmp_gt_i32_e64 s[2:3], s4, v4
	v_mov_b32_e32 v2, 0
	s_and_saveexec_b64 s[8:9], s[2:3]
	s_cbranch_execz .LBB144_6
; %bb.5:
	s_load_dwordx2 s[2:3], s[0:1], 0x48
	v_ashrrev_i32_e32 v5, 31, v4
	s_waitcnt lgkmcnt(0)
	v_lshl_add_u64 v[2:3], v[4:5], 2, s[2:3]
	global_load_dword v1, v[2:3], off
	s_waitcnt vmcnt(0)
	v_subrev_u32_e32 v2, s21, v1
.LBB144_6:
	s_or_b64 exec, exec, s[8:9]
	s_cmp_lt_i32 s5, 1
	s_cbranch_scc1 .LBB144_21
; %bb.7:
	s_load_dwordx2 s[2:3], s[0:1], 0x20
	s_load_dwordx2 s[8:9], s[0:1], 0x50
	s_load_dwordx2 s[16:17], s[0:1], 0x40
	s_load_dwordx2 s[10:11], s[0:1], 0x30
	v_and_b32_e32 v4, 7, v0
	v_lshlrev_b32_e32 v10, 3, v6
	s_movk_i32 s0, 0xc0
	v_and_or_b32 v14, v0, s0, v10
	v_cmp_gt_u32_e64 s[0:1], s7, v4
	s_and_b64 s[12:13], vcc, s[0:1]
	s_cmp_eq_u32 s14, 0
	s_cselect_b64 vcc, -1, 0
	s_abs_i32 s4, s7
	v_cvt_f32_u32_e32 v9, s4
	v_mbcnt_lo_u32_b32 v0, -1, 0
	v_mbcnt_hi_u32_b32 v0, -1, v0
	v_lshlrev_b32_e32 v3, 2, v0
	v_rcp_iflag_f32_e32 v9, v9
	v_mov_b32_e32 v5, 0
	v_or_b32_e32 v15, 28, v3
	v_or_b32_e32 v0, v14, v4
	;; [unrolled: 1-line block ×3, first 2 shown]
	v_mul_f32_e32 v3, 0x4f7ffffe, v9
	v_lshlrev_b32_e32 v16, 3, v0
	v_mul_lo_u32 v0, v4, s6
	v_mov_b32_e32 v1, v5
	v_mul_lo_u32 v6, v6, s7
	v_cvt_u32_f32_e32 v3, v3
	s_waitcnt lgkmcnt(0)
	v_lshl_add_u64 v[0:1], v[0:1], 3, s[16:17]
	v_mov_b32_e32 v11, v5
	v_ashrrev_i32_e32 v7, 31, v6
	s_ashr_i32 s22, s7, 31
	v_lshl_add_u64 v[0:1], v[0:1], 0, v[10:11]
	v_lshl_add_u64 v[6:7], v[6:7], 3, s[16:17]
	v_lshlrev_b32_e32 v10, 3, v4
	s_mul_hi_u32 s0, s7, s6
	s_mul_i32 s1, s22, s6
	v_lshl_add_u64 v[6:7], v[6:7], 0, v[10:11]
	s_add_i32 s23, s0, s1
	s_sub_i32 s0, 0, s4
	v_cndmask_b32_e32 v0, v0, v6, vcc
	v_mul_lo_u32 v6, s0, v3
	v_mul_hi_u32 v6, v3, v6
	s_mul_i32 s6, s7, s6
	v_cndmask_b32_e32 v1, v1, v7, vcc
	v_add_u32_e32 v18, v3, v6
	s_mov_b64 s[14:15], 0
	v_mov_b32_e32 v6, v5
	v_mov_b32_e32 v7, v5
	v_mov_b32_e32 v19, 1
	v_mov_b32_e32 v3, v5
	s_branch .LBB144_10
.LBB144_8:                              ;   in Loop: Header=BB144_10 Depth=1
	s_or_b64 exec, exec, s[16:17]
	v_mov_b32_e32 v9, 1
.LBB144_9:                              ;   in Loop: Header=BB144_10 Depth=1
	s_or_b64 exec, exec, s[0:1]
	v_mov_b32_dpp v3, v20 row_shr:1 row_mask:0xf bank_mask:0xf
	v_min_i32_e32 v3, v3, v20
	v_add_u32_e32 v2, v9, v2
	s_waitcnt lgkmcnt(0)
	v_mov_b32_dpp v10, v3 row_shr:2 row_mask:0xf bank_mask:0xf
	v_min_i32_e32 v3, v10, v3
	s_nop 1
	v_mov_b32_dpp v10, v3 row_shr:4 row_mask:0xf bank_mask:0xe
	v_min_i32_e32 v3, v10, v3
	s_nop 1
	;; [unrolled: 3-line block ×3, first 2 shown]
	v_mov_b32_dpp v10, v3 row_bcast:15 row_mask:0xa bank_mask:0xf
	v_min_i32_e32 v3, v10, v3
	s_nop 1
	v_mov_b32_dpp v10, v3 row_bcast:31 row_mask:0xc bank_mask:0xf
	v_min_i32_e32 v3, v10, v3
	ds_bpermute_b32 v3, v17, v3
	s_waitcnt lgkmcnt(0)
	v_cmp_le_i32_e32 vcc, s5, v3
	s_or_b64 s[14:15], vcc, s[14:15]
	s_andn2_b64 exec, exec, s[14:15]
	s_cbranch_execz .LBB144_21
.LBB144_10:                             ; =>This Loop Header: Depth=1
                                        ;     Child Loop BB144_13 Depth 2
	v_add_u32_e32 v21, v8, v4
	v_cmp_lt_i32_e32 vcc, v21, v13
	v_mov_b32_e32 v20, s5
	v_mov_b32_e32 v23, v13
	ds_write_b8 v12, v5 offset:2048
	ds_write_b64 v16, v[6:7]
	s_waitcnt lgkmcnt(0)
	s_and_saveexec_b64 s[16:17], vcc
	s_cbranch_execz .LBB144_18
; %bb.11:                               ;   in Loop: Header=BB144_10 Depth=1
	v_ashrrev_i32_e32 v9, 31, v8
	v_lshl_add_u64 v[10:11], v[4:5], 0, v[8:9]
	v_mul_lo_u32 v22, v3, s7
	v_lshl_add_u64 v[8:9], v[10:11], 2, s[10:11]
	v_lshl_add_u64 v[10:11], v[10:11], 3, s[2:3]
	s_mov_b64 s[18:19], 0
	v_mov_b32_e32 v20, s5
	v_mov_b32_e32 v23, v13
	s_branch .LBB144_13
.LBB144_12:                             ;   in Loop: Header=BB144_13 Depth=2
	s_or_b64 exec, exec, s[0:1]
	v_add_u32_e32 v21, 8, v21
	v_cmp_ge_i32_e64 s[0:1], v21, v13
	s_xor_b64 s[24:25], vcc, -1
	s_or_b64 s[0:1], s[24:25], s[0:1]
	s_and_b64 s[0:1], exec, s[0:1]
	v_lshl_add_u64 v[8:9], v[8:9], 0, 32
	s_or_b64 s[18:19], s[0:1], s[18:19]
	v_lshl_add_u64 v[10:11], v[10:11], 0, 64
	s_andn2_b64 exec, exec, s[18:19]
	s_cbranch_execz .LBB144_17
.LBB144_13:                             ;   Parent Loop BB144_10 Depth=1
                                        ; =>  This Inner Loop Header: Depth=2
	global_load_dword v24, v[8:9], off
	s_waitcnt vmcnt(0)
	v_subrev_u32_e32 v24, s20, v24
	v_sub_u32_e32 v26, 0, v24
	v_max_i32_e32 v26, v24, v26
	v_mul_hi_u32 v27, v26, v18
	v_mul_lo_u32 v28, v27, s4
	v_sub_u32_e32 v26, v26, v28
	v_add_u32_e32 v29, 1, v27
	v_cmp_le_u32_e32 vcc, s4, v26
	v_subrev_u32_e32 v28, s4, v26
	v_ashrrev_i32_e32 v25, 31, v24
	v_cndmask_b32_e32 v27, v27, v29, vcc
	v_cndmask_b32_e32 v26, v26, v28, vcc
	v_add_u32_e32 v28, 1, v27
	v_cmp_le_u32_e32 vcc, s4, v26
	v_xor_b32_e32 v25, s22, v25
	s_nop 0
	v_cndmask_b32_e32 v26, v27, v28, vcc
	v_xor_b32_e32 v26, v26, v25
	v_sub_u32_e32 v26, v26, v25
	v_cmp_eq_u32_e32 vcc, v26, v3
	v_cmp_ne_u32_e64 s[0:1], v26, v3
	v_mov_b32_e32 v25, v23
	s_and_saveexec_b64 s[24:25], s[0:1]
	s_xor_b64 s[0:1], exec, s[24:25]
; %bb.14:                               ;   in Loop: Header=BB144_13 Depth=2
	v_min_i32_e32 v20, v26, v20
                                        ; implicit-def: $vgpr24
                                        ; implicit-def: $vgpr25
; %bb.15:                               ;   in Loop: Header=BB144_13 Depth=2
	s_or_saveexec_b64 s[0:1], s[0:1]
	v_mov_b32_e32 v23, v21
	s_xor_b64 exec, exec, s[0:1]
	s_cbranch_execz .LBB144_12
; %bb.16:                               ;   in Loop: Header=BB144_13 Depth=2
	global_load_dwordx2 v[26:27], v[10:11], off
	v_sub_u32_e32 v23, v24, v22
	v_add_lshl_u32 v23, v14, v23, 3
	ds_write_b8 v12, v19 offset:2048
	s_waitcnt vmcnt(0)
	ds_write_b64 v23, v[26:27]
	v_mov_b32_e32 v23, v25
	s_branch .LBB144_12
.LBB144_17:                             ;   in Loop: Header=BB144_10 Depth=1
	s_or_b64 exec, exec, s[18:19]
.LBB144_18:                             ;   in Loop: Header=BB144_10 Depth=1
	s_or_b64 exec, exec, s[16:17]
	v_mov_b32_dpp v8, v23 row_shr:1 row_mask:0xf bank_mask:0xf
	v_min_i32_e32 v8, v8, v23
	s_waitcnt lgkmcnt(0)
	s_nop 0
	v_mov_b32_dpp v9, v8 row_shr:2 row_mask:0xf bank_mask:0xf
	v_min_i32_e32 v8, v9, v8
	ds_read_u8 v9, v12 offset:2048
	s_waitcnt lgkmcnt(0)
	v_and_b32_e32 v9, 1, v9
	v_mov_b32_dpp v10, v8 row_shr:4 row_mask:0xf bank_mask:0xe
	v_min_i32_e32 v8, v10, v8
	ds_bpermute_b32 v8, v15, v8
	v_cmp_eq_u32_e32 vcc, 1, v9
	v_mov_b32_e32 v9, 0
	s_and_saveexec_b64 s[0:1], vcc
	s_cbranch_execz .LBB144_9
; %bb.19:                               ;   in Loop: Header=BB144_10 Depth=1
	v_add_u32_e32 v9, s21, v3
	v_ashrrev_i32_e32 v3, 31, v2
	v_lshl_add_u64 v[10:11], v[2:3], 2, s[8:9]
	global_store_dword v[10:11], v9, off
	s_and_saveexec_b64 s[16:17], s[12:13]
	s_cbranch_execz .LBB144_8
; %bb.20:                               ;   in Loop: Header=BB144_10 Depth=1
	ds_read_b64 v[10:11], v16
	v_mul_lo_u32 v9, s23, v2
	v_mul_lo_u32 v3, s6, v3
	v_mad_u64_u32 v[22:23], s[18:19], s6, v2, 0
	v_add3_u32 v23, v23, v3, v9
	v_lshl_add_u64 v[22:23], v[22:23], 3, v[0:1]
	s_waitcnt lgkmcnt(0)
	global_store_dwordx2 v[22:23], v[10:11], off
	s_branch .LBB144_8
.LBB144_21:
	s_endpgm
	.section	.rodata,"a",@progbits
	.p2align	6, 0x0
	.amdhsa_kernel _ZN9rocsparseL44csr2gebsr_wavefront_per_row_multipass_kernelILi256ELi8ELi8ELi64E21rocsparse_complex_numIfEEEv20rocsparse_direction_iiiiii21rocsparse_index_base_PKT3_PKiS9_S4_PS5_PiSB_
		.amdhsa_group_segment_fixed_size 2052
		.amdhsa_private_segment_fixed_size 0
		.amdhsa_kernarg_size 88
		.amdhsa_user_sgpr_count 2
		.amdhsa_user_sgpr_dispatch_ptr 0
		.amdhsa_user_sgpr_queue_ptr 0
		.amdhsa_user_sgpr_kernarg_segment_ptr 1
		.amdhsa_user_sgpr_dispatch_id 0
		.amdhsa_user_sgpr_kernarg_preload_length 0
		.amdhsa_user_sgpr_kernarg_preload_offset 0
		.amdhsa_user_sgpr_private_segment_size 0
		.amdhsa_uses_dynamic_stack 0
		.amdhsa_enable_private_segment 0
		.amdhsa_system_sgpr_workgroup_id_x 1
		.amdhsa_system_sgpr_workgroup_id_y 0
		.amdhsa_system_sgpr_workgroup_id_z 0
		.amdhsa_system_sgpr_workgroup_info 0
		.amdhsa_system_vgpr_workitem_id 0
		.amdhsa_next_free_vgpr 30
		.amdhsa_next_free_sgpr 26
		.amdhsa_accum_offset 32
		.amdhsa_reserve_vcc 1
		.amdhsa_float_round_mode_32 0
		.amdhsa_float_round_mode_16_64 0
		.amdhsa_float_denorm_mode_32 3
		.amdhsa_float_denorm_mode_16_64 3
		.amdhsa_dx10_clamp 1
		.amdhsa_ieee_mode 1
		.amdhsa_fp16_overflow 0
		.amdhsa_tg_split 0
		.amdhsa_exception_fp_ieee_invalid_op 0
		.amdhsa_exception_fp_denorm_src 0
		.amdhsa_exception_fp_ieee_div_zero 0
		.amdhsa_exception_fp_ieee_overflow 0
		.amdhsa_exception_fp_ieee_underflow 0
		.amdhsa_exception_fp_ieee_inexact 0
		.amdhsa_exception_int_div_zero 0
	.end_amdhsa_kernel
	.section	.text._ZN9rocsparseL44csr2gebsr_wavefront_per_row_multipass_kernelILi256ELi8ELi8ELi64E21rocsparse_complex_numIfEEEv20rocsparse_direction_iiiiii21rocsparse_index_base_PKT3_PKiS9_S4_PS5_PiSB_,"axG",@progbits,_ZN9rocsparseL44csr2gebsr_wavefront_per_row_multipass_kernelILi256ELi8ELi8ELi64E21rocsparse_complex_numIfEEEv20rocsparse_direction_iiiiii21rocsparse_index_base_PKT3_PKiS9_S4_PS5_PiSB_,comdat
.Lfunc_end144:
	.size	_ZN9rocsparseL44csr2gebsr_wavefront_per_row_multipass_kernelILi256ELi8ELi8ELi64E21rocsparse_complex_numIfEEEv20rocsparse_direction_iiiiii21rocsparse_index_base_PKT3_PKiS9_S4_PS5_PiSB_, .Lfunc_end144-_ZN9rocsparseL44csr2gebsr_wavefront_per_row_multipass_kernelILi256ELi8ELi8ELi64E21rocsparse_complex_numIfEEEv20rocsparse_direction_iiiiii21rocsparse_index_base_PKT3_PKiS9_S4_PS5_PiSB_
                                        ; -- End function
	.section	.AMDGPU.csdata,"",@progbits
; Kernel info:
; codeLenInByte = 1200
; NumSgprs: 32
; NumVgprs: 30
; NumAgprs: 0
; TotalNumVgprs: 30
; ScratchSize: 0
; MemoryBound: 0
; FloatMode: 240
; IeeeMode: 1
; LDSByteSize: 2052 bytes/workgroup (compile time only)
; SGPRBlocks: 3
; VGPRBlocks: 3
; NumSGPRsForWavesPerEU: 32
; NumVGPRsForWavesPerEU: 30
; AccumOffset: 32
; Occupancy: 8
; WaveLimiterHint : 0
; COMPUTE_PGM_RSRC2:SCRATCH_EN: 0
; COMPUTE_PGM_RSRC2:USER_SGPR: 2
; COMPUTE_PGM_RSRC2:TRAP_HANDLER: 0
; COMPUTE_PGM_RSRC2:TGID_X_EN: 1
; COMPUTE_PGM_RSRC2:TGID_Y_EN: 0
; COMPUTE_PGM_RSRC2:TGID_Z_EN: 0
; COMPUTE_PGM_RSRC2:TIDIG_COMP_CNT: 0
; COMPUTE_PGM_RSRC3_GFX90A:ACCUM_OFFSET: 7
; COMPUTE_PGM_RSRC3_GFX90A:TG_SPLIT: 0
	.section	.text._ZN9rocsparseL44csr2gebsr_wavefront_per_row_multipass_kernelILi256ELi8ELi8ELi32E21rocsparse_complex_numIfEEEv20rocsparse_direction_iiiiii21rocsparse_index_base_PKT3_PKiS9_S4_PS5_PiSB_,"axG",@progbits,_ZN9rocsparseL44csr2gebsr_wavefront_per_row_multipass_kernelILi256ELi8ELi8ELi32E21rocsparse_complex_numIfEEEv20rocsparse_direction_iiiiii21rocsparse_index_base_PKT3_PKiS9_S4_PS5_PiSB_,comdat
	.globl	_ZN9rocsparseL44csr2gebsr_wavefront_per_row_multipass_kernelILi256ELi8ELi8ELi32E21rocsparse_complex_numIfEEEv20rocsparse_direction_iiiiii21rocsparse_index_base_PKT3_PKiS9_S4_PS5_PiSB_ ; -- Begin function _ZN9rocsparseL44csr2gebsr_wavefront_per_row_multipass_kernelILi256ELi8ELi8ELi32E21rocsparse_complex_numIfEEEv20rocsparse_direction_iiiiii21rocsparse_index_base_PKT3_PKiS9_S4_PS5_PiSB_
	.p2align	8
	.type	_ZN9rocsparseL44csr2gebsr_wavefront_per_row_multipass_kernelILi256ELi8ELi8ELi32E21rocsparse_complex_numIfEEEv20rocsparse_direction_iiiiii21rocsparse_index_base_PKT3_PKiS9_S4_PS5_PiSB_,@function
_ZN9rocsparseL44csr2gebsr_wavefront_per_row_multipass_kernelILi256ELi8ELi8ELi32E21rocsparse_complex_numIfEEEv20rocsparse_direction_iiiiii21rocsparse_index_base_PKT3_PKiS9_S4_PS5_PiSB_: ; @_ZN9rocsparseL44csr2gebsr_wavefront_per_row_multipass_kernelILi256ELi8ELi8ELi32E21rocsparse_complex_numIfEEEv20rocsparse_direction_iiiiii21rocsparse_index_base_PKT3_PKiS9_S4_PS5_PiSB_
; %bb.0:
	s_load_dwordx2 s[4:5], s[0:1], 0x0
	s_load_dwordx4 s[8:11], s[0:1], 0xc
	s_load_dword s24, s[0:1], 0x1c
	s_load_dwordx2 s[6:7], s[0:1], 0x28
	v_lshrrev_b32_e32 v18, 5, v0
	v_bfe_u32 v6, v0, 2, 3
	v_lshl_or_b32 v4, s2, 3, v18
	s_waitcnt lgkmcnt(0)
	v_mad_u64_u32 v[2:3], s[2:3], v4, s10, v[6:7]
	v_cmp_gt_i32_e32 vcc, s5, v2
	v_cmp_gt_i32_e64 s[2:3], s10, v6
	s_and_b64 s[12:13], s[2:3], vcc
	v_mov_b32_e32 v19, 0
	v_mov_b32_e32 v16, 0
	s_and_saveexec_b64 s[14:15], s[12:13]
	s_cbranch_execz .LBB145_2
; %bb.1:
	v_ashrrev_i32_e32 v3, 31, v2
	v_lshl_add_u64 v[8:9], v[2:3], 2, s[6:7]
	global_load_dword v1, v[8:9], off
	s_waitcnt vmcnt(0)
	v_subrev_u32_e32 v16, s24, v1
.LBB145_2:
	s_or_b64 exec, exec, s[14:15]
	s_and_saveexec_b64 s[14:15], s[12:13]
	s_cbranch_execz .LBB145_4
; %bb.3:
	v_ashrrev_i32_e32 v3, 31, v2
	v_lshl_add_u64 v[2:3], v[2:3], 2, s[6:7]
	global_load_dword v1, v[2:3], off offset:4
	s_waitcnt vmcnt(0)
	v_subrev_u32_e32 v19, s24, v1
.LBB145_4:
	s_or_b64 exec, exec, s[14:15]
	s_load_dword s25, s[0:1], 0x38
	v_cmp_gt_i32_e32 vcc, s8, v4
	v_mov_b32_e32 v2, 0
	s_and_saveexec_b64 s[6:7], vcc
	s_cbranch_execz .LBB145_6
; %bb.5:
	s_load_dwordx2 s[12:13], s[0:1], 0x48
	v_ashrrev_i32_e32 v5, 31, v4
	s_waitcnt lgkmcnt(0)
	v_lshl_add_u64 v[2:3], v[4:5], 2, s[12:13]
	global_load_dword v1, v[2:3], off
	s_waitcnt vmcnt(0)
	v_subrev_u32_e32 v2, s25, v1
.LBB145_6:
	s_or_b64 exec, exec, s[6:7]
	s_cmp_lt_i32 s9, 1
	s_cbranch_scc1 .LBB145_25
; %bb.7:
	v_mbcnt_lo_u32_b32 v3, -1, 0
	v_mbcnt_hi_u32_b32 v3, -1, v3
	s_cmp_eq_u32 s4, 0
	v_lshlrev_b32_e32 v3, 2, v3
	s_cselect_b64 vcc, -1, 0
	s_abs_i32 s28, s11
	v_or_b32_e32 v22, 12, v3
	v_or_b32_e32 v23, 0x7c, v3
	v_cvt_f32_u32_e32 v3, s28
	s_load_dwordx2 s[6:7], s[0:1], 0x20
	s_load_dwordx2 s[12:13], s[0:1], 0x50
	;; [unrolled: 1-line block ×4, first 2 shown]
	s_ashr_i32 s8, s11, 31
	v_and_b32_e32 v20, 3, v0
	v_rcp_iflag_f32_e32 v3, v3
	v_lshlrev_b32_e32 v0, 3, v6
	s_mul_hi_u32 s0, s11, s10
	s_mul_i32 s1, s8, s10
	v_mul_f32_e32 v3, 0x4f7ffffe, v3
	v_cvt_u32_f32_e32 v3, v3
	v_mul_lo_u32 v6, v6, s11
	v_lshl_or_b32 v21, v18, 6, v0
	v_mov_b32_e32 v1, 0
	s_add_i32 s26, s0, s1
	v_ashrrev_i32_e32 v7, 31, v6
	v_cmp_gt_u32_e64 s[0:1], s11, v20
	v_or_b32_e32 v8, v21, v20
	s_waitcnt lgkmcnt(0)
	v_lshl_add_u64 v[4:5], s[16:17], 0, v[0:1]
	v_lshl_add_u64 v[6:7], v[6:7], 3, s[16:17]
	s_and_b64 s[16:17], s[0:1], s[2:3]
	s_sub_i32 s0, 0, s28
	v_lshlrev_b32_e32 v0, 3, v20
	v_lshlrev_b32_e32 v24, 3, v8
	v_or_b32_e32 v8, 4, v20
	v_mul_lo_u32 v10, s0, v3
	v_lshl_add_u64 v[6:7], v[6:7], 0, v[0:1]
	v_mul_lo_u32 v0, v20, s10
	v_cmp_gt_u32_e64 s[4:5], s11, v8
	v_mul_hi_u32 v10, v3, v10
	s_mul_i32 s27, s11, s10
	v_lshl_add_u32 v8, s10, 2, v0
	v_mov_b32_e32 v9, v1
	s_and_b64 s[4:5], s[2:3], s[4:5]
	v_add_u32_e32 v25, v3, v10
	v_or_b32_e32 v26, -4, v20
	s_mov_b64 s[18:19], 0
	v_mov_b32_e32 v10, v1
	v_mov_b32_e32 v11, v1
	;; [unrolled: 1-line block ×4, first 2 shown]
	s_branch .LBB145_10
.LBB145_8:                              ;   in Loop: Header=BB145_10 Depth=1
	s_or_b64 exec, exec, s[0:1]
	v_mov_b32_e32 v12, 1
.LBB145_9:                              ;   in Loop: Header=BB145_10 Depth=1
	s_or_b64 exec, exec, s[2:3]
	v_mov_b32_dpp v3, v28 row_shr:1 row_mask:0xf bank_mask:0xf
	v_min_i32_e32 v3, v3, v28
	v_add_u32_e32 v2, v12, v2
	s_waitcnt lgkmcnt(0)
	v_mov_b32_dpp v13, v3 row_shr:2 row_mask:0xf bank_mask:0xf
	v_min_i32_e32 v3, v13, v3
	s_nop 1
	v_mov_b32_dpp v13, v3 row_shr:4 row_mask:0xf bank_mask:0xe
	v_min_i32_e32 v3, v13, v3
	s_nop 1
	;; [unrolled: 3-line block ×3, first 2 shown]
	v_mov_b32_dpp v13, v3 row_bcast:15 row_mask:0xa bank_mask:0xf
	v_min_i32_e32 v3, v13, v3
	ds_bpermute_b32 v3, v23, v3
	s_waitcnt lgkmcnt(0)
	v_cmp_le_i32_e64 s[0:1], s9, v3
	s_or_b64 s[18:19], s[0:1], s[18:19]
	s_andn2_b64 exec, exec, s[18:19]
	s_cbranch_execz .LBB145_25
.LBB145_10:                             ; =>This Loop Header: Depth=1
                                        ;     Child Loop BB145_11 Depth 2
                                        ;     Child Loop BB145_15 Depth 2
	s_mov_b64 s[2:3], 0
	v_mov_b32_e32 v12, v24
	v_mov_b32_e32 v13, v26
	ds_write_b8 v18, v1 offset:4096
.LBB145_11:                             ;   Parent Loop BB145_10 Depth=1
                                        ; =>  This Inner Loop Header: Depth=2
	v_add_co_u32_e64 v13, s[0:1], 4, v13
	s_xor_b64 s[0:1], s[0:1], -1
	s_and_b64 s[0:1], exec, s[0:1]
	ds_write_b64 v12, v[10:11]
	s_or_b64 s[2:3], s[0:1], s[2:3]
	v_add_u32_e32 v12, 32, v12
	s_andn2_b64 exec, exec, s[2:3]
	s_cbranch_execnz .LBB145_11
; %bb.12:                               ;   in Loop: Header=BB145_10 Depth=1
	s_or_b64 exec, exec, s[2:3]
	v_add_u32_e32 v12, v16, v20
	v_cmp_lt_i32_e64 s[0:1], v12, v19
	v_mov_b32_e32 v28, s9
	v_mov_b32_e32 v13, v19
	s_waitcnt lgkmcnt(0)
	s_and_saveexec_b64 s[20:21], s[0:1]
	s_cbranch_execz .LBB145_20
; %bb.13:                               ;   in Loop: Header=BB145_10 Depth=1
	v_ashrrev_i32_e32 v13, 31, v12
	v_mul_lo_u32 v29, v3, s11
	v_lshl_add_u64 v[14:15], v[12:13], 2, s[14:15]
	v_lshl_add_u64 v[16:17], v[12:13], 3, s[6:7]
	s_mov_b64 s[22:23], 0
	v_mov_b32_e32 v28, s9
	v_mov_b32_e32 v13, v19
	s_branch .LBB145_15
.LBB145_14:                             ;   in Loop: Header=BB145_15 Depth=2
	s_or_b64 exec, exec, s[2:3]
	v_add_u32_e32 v12, 4, v12
	v_cmp_ge_i32_e64 s[2:3], v12, v19
	s_xor_b64 s[0:1], s[0:1], -1
	s_or_b64 s[0:1], s[0:1], s[2:3]
	s_and_b64 s[0:1], exec, s[0:1]
	v_lshl_add_u64 v[14:15], v[14:15], 0, 16
	s_or_b64 s[22:23], s[0:1], s[22:23]
	v_lshl_add_u64 v[16:17], v[16:17], 0, 32
	s_andn2_b64 exec, exec, s[22:23]
	s_cbranch_execz .LBB145_19
.LBB145_15:                             ;   Parent Loop BB145_10 Depth=1
                                        ; =>  This Inner Loop Header: Depth=2
	global_load_dword v30, v[14:15], off
	s_waitcnt vmcnt(0)
	v_subrev_u32_e32 v30, s24, v30
	v_sub_u32_e32 v32, 0, v30
	v_max_i32_e32 v32, v30, v32
	v_mul_hi_u32 v33, v32, v25
	v_mul_lo_u32 v34, v33, s28
	v_sub_u32_e32 v32, v32, v34
	v_add_u32_e32 v35, 1, v33
	v_cmp_le_u32_e64 s[0:1], s28, v32
	v_subrev_u32_e32 v34, s28, v32
	v_ashrrev_i32_e32 v31, 31, v30
	v_cndmask_b32_e64 v33, v33, v35, s[0:1]
	v_cndmask_b32_e64 v32, v32, v34, s[0:1]
	v_add_u32_e32 v34, 1, v33
	v_cmp_le_u32_e64 s[0:1], s28, v32
	v_xor_b32_e32 v31, s8, v31
	s_nop 0
	v_cndmask_b32_e64 v32, v33, v34, s[0:1]
	v_xor_b32_e32 v32, v32, v31
	v_sub_u32_e32 v32, v32, v31
	v_cmp_eq_u32_e64 s[0:1], v32, v3
	v_cmp_ne_u32_e64 s[2:3], v32, v3
	v_mov_b32_e32 v31, v13
	s_and_saveexec_b64 s[30:31], s[2:3]
	s_xor_b64 s[2:3], exec, s[30:31]
; %bb.16:                               ;   in Loop: Header=BB145_15 Depth=2
	v_min_i32_e32 v28, v32, v28
                                        ; implicit-def: $vgpr30
                                        ; implicit-def: $vgpr31
; %bb.17:                               ;   in Loop: Header=BB145_15 Depth=2
	s_or_saveexec_b64 s[2:3], s[2:3]
	v_mov_b32_e32 v13, v12
	s_xor_b64 exec, exec, s[2:3]
	s_cbranch_execz .LBB145_14
; %bb.18:                               ;   in Loop: Header=BB145_15 Depth=2
	global_load_dwordx2 v[32:33], v[16:17], off
	v_sub_u32_e32 v13, v30, v29
	v_add_lshl_u32 v13, v21, v13, 3
	ds_write_b8 v18, v27 offset:4096
	s_waitcnt vmcnt(0)
	ds_write_b64 v13, v[32:33]
	v_mov_b32_e32 v13, v31
	s_branch .LBB145_14
.LBB145_19:                             ;   in Loop: Header=BB145_10 Depth=1
	s_or_b64 exec, exec, s[22:23]
.LBB145_20:                             ;   in Loop: Header=BB145_10 Depth=1
	s_or_b64 exec, exec, s[20:21]
	v_mov_b32_dpp v12, v13 row_shr:1 row_mask:0xf bank_mask:0xf
	v_min_i32_e32 v12, v12, v13
	s_waitcnt lgkmcnt(0)
	ds_read_u8 v13, v18 offset:4096
	v_mov_b32_dpp v14, v12 row_shr:2 row_mask:0xf bank_mask:0xf
	v_min_i32_e32 v12, v14, v12
	ds_bpermute_b32 v16, v22, v12
	s_waitcnt lgkmcnt(1)
	v_and_b32_e32 v12, 1, v13
	v_cmp_eq_u32_e64 s[0:1], 1, v12
	v_mov_b32_e32 v12, 0
	s_and_saveexec_b64 s[2:3], s[0:1]
	s_cbranch_execz .LBB145_9
; %bb.21:                               ;   in Loop: Header=BB145_10 Depth=1
	v_add_u32_e32 v14, s25, v3
	v_ashrrev_i32_e32 v3, 31, v2
	v_lshl_add_u64 v[12:13], v[2:3], 2, s[12:13]
	global_store_dword v[12:13], v14, off
	v_mul_lo_u32 v14, s26, v2
	v_mul_lo_u32 v3, s27, v3
	v_mad_u64_u32 v[12:13], s[0:1], s27, v2, 0
	v_add3_u32 v13, v13, v3, v14
	v_lshlrev_b64 v[14:15], 3, v[12:13]
	v_lshl_add_u64 v[12:13], v[4:5], 0, v[14:15]
	v_lshl_add_u64 v[14:15], v[6:7], 0, v[14:15]
	s_and_saveexec_b64 s[0:1], s[16:17]
	s_cbranch_execz .LBB145_23
; %bb.22:                               ;   in Loop: Header=BB145_10 Depth=1
	ds_read_b64 v[30:31], v24
	v_lshl_add_u64 v[32:33], v[0:1], 3, v[12:13]
	v_cndmask_b32_e32 v33, v33, v15, vcc
	v_cndmask_b32_e32 v32, v32, v14, vcc
	s_waitcnt lgkmcnt(0)
	global_store_dwordx2 v[32:33], v[30:31], off
.LBB145_23:                             ;   in Loop: Header=BB145_10 Depth=1
	s_or_b64 exec, exec, s[0:1]
	s_and_saveexec_b64 s[0:1], s[4:5]
	s_cbranch_execz .LBB145_8
; %bb.24:                               ;   in Loop: Header=BB145_10 Depth=1
	ds_read_b64 v[30:31], v24 offset:32
	v_lshl_add_u64 v[14:15], v[14:15], 0, 32
	v_lshl_add_u64 v[12:13], v[8:9], 3, v[12:13]
	v_cndmask_b32_e32 v13, v13, v15, vcc
	v_cndmask_b32_e32 v12, v12, v14, vcc
	s_waitcnt lgkmcnt(0)
	global_store_dwordx2 v[12:13], v[30:31], off
	s_branch .LBB145_8
.LBB145_25:
	s_endpgm
	.section	.rodata,"a",@progbits
	.p2align	6, 0x0
	.amdhsa_kernel _ZN9rocsparseL44csr2gebsr_wavefront_per_row_multipass_kernelILi256ELi8ELi8ELi32E21rocsparse_complex_numIfEEEv20rocsparse_direction_iiiiii21rocsparse_index_base_PKT3_PKiS9_S4_PS5_PiSB_
		.amdhsa_group_segment_fixed_size 4104
		.amdhsa_private_segment_fixed_size 0
		.amdhsa_kernarg_size 88
		.amdhsa_user_sgpr_count 2
		.amdhsa_user_sgpr_dispatch_ptr 0
		.amdhsa_user_sgpr_queue_ptr 0
		.amdhsa_user_sgpr_kernarg_segment_ptr 1
		.amdhsa_user_sgpr_dispatch_id 0
		.amdhsa_user_sgpr_kernarg_preload_length 0
		.amdhsa_user_sgpr_kernarg_preload_offset 0
		.amdhsa_user_sgpr_private_segment_size 0
		.amdhsa_uses_dynamic_stack 0
		.amdhsa_enable_private_segment 0
		.amdhsa_system_sgpr_workgroup_id_x 1
		.amdhsa_system_sgpr_workgroup_id_y 0
		.amdhsa_system_sgpr_workgroup_id_z 0
		.amdhsa_system_sgpr_workgroup_info 0
		.amdhsa_system_vgpr_workitem_id 0
		.amdhsa_next_free_vgpr 36
		.amdhsa_next_free_sgpr 32
		.amdhsa_accum_offset 36
		.amdhsa_reserve_vcc 1
		.amdhsa_float_round_mode_32 0
		.amdhsa_float_round_mode_16_64 0
		.amdhsa_float_denorm_mode_32 3
		.amdhsa_float_denorm_mode_16_64 3
		.amdhsa_dx10_clamp 1
		.amdhsa_ieee_mode 1
		.amdhsa_fp16_overflow 0
		.amdhsa_tg_split 0
		.amdhsa_exception_fp_ieee_invalid_op 0
		.amdhsa_exception_fp_denorm_src 0
		.amdhsa_exception_fp_ieee_div_zero 0
		.amdhsa_exception_fp_ieee_overflow 0
		.amdhsa_exception_fp_ieee_underflow 0
		.amdhsa_exception_fp_ieee_inexact 0
		.amdhsa_exception_int_div_zero 0
	.end_amdhsa_kernel
	.section	.text._ZN9rocsparseL44csr2gebsr_wavefront_per_row_multipass_kernelILi256ELi8ELi8ELi32E21rocsparse_complex_numIfEEEv20rocsparse_direction_iiiiii21rocsparse_index_base_PKT3_PKiS9_S4_PS5_PiSB_,"axG",@progbits,_ZN9rocsparseL44csr2gebsr_wavefront_per_row_multipass_kernelILi256ELi8ELi8ELi32E21rocsparse_complex_numIfEEEv20rocsparse_direction_iiiiii21rocsparse_index_base_PKT3_PKiS9_S4_PS5_PiSB_,comdat
.Lfunc_end145:
	.size	_ZN9rocsparseL44csr2gebsr_wavefront_per_row_multipass_kernelILi256ELi8ELi8ELi32E21rocsparse_complex_numIfEEEv20rocsparse_direction_iiiiii21rocsparse_index_base_PKT3_PKiS9_S4_PS5_PiSB_, .Lfunc_end145-_ZN9rocsparseL44csr2gebsr_wavefront_per_row_multipass_kernelILi256ELi8ELi8ELi32E21rocsparse_complex_numIfEEEv20rocsparse_direction_iiiiii21rocsparse_index_base_PKT3_PKiS9_S4_PS5_PiSB_
                                        ; -- End function
	.section	.AMDGPU.csdata,"",@progbits
; Kernel info:
; codeLenInByte = 1332
; NumSgprs: 38
; NumVgprs: 36
; NumAgprs: 0
; TotalNumVgprs: 36
; ScratchSize: 0
; MemoryBound: 0
; FloatMode: 240
; IeeeMode: 1
; LDSByteSize: 4104 bytes/workgroup (compile time only)
; SGPRBlocks: 4
; VGPRBlocks: 4
; NumSGPRsForWavesPerEU: 38
; NumVGPRsForWavesPerEU: 36
; AccumOffset: 36
; Occupancy: 8
; WaveLimiterHint : 0
; COMPUTE_PGM_RSRC2:SCRATCH_EN: 0
; COMPUTE_PGM_RSRC2:USER_SGPR: 2
; COMPUTE_PGM_RSRC2:TRAP_HANDLER: 0
; COMPUTE_PGM_RSRC2:TGID_X_EN: 1
; COMPUTE_PGM_RSRC2:TGID_Y_EN: 0
; COMPUTE_PGM_RSRC2:TGID_Z_EN: 0
; COMPUTE_PGM_RSRC2:TIDIG_COMP_CNT: 0
; COMPUTE_PGM_RSRC3_GFX90A:ACCUM_OFFSET: 8
; COMPUTE_PGM_RSRC3_GFX90A:TG_SPLIT: 0
	.section	.text._ZN9rocsparseL44csr2gebsr_wavefront_per_row_multipass_kernelILi256ELi8ELi16ELi64E21rocsparse_complex_numIfEEEv20rocsparse_direction_iiiiii21rocsparse_index_base_PKT3_PKiS9_S4_PS5_PiSB_,"axG",@progbits,_ZN9rocsparseL44csr2gebsr_wavefront_per_row_multipass_kernelILi256ELi8ELi16ELi64E21rocsparse_complex_numIfEEEv20rocsparse_direction_iiiiii21rocsparse_index_base_PKT3_PKiS9_S4_PS5_PiSB_,comdat
	.globl	_ZN9rocsparseL44csr2gebsr_wavefront_per_row_multipass_kernelILi256ELi8ELi16ELi64E21rocsparse_complex_numIfEEEv20rocsparse_direction_iiiiii21rocsparse_index_base_PKT3_PKiS9_S4_PS5_PiSB_ ; -- Begin function _ZN9rocsparseL44csr2gebsr_wavefront_per_row_multipass_kernelILi256ELi8ELi16ELi64E21rocsparse_complex_numIfEEEv20rocsparse_direction_iiiiii21rocsparse_index_base_PKT3_PKiS9_S4_PS5_PiSB_
	.p2align	8
	.type	_ZN9rocsparseL44csr2gebsr_wavefront_per_row_multipass_kernelILi256ELi8ELi16ELi64E21rocsparse_complex_numIfEEEv20rocsparse_direction_iiiiii21rocsparse_index_base_PKT3_PKiS9_S4_PS5_PiSB_,@function
_ZN9rocsparseL44csr2gebsr_wavefront_per_row_multipass_kernelILi256ELi8ELi16ELi64E21rocsparse_complex_numIfEEEv20rocsparse_direction_iiiiii21rocsparse_index_base_PKT3_PKiS9_S4_PS5_PiSB_: ; @_ZN9rocsparseL44csr2gebsr_wavefront_per_row_multipass_kernelILi256ELi8ELi16ELi64E21rocsparse_complex_numIfEEEv20rocsparse_direction_iiiiii21rocsparse_index_base_PKT3_PKiS9_S4_PS5_PiSB_
; %bb.0:
	s_load_dwordx2 s[4:5], s[0:1], 0x0
	s_load_dwordx4 s[8:11], s[0:1], 0xc
	s_load_dword s24, s[0:1], 0x1c
	s_load_dwordx2 s[6:7], s[0:1], 0x28
	v_lshrrev_b32_e32 v18, 6, v0
	v_bfe_u32 v6, v0, 3, 3
	v_lshl_or_b32 v4, s2, 2, v18
	s_waitcnt lgkmcnt(0)
	v_mad_u64_u32 v[2:3], s[2:3], v4, s10, v[6:7]
	v_cmp_gt_i32_e32 vcc, s5, v2
	v_cmp_gt_i32_e64 s[2:3], s10, v6
	s_and_b64 s[12:13], s[2:3], vcc
	v_mov_b32_e32 v19, 0
	v_mov_b32_e32 v16, 0
	s_and_saveexec_b64 s[14:15], s[12:13]
	s_cbranch_execz .LBB146_2
; %bb.1:
	v_ashrrev_i32_e32 v3, 31, v2
	v_lshl_add_u64 v[8:9], v[2:3], 2, s[6:7]
	global_load_dword v1, v[8:9], off
	s_waitcnt vmcnt(0)
	v_subrev_u32_e32 v16, s24, v1
.LBB146_2:
	s_or_b64 exec, exec, s[14:15]
	s_and_saveexec_b64 s[14:15], s[12:13]
	s_cbranch_execz .LBB146_4
; %bb.3:
	v_ashrrev_i32_e32 v3, 31, v2
	v_lshl_add_u64 v[2:3], v[2:3], 2, s[6:7]
	global_load_dword v1, v[2:3], off offset:4
	s_waitcnt vmcnt(0)
	v_subrev_u32_e32 v19, s24, v1
.LBB146_4:
	s_or_b64 exec, exec, s[14:15]
	s_load_dword s25, s[0:1], 0x38
	v_cmp_gt_i32_e32 vcc, s8, v4
	v_mov_b32_e32 v2, 0
	s_and_saveexec_b64 s[6:7], vcc
	s_cbranch_execz .LBB146_6
; %bb.5:
	s_load_dwordx2 s[12:13], s[0:1], 0x48
	v_ashrrev_i32_e32 v5, 31, v4
	s_waitcnt lgkmcnt(0)
	v_lshl_add_u64 v[2:3], v[4:5], 2, s[12:13]
	global_load_dword v1, v[2:3], off
	s_waitcnt vmcnt(0)
	v_subrev_u32_e32 v2, s25, v1
.LBB146_6:
	s_or_b64 exec, exec, s[6:7]
	s_cmp_lt_i32 s9, 1
	s_cbranch_scc1 .LBB146_25
; %bb.7:
	v_and_b32_e32 v20, 7, v0
	v_lshlrev_b32_e32 v0, 7, v18
	v_lshl_or_b32 v21, v6, 4, v0
	v_mbcnt_lo_u32_b32 v0, -1, 0
	v_mbcnt_hi_u32_b32 v0, -1, v0
	s_cmp_eq_u32 s4, 0
	v_lshlrev_b32_e32 v3, 2, v0
	s_cselect_b64 vcc, -1, 0
	s_abs_i32 s28, s11
	v_or_b32_e32 v22, 28, v3
	v_or_b32_e32 v23, 0xfc, v3
	v_cvt_f32_u32_e32 v3, s28
	s_load_dwordx2 s[6:7], s[0:1], 0x20
	s_load_dwordx2 s[12:13], s[0:1], 0x50
	;; [unrolled: 1-line block ×4, first 2 shown]
	s_ashr_i32 s8, s11, 31
	s_mul_hi_u32 s0, s11, s10
	v_rcp_iflag_f32_e32 v3, v3
	s_mul_i32 s1, s8, s10
	v_lshlrev_b32_e32 v0, 3, v6
	v_mul_lo_u32 v6, v6, s11
	v_mul_f32_e32 v3, 0x4f7ffffe, v3
	v_cvt_u32_f32_e32 v3, v3
	v_mov_b32_e32 v1, 0
	s_add_i32 s26, s0, s1
	v_ashrrev_i32_e32 v7, 31, v6
	v_cmp_gt_u32_e64 s[0:1], s11, v20
	v_or_b32_e32 v8, v21, v20
	s_waitcnt lgkmcnt(0)
	v_lshl_add_u64 v[4:5], s[16:17], 0, v[0:1]
	v_lshl_add_u64 v[6:7], v[6:7], 3, s[16:17]
	s_and_b64 s[16:17], s[0:1], s[2:3]
	s_sub_i32 s0, 0, s28
	v_lshlrev_b32_e32 v0, 3, v20
	v_lshlrev_b32_e32 v24, 3, v8
	v_or_b32_e32 v8, 8, v20
	v_mul_lo_u32 v10, s0, v3
	v_lshl_add_u64 v[6:7], v[6:7], 0, v[0:1]
	v_mul_lo_u32 v0, v20, s10
	v_cmp_gt_u32_e64 s[4:5], s11, v8
	v_mul_hi_u32 v10, v3, v10
	s_mul_i32 s27, s11, s10
	v_lshl_add_u32 v8, s10, 3, v0
	v_mov_b32_e32 v9, v1
	s_and_b64 s[4:5], s[2:3], s[4:5]
	v_add_u32_e32 v25, v3, v10
	v_or_b32_e32 v26, -8, v20
	s_mov_b64 s[18:19], 0
	v_mov_b32_e32 v10, v1
	v_mov_b32_e32 v11, v1
	;; [unrolled: 1-line block ×4, first 2 shown]
	s_branch .LBB146_10
.LBB146_8:                              ;   in Loop: Header=BB146_10 Depth=1
	s_or_b64 exec, exec, s[0:1]
	v_mov_b32_e32 v12, 1
.LBB146_9:                              ;   in Loop: Header=BB146_10 Depth=1
	s_or_b64 exec, exec, s[2:3]
	v_mov_b32_dpp v3, v28 row_shr:1 row_mask:0xf bank_mask:0xf
	v_min_i32_e32 v3, v3, v28
	v_add_u32_e32 v2, v12, v2
	s_waitcnt lgkmcnt(0)
	v_mov_b32_dpp v13, v3 row_shr:2 row_mask:0xf bank_mask:0xf
	v_min_i32_e32 v3, v13, v3
	s_nop 1
	v_mov_b32_dpp v13, v3 row_shr:4 row_mask:0xf bank_mask:0xe
	v_min_i32_e32 v3, v13, v3
	s_nop 1
	;; [unrolled: 3-line block ×3, first 2 shown]
	v_mov_b32_dpp v13, v3 row_bcast:15 row_mask:0xa bank_mask:0xf
	v_min_i32_e32 v3, v13, v3
	s_nop 1
	v_mov_b32_dpp v13, v3 row_bcast:31 row_mask:0xc bank_mask:0xf
	v_min_i32_e32 v3, v13, v3
	ds_bpermute_b32 v3, v23, v3
	s_waitcnt lgkmcnt(0)
	v_cmp_le_i32_e64 s[0:1], s9, v3
	s_or_b64 s[18:19], s[0:1], s[18:19]
	s_andn2_b64 exec, exec, s[18:19]
	s_cbranch_execz .LBB146_25
.LBB146_10:                             ; =>This Loop Header: Depth=1
                                        ;     Child Loop BB146_11 Depth 2
                                        ;     Child Loop BB146_15 Depth 2
	s_mov_b64 s[2:3], 0
	v_mov_b32_e32 v12, v24
	v_mov_b32_e32 v13, v26
	ds_write_b8 v18, v1 offset:4096
.LBB146_11:                             ;   Parent Loop BB146_10 Depth=1
                                        ; =>  This Inner Loop Header: Depth=2
	v_add_co_u32_e64 v13, s[0:1], 8, v13
	s_xor_b64 s[0:1], s[0:1], -1
	s_and_b64 s[0:1], exec, s[0:1]
	ds_write_b64 v12, v[10:11]
	s_or_b64 s[2:3], s[0:1], s[2:3]
	v_add_u32_e32 v12, 64, v12
	s_andn2_b64 exec, exec, s[2:3]
	s_cbranch_execnz .LBB146_11
; %bb.12:                               ;   in Loop: Header=BB146_10 Depth=1
	s_or_b64 exec, exec, s[2:3]
	v_add_u32_e32 v12, v16, v20
	v_cmp_lt_i32_e64 s[0:1], v12, v19
	v_mov_b32_e32 v28, s9
	v_mov_b32_e32 v13, v19
	s_waitcnt lgkmcnt(0)
	s_and_saveexec_b64 s[20:21], s[0:1]
	s_cbranch_execz .LBB146_20
; %bb.13:                               ;   in Loop: Header=BB146_10 Depth=1
	v_ashrrev_i32_e32 v13, 31, v12
	v_mul_lo_u32 v29, v3, s11
	v_lshl_add_u64 v[14:15], v[12:13], 2, s[14:15]
	v_lshl_add_u64 v[16:17], v[12:13], 3, s[6:7]
	s_mov_b64 s[22:23], 0
	v_mov_b32_e32 v28, s9
	v_mov_b32_e32 v13, v19
	s_branch .LBB146_15
.LBB146_14:                             ;   in Loop: Header=BB146_15 Depth=2
	s_or_b64 exec, exec, s[2:3]
	v_add_u32_e32 v12, 8, v12
	v_cmp_ge_i32_e64 s[2:3], v12, v19
	s_xor_b64 s[0:1], s[0:1], -1
	s_or_b64 s[0:1], s[0:1], s[2:3]
	s_and_b64 s[0:1], exec, s[0:1]
	v_lshl_add_u64 v[14:15], v[14:15], 0, 32
	s_or_b64 s[22:23], s[0:1], s[22:23]
	v_lshl_add_u64 v[16:17], v[16:17], 0, 64
	s_andn2_b64 exec, exec, s[22:23]
	s_cbranch_execz .LBB146_19
.LBB146_15:                             ;   Parent Loop BB146_10 Depth=1
                                        ; =>  This Inner Loop Header: Depth=2
	global_load_dword v30, v[14:15], off
	s_waitcnt vmcnt(0)
	v_subrev_u32_e32 v30, s24, v30
	v_sub_u32_e32 v32, 0, v30
	v_max_i32_e32 v32, v30, v32
	v_mul_hi_u32 v33, v32, v25
	v_mul_lo_u32 v34, v33, s28
	v_sub_u32_e32 v32, v32, v34
	v_add_u32_e32 v35, 1, v33
	v_cmp_le_u32_e64 s[0:1], s28, v32
	v_subrev_u32_e32 v34, s28, v32
	v_ashrrev_i32_e32 v31, 31, v30
	v_cndmask_b32_e64 v33, v33, v35, s[0:1]
	v_cndmask_b32_e64 v32, v32, v34, s[0:1]
	v_add_u32_e32 v34, 1, v33
	v_cmp_le_u32_e64 s[0:1], s28, v32
	v_xor_b32_e32 v31, s8, v31
	s_nop 0
	v_cndmask_b32_e64 v32, v33, v34, s[0:1]
	v_xor_b32_e32 v32, v32, v31
	v_sub_u32_e32 v32, v32, v31
	v_cmp_eq_u32_e64 s[0:1], v32, v3
	v_cmp_ne_u32_e64 s[2:3], v32, v3
	v_mov_b32_e32 v31, v13
	s_and_saveexec_b64 s[30:31], s[2:3]
	s_xor_b64 s[2:3], exec, s[30:31]
; %bb.16:                               ;   in Loop: Header=BB146_15 Depth=2
	v_min_i32_e32 v28, v32, v28
                                        ; implicit-def: $vgpr30
                                        ; implicit-def: $vgpr31
; %bb.17:                               ;   in Loop: Header=BB146_15 Depth=2
	s_or_saveexec_b64 s[2:3], s[2:3]
	v_mov_b32_e32 v13, v12
	s_xor_b64 exec, exec, s[2:3]
	s_cbranch_execz .LBB146_14
; %bb.18:                               ;   in Loop: Header=BB146_15 Depth=2
	global_load_dwordx2 v[32:33], v[16:17], off
	v_sub_u32_e32 v13, v30, v29
	v_add_lshl_u32 v13, v21, v13, 3
	ds_write_b8 v18, v27 offset:4096
	s_waitcnt vmcnt(0)
	ds_write_b64 v13, v[32:33]
	v_mov_b32_e32 v13, v31
	s_branch .LBB146_14
.LBB146_19:                             ;   in Loop: Header=BB146_10 Depth=1
	s_or_b64 exec, exec, s[22:23]
.LBB146_20:                             ;   in Loop: Header=BB146_10 Depth=1
	s_or_b64 exec, exec, s[20:21]
	v_mov_b32_dpp v12, v13 row_shr:1 row_mask:0xf bank_mask:0xf
	v_min_i32_e32 v12, v12, v13
	s_waitcnt lgkmcnt(0)
	s_nop 0
	v_mov_b32_dpp v13, v12 row_shr:2 row_mask:0xf bank_mask:0xf
	v_min_i32_e32 v12, v13, v12
	ds_read_u8 v13, v18 offset:4096
	s_nop 0
	v_mov_b32_dpp v14, v12 row_shr:4 row_mask:0xf bank_mask:0xe
	v_min_i32_e32 v12, v14, v12
	ds_bpermute_b32 v16, v22, v12
	s_waitcnt lgkmcnt(1)
	v_and_b32_e32 v12, 1, v13
	v_cmp_eq_u32_e64 s[0:1], 1, v12
	v_mov_b32_e32 v12, 0
	s_and_saveexec_b64 s[2:3], s[0:1]
	s_cbranch_execz .LBB146_9
; %bb.21:                               ;   in Loop: Header=BB146_10 Depth=1
	v_add_u32_e32 v14, s25, v3
	v_ashrrev_i32_e32 v3, 31, v2
	v_lshl_add_u64 v[12:13], v[2:3], 2, s[12:13]
	global_store_dword v[12:13], v14, off
	v_mul_lo_u32 v14, s26, v2
	v_mul_lo_u32 v3, s27, v3
	v_mad_u64_u32 v[12:13], s[0:1], s27, v2, 0
	v_add3_u32 v13, v13, v3, v14
	v_lshlrev_b64 v[14:15], 3, v[12:13]
	v_lshl_add_u64 v[12:13], v[4:5], 0, v[14:15]
	v_lshl_add_u64 v[14:15], v[6:7], 0, v[14:15]
	s_and_saveexec_b64 s[0:1], s[16:17]
	s_cbranch_execz .LBB146_23
; %bb.22:                               ;   in Loop: Header=BB146_10 Depth=1
	ds_read_b64 v[30:31], v24
	v_lshl_add_u64 v[32:33], v[0:1], 3, v[12:13]
	v_cndmask_b32_e32 v33, v33, v15, vcc
	v_cndmask_b32_e32 v32, v32, v14, vcc
	s_waitcnt lgkmcnt(0)
	global_store_dwordx2 v[32:33], v[30:31], off
.LBB146_23:                             ;   in Loop: Header=BB146_10 Depth=1
	s_or_b64 exec, exec, s[0:1]
	s_and_saveexec_b64 s[0:1], s[4:5]
	s_cbranch_execz .LBB146_8
; %bb.24:                               ;   in Loop: Header=BB146_10 Depth=1
	ds_read_b64 v[30:31], v24 offset:64
	v_lshl_add_u64 v[14:15], v[14:15], 0, 64
	v_lshl_add_u64 v[12:13], v[8:9], 3, v[12:13]
	v_cndmask_b32_e32 v13, v13, v15, vcc
	v_cndmask_b32_e32 v12, v12, v14, vcc
	s_waitcnt lgkmcnt(0)
	global_store_dwordx2 v[12:13], v[30:31], off
	s_branch .LBB146_8
.LBB146_25:
	s_endpgm
	.section	.rodata,"a",@progbits
	.p2align	6, 0x0
	.amdhsa_kernel _ZN9rocsparseL44csr2gebsr_wavefront_per_row_multipass_kernelILi256ELi8ELi16ELi64E21rocsparse_complex_numIfEEEv20rocsparse_direction_iiiiii21rocsparse_index_base_PKT3_PKiS9_S4_PS5_PiSB_
		.amdhsa_group_segment_fixed_size 4100
		.amdhsa_private_segment_fixed_size 0
		.amdhsa_kernarg_size 88
		.amdhsa_user_sgpr_count 2
		.amdhsa_user_sgpr_dispatch_ptr 0
		.amdhsa_user_sgpr_queue_ptr 0
		.amdhsa_user_sgpr_kernarg_segment_ptr 1
		.amdhsa_user_sgpr_dispatch_id 0
		.amdhsa_user_sgpr_kernarg_preload_length 0
		.amdhsa_user_sgpr_kernarg_preload_offset 0
		.amdhsa_user_sgpr_private_segment_size 0
		.amdhsa_uses_dynamic_stack 0
		.amdhsa_enable_private_segment 0
		.amdhsa_system_sgpr_workgroup_id_x 1
		.amdhsa_system_sgpr_workgroup_id_y 0
		.amdhsa_system_sgpr_workgroup_id_z 0
		.amdhsa_system_sgpr_workgroup_info 0
		.amdhsa_system_vgpr_workitem_id 0
		.amdhsa_next_free_vgpr 36
		.amdhsa_next_free_sgpr 32
		.amdhsa_accum_offset 36
		.amdhsa_reserve_vcc 1
		.amdhsa_float_round_mode_32 0
		.amdhsa_float_round_mode_16_64 0
		.amdhsa_float_denorm_mode_32 3
		.amdhsa_float_denorm_mode_16_64 3
		.amdhsa_dx10_clamp 1
		.amdhsa_ieee_mode 1
		.amdhsa_fp16_overflow 0
		.amdhsa_tg_split 0
		.amdhsa_exception_fp_ieee_invalid_op 0
		.amdhsa_exception_fp_denorm_src 0
		.amdhsa_exception_fp_ieee_div_zero 0
		.amdhsa_exception_fp_ieee_overflow 0
		.amdhsa_exception_fp_ieee_underflow 0
		.amdhsa_exception_fp_ieee_inexact 0
		.amdhsa_exception_int_div_zero 0
	.end_amdhsa_kernel
	.section	.text._ZN9rocsparseL44csr2gebsr_wavefront_per_row_multipass_kernelILi256ELi8ELi16ELi64E21rocsparse_complex_numIfEEEv20rocsparse_direction_iiiiii21rocsparse_index_base_PKT3_PKiS9_S4_PS5_PiSB_,"axG",@progbits,_ZN9rocsparseL44csr2gebsr_wavefront_per_row_multipass_kernelILi256ELi8ELi16ELi64E21rocsparse_complex_numIfEEEv20rocsparse_direction_iiiiii21rocsparse_index_base_PKT3_PKiS9_S4_PS5_PiSB_,comdat
.Lfunc_end146:
	.size	_ZN9rocsparseL44csr2gebsr_wavefront_per_row_multipass_kernelILi256ELi8ELi16ELi64E21rocsparse_complex_numIfEEEv20rocsparse_direction_iiiiii21rocsparse_index_base_PKT3_PKiS9_S4_PS5_PiSB_, .Lfunc_end146-_ZN9rocsparseL44csr2gebsr_wavefront_per_row_multipass_kernelILi256ELi8ELi16ELi64E21rocsparse_complex_numIfEEEv20rocsparse_direction_iiiiii21rocsparse_index_base_PKT3_PKiS9_S4_PS5_PiSB_
                                        ; -- End function
	.section	.AMDGPU.csdata,"",@progbits
; Kernel info:
; codeLenInByte = 1372
; NumSgprs: 38
; NumVgprs: 36
; NumAgprs: 0
; TotalNumVgprs: 36
; ScratchSize: 0
; MemoryBound: 0
; FloatMode: 240
; IeeeMode: 1
; LDSByteSize: 4100 bytes/workgroup (compile time only)
; SGPRBlocks: 4
; VGPRBlocks: 4
; NumSGPRsForWavesPerEU: 38
; NumVGPRsForWavesPerEU: 36
; AccumOffset: 36
; Occupancy: 8
; WaveLimiterHint : 0
; COMPUTE_PGM_RSRC2:SCRATCH_EN: 0
; COMPUTE_PGM_RSRC2:USER_SGPR: 2
; COMPUTE_PGM_RSRC2:TRAP_HANDLER: 0
; COMPUTE_PGM_RSRC2:TGID_X_EN: 1
; COMPUTE_PGM_RSRC2:TGID_Y_EN: 0
; COMPUTE_PGM_RSRC2:TGID_Z_EN: 0
; COMPUTE_PGM_RSRC2:TIDIG_COMP_CNT: 0
; COMPUTE_PGM_RSRC3_GFX90A:ACCUM_OFFSET: 8
; COMPUTE_PGM_RSRC3_GFX90A:TG_SPLIT: 0
	.section	.text._ZN9rocsparseL44csr2gebsr_wavefront_per_row_multipass_kernelILi256ELi8ELi16ELi32E21rocsparse_complex_numIfEEEv20rocsparse_direction_iiiiii21rocsparse_index_base_PKT3_PKiS9_S4_PS5_PiSB_,"axG",@progbits,_ZN9rocsparseL44csr2gebsr_wavefront_per_row_multipass_kernelILi256ELi8ELi16ELi32E21rocsparse_complex_numIfEEEv20rocsparse_direction_iiiiii21rocsparse_index_base_PKT3_PKiS9_S4_PS5_PiSB_,comdat
	.globl	_ZN9rocsparseL44csr2gebsr_wavefront_per_row_multipass_kernelILi256ELi8ELi16ELi32E21rocsparse_complex_numIfEEEv20rocsparse_direction_iiiiii21rocsparse_index_base_PKT3_PKiS9_S4_PS5_PiSB_ ; -- Begin function _ZN9rocsparseL44csr2gebsr_wavefront_per_row_multipass_kernelILi256ELi8ELi16ELi32E21rocsparse_complex_numIfEEEv20rocsparse_direction_iiiiii21rocsparse_index_base_PKT3_PKiS9_S4_PS5_PiSB_
	.p2align	8
	.type	_ZN9rocsparseL44csr2gebsr_wavefront_per_row_multipass_kernelILi256ELi8ELi16ELi32E21rocsparse_complex_numIfEEEv20rocsparse_direction_iiiiii21rocsparse_index_base_PKT3_PKiS9_S4_PS5_PiSB_,@function
_ZN9rocsparseL44csr2gebsr_wavefront_per_row_multipass_kernelILi256ELi8ELi16ELi32E21rocsparse_complex_numIfEEEv20rocsparse_direction_iiiiii21rocsparse_index_base_PKT3_PKiS9_S4_PS5_PiSB_: ; @_ZN9rocsparseL44csr2gebsr_wavefront_per_row_multipass_kernelILi256ELi8ELi16ELi32E21rocsparse_complex_numIfEEEv20rocsparse_direction_iiiiii21rocsparse_index_base_PKT3_PKiS9_S4_PS5_PiSB_
; %bb.0:
	s_load_dwordx2 s[4:5], s[0:1], 0x0
	s_load_dwordx4 s[12:15], s[0:1], 0xc
	s_load_dword s30, s[0:1], 0x1c
	s_load_dwordx2 s[6:7], s[0:1], 0x28
	v_lshrrev_b32_e32 v22, 5, v0
	v_bfe_u32 v6, v0, 2, 3
	v_lshl_or_b32 v4, s2, 3, v22
	s_waitcnt lgkmcnt(0)
	v_mad_u64_u32 v[2:3], s[2:3], v4, s14, v[6:7]
	v_cmp_gt_i32_e32 vcc, s5, v2
	v_cmp_gt_i32_e64 s[2:3], s14, v6
	s_and_b64 s[8:9], s[2:3], vcc
	v_mov_b32_e32 v23, 0
	v_mov_b32_e32 v20, 0
	s_and_saveexec_b64 s[10:11], s[8:9]
	s_cbranch_execz .LBB147_2
; %bb.1:
	v_ashrrev_i32_e32 v3, 31, v2
	v_lshl_add_u64 v[8:9], v[2:3], 2, s[6:7]
	global_load_dword v1, v[8:9], off
	s_waitcnt vmcnt(0)
	v_subrev_u32_e32 v20, s30, v1
.LBB147_2:
	s_or_b64 exec, exec, s[10:11]
	s_and_saveexec_b64 s[10:11], s[8:9]
	s_cbranch_execz .LBB147_4
; %bb.3:
	v_ashrrev_i32_e32 v3, 31, v2
	v_lshl_add_u64 v[2:3], v[2:3], 2, s[6:7]
	global_load_dword v1, v[2:3], off offset:4
	s_waitcnt vmcnt(0)
	v_subrev_u32_e32 v23, s30, v1
.LBB147_4:
	s_or_b64 exec, exec, s[10:11]
	s_load_dword s31, s[0:1], 0x38
	v_cmp_gt_i32_e32 vcc, s12, v4
	v_mov_b32_e32 v2, 0
	s_and_saveexec_b64 s[6:7], vcc
	s_cbranch_execz .LBB147_6
; %bb.5:
	s_load_dwordx2 s[8:9], s[0:1], 0x48
	v_ashrrev_i32_e32 v5, 31, v4
	s_waitcnt lgkmcnt(0)
	v_lshl_add_u64 v[2:3], v[4:5], 2, s[8:9]
	global_load_dword v1, v[2:3], off
	s_waitcnt vmcnt(0)
	v_subrev_u32_e32 v2, s31, v1
.LBB147_6:
	s_or_b64 exec, exec, s[6:7]
	s_cmp_lt_i32 s13, 1
	s_cbranch_scc1 .LBB147_29
; %bb.7:
	v_and_b32_e32 v24, 3, v0
	v_lshlrev_b32_e32 v0, 7, v22
	s_load_dwordx2 s[10:11], s[0:1], 0x20
	s_load_dwordx2 s[16:17], s[0:1], 0x50
	;; [unrolled: 1-line block ×4, first 2 shown]
	v_lshl_or_b32 v25, v6, 4, v0
	v_mbcnt_lo_u32_b32 v0, -1, 0
	v_mbcnt_hi_u32_b32 v0, -1, v0
	v_lshlrev_b32_e32 v3, 2, v0
	v_lshlrev_b32_e32 v0, 3, v6
	v_mul_lo_u32 v6, v6, s15
	v_mov_b32_e32 v1, 0
	s_cmp_eq_u32 s4, 0
	v_ashrrev_i32_e32 v7, 31, v6
	v_or_b32_e32 v26, 12, v3
	s_cselect_b64 vcc, -1, 0
	s_ashr_i32 s12, s15, 31
	s_waitcnt lgkmcnt(0)
	v_lshl_add_u64 v[4:5], s[6:7], 0, v[0:1]
	v_lshl_add_u64 v[6:7], v[6:7], 3, s[6:7]
	v_lshlrev_b32_e32 v0, 3, v24
	v_or_b32_e32 v27, 0x7c, v3
	v_or_b32_e32 v3, 4, v24
	s_mul_hi_u32 s0, s15, s14
	s_mul_i32 s1, s12, s14
	s_mul_i32 s34, s15, s14
	v_lshl_add_u64 v[6:7], v[6:7], 0, v[0:1]
	v_mul_lo_u32 v0, v24, s14
	v_cmp_gt_u32_e64 s[4:5], s15, v3
	s_lshl_b32 s20, s14, 2
	v_or_b32_e32 v3, 8, v24
	s_abs_i32 s14, s15
	v_cmp_gt_u32_e64 s[6:7], s15, v3
	v_cvt_f32_u32_e32 v3, s14
	v_or_b32_e32 v8, v25, v24
	v_lshlrev_b32_e32 v28, 3, v8
	v_add_u32_e32 v8, s20, v0
	v_rcp_iflag_f32_e32 v3, v3
	s_add_i32 s33, s0, s1
	v_cmp_gt_u32_e64 s[0:1], s15, v24
	v_add_u32_e32 v10, s20, v8
	v_mul_f32_e32 v3, 0x4f7ffffe, v3
	v_cvt_u32_f32_e32 v3, v3
	v_or_b32_e32 v12, 12, v24
	v_cmp_gt_u32_e64 s[8:9], s15, v12
	v_add_u32_e32 v12, s20, v10
	s_and_b64 s[20:21], s[0:1], s[2:3]
	s_sub_i32 s0, 0, s14
	v_mul_lo_u32 v14, s0, v3
	v_mul_hi_u32 v14, v3, v14
	v_mov_b32_e32 v9, v1
	v_mov_b32_e32 v11, v1
	;; [unrolled: 1-line block ×3, first 2 shown]
	s_and_b64 s[4:5], s[2:3], s[4:5]
	s_and_b64 s[6:7], s[2:3], s[6:7]
	;; [unrolled: 1-line block ×3, first 2 shown]
	v_add_u32_e32 v29, v3, v14
	v_or_b32_e32 v30, -4, v24
	s_mov_b64 s[22:23], 0
	v_mov_b32_e32 v14, v1
	v_mov_b32_e32 v15, v1
	s_mov_b64 s[24:25], 0x60
	v_mov_b32_e32 v31, 1
	v_mov_b32_e32 v3, v1
	s_branch .LBB147_10
.LBB147_8:                              ;   in Loop: Header=BB147_10 Depth=1
	s_or_b64 exec, exec, s[0:1]
	v_mov_b32_e32 v16, 1
.LBB147_9:                              ;   in Loop: Header=BB147_10 Depth=1
	s_or_b64 exec, exec, s[2:3]
	v_mov_b32_dpp v3, v32 row_shr:1 row_mask:0xf bank_mask:0xf
	v_min_i32_e32 v3, v3, v32
	v_add_u32_e32 v2, v16, v2
	s_waitcnt lgkmcnt(0)
	v_mov_b32_dpp v17, v3 row_shr:2 row_mask:0xf bank_mask:0xf
	v_min_i32_e32 v3, v17, v3
	s_nop 1
	v_mov_b32_dpp v17, v3 row_shr:4 row_mask:0xf bank_mask:0xe
	v_min_i32_e32 v3, v17, v3
	s_nop 1
	;; [unrolled: 3-line block ×3, first 2 shown]
	v_mov_b32_dpp v17, v3 row_bcast:15 row_mask:0xa bank_mask:0xf
	v_min_i32_e32 v3, v17, v3
	ds_bpermute_b32 v3, v27, v3
	s_waitcnt lgkmcnt(0)
	v_cmp_le_i32_e64 s[0:1], s13, v3
	s_or_b64 s[22:23], s[0:1], s[22:23]
	s_andn2_b64 exec, exec, s[22:23]
	s_cbranch_execz .LBB147_29
.LBB147_10:                             ; =>This Loop Header: Depth=1
                                        ;     Child Loop BB147_11 Depth 2
                                        ;     Child Loop BB147_15 Depth 2
	s_mov_b64 s[2:3], 0
	v_mov_b32_e32 v16, v28
	v_mov_b32_e32 v17, v30
	ds_write_b8 v22, v1 offset:8192
.LBB147_11:                             ;   Parent Loop BB147_10 Depth=1
                                        ; =>  This Inner Loop Header: Depth=2
	v_add_u32_e32 v17, 4, v17
	v_cmp_lt_u32_e64 s[0:1], 11, v17
	ds_write_b64 v16, v[14:15]
	s_or_b64 s[2:3], s[0:1], s[2:3]
	v_add_u32_e32 v16, 32, v16
	s_andn2_b64 exec, exec, s[2:3]
	s_cbranch_execnz .LBB147_11
; %bb.12:                               ;   in Loop: Header=BB147_10 Depth=1
	s_or_b64 exec, exec, s[2:3]
	v_add_u32_e32 v16, v20, v24
	v_cmp_lt_i32_e64 s[0:1], v16, v23
	v_mov_b32_e32 v32, s13
	v_mov_b32_e32 v17, v23
	s_waitcnt lgkmcnt(0)
	s_and_saveexec_b64 s[26:27], s[0:1]
	s_cbranch_execz .LBB147_20
; %bb.13:                               ;   in Loop: Header=BB147_10 Depth=1
	v_ashrrev_i32_e32 v17, 31, v16
	v_mul_lo_u32 v33, v3, s15
	v_lshl_add_u64 v[18:19], v[16:17], 2, s[18:19]
	v_lshl_add_u64 v[20:21], v[16:17], 3, s[10:11]
	s_mov_b64 s[28:29], 0
	v_mov_b32_e32 v32, s13
	v_mov_b32_e32 v17, v23
	s_branch .LBB147_15
.LBB147_14:                             ;   in Loop: Header=BB147_15 Depth=2
	s_or_b64 exec, exec, s[2:3]
	v_add_u32_e32 v16, 4, v16
	v_cmp_ge_i32_e64 s[2:3], v16, v23
	s_xor_b64 s[0:1], s[0:1], -1
	s_or_b64 s[0:1], s[0:1], s[2:3]
	s_and_b64 s[0:1], exec, s[0:1]
	v_lshl_add_u64 v[18:19], v[18:19], 0, 16
	s_or_b64 s[28:29], s[0:1], s[28:29]
	v_lshl_add_u64 v[20:21], v[20:21], 0, 32
	s_andn2_b64 exec, exec, s[28:29]
	s_cbranch_execz .LBB147_19
.LBB147_15:                             ;   Parent Loop BB147_10 Depth=1
                                        ; =>  This Inner Loop Header: Depth=2
	global_load_dword v34, v[18:19], off
	s_waitcnt vmcnt(0)
	v_subrev_u32_e32 v34, s30, v34
	v_sub_u32_e32 v36, 0, v34
	v_max_i32_e32 v36, v34, v36
	v_mul_hi_u32 v37, v36, v29
	v_mul_lo_u32 v38, v37, s14
	v_sub_u32_e32 v36, v36, v38
	v_add_u32_e32 v39, 1, v37
	v_cmp_le_u32_e64 s[0:1], s14, v36
	v_subrev_u32_e32 v38, s14, v36
	v_ashrrev_i32_e32 v35, 31, v34
	v_cndmask_b32_e64 v37, v37, v39, s[0:1]
	v_cndmask_b32_e64 v36, v36, v38, s[0:1]
	v_add_u32_e32 v38, 1, v37
	v_cmp_le_u32_e64 s[0:1], s14, v36
	v_xor_b32_e32 v35, s12, v35
	s_nop 0
	v_cndmask_b32_e64 v36, v37, v38, s[0:1]
	v_xor_b32_e32 v36, v36, v35
	v_sub_u32_e32 v36, v36, v35
	v_cmp_eq_u32_e64 s[0:1], v36, v3
	v_cmp_ne_u32_e64 s[2:3], v36, v3
	v_mov_b32_e32 v35, v17
	s_and_saveexec_b64 s[36:37], s[2:3]
	s_xor_b64 s[2:3], exec, s[36:37]
; %bb.16:                               ;   in Loop: Header=BB147_15 Depth=2
	v_min_i32_e32 v32, v36, v32
                                        ; implicit-def: $vgpr34
                                        ; implicit-def: $vgpr35
; %bb.17:                               ;   in Loop: Header=BB147_15 Depth=2
	s_or_saveexec_b64 s[2:3], s[2:3]
	v_mov_b32_e32 v17, v16
	s_xor_b64 exec, exec, s[2:3]
	s_cbranch_execz .LBB147_14
; %bb.18:                               ;   in Loop: Header=BB147_15 Depth=2
	global_load_dwordx2 v[36:37], v[20:21], off
	v_sub_u32_e32 v17, v34, v33
	v_add_lshl_u32 v17, v25, v17, 3
	ds_write_b8 v22, v31 offset:8192
	s_waitcnt vmcnt(0)
	ds_write_b64 v17, v[36:37]
	v_mov_b32_e32 v17, v35
	s_branch .LBB147_14
.LBB147_19:                             ;   in Loop: Header=BB147_10 Depth=1
	s_or_b64 exec, exec, s[28:29]
.LBB147_20:                             ;   in Loop: Header=BB147_10 Depth=1
	s_or_b64 exec, exec, s[26:27]
	v_mov_b32_dpp v16, v17 row_shr:1 row_mask:0xf bank_mask:0xf
	v_min_i32_e32 v16, v16, v17
	s_waitcnt lgkmcnt(0)
	ds_read_u8 v17, v22 offset:8192
	v_mov_b32_dpp v18, v16 row_shr:2 row_mask:0xf bank_mask:0xf
	v_min_i32_e32 v16, v18, v16
	ds_bpermute_b32 v20, v26, v16
	s_waitcnt lgkmcnt(1)
	v_and_b32_e32 v16, 1, v17
	v_cmp_eq_u32_e64 s[0:1], 1, v16
	v_mov_b32_e32 v16, 0
	s_and_saveexec_b64 s[2:3], s[0:1]
	s_cbranch_execz .LBB147_9
; %bb.21:                               ;   in Loop: Header=BB147_10 Depth=1
	v_add_u32_e32 v18, s31, v3
	v_ashrrev_i32_e32 v3, 31, v2
	v_lshl_add_u64 v[16:17], v[2:3], 2, s[16:17]
	global_store_dword v[16:17], v18, off
	v_mul_lo_u32 v18, s33, v2
	v_mul_lo_u32 v3, s34, v3
	v_mad_u64_u32 v[16:17], s[0:1], s34, v2, 0
	v_add3_u32 v17, v17, v3, v18
	v_lshlrev_b64 v[18:19], 3, v[16:17]
	v_lshl_add_u64 v[16:17], v[4:5], 0, v[18:19]
	v_lshl_add_u64 v[18:19], v[6:7], 0, v[18:19]
	s_and_saveexec_b64 s[0:1], s[20:21]
	s_cbranch_execnz .LBB147_25
; %bb.22:                               ;   in Loop: Header=BB147_10 Depth=1
	s_or_b64 exec, exec, s[0:1]
	s_and_saveexec_b64 s[0:1], s[4:5]
	s_cbranch_execnz .LBB147_26
.LBB147_23:                             ;   in Loop: Header=BB147_10 Depth=1
	s_or_b64 exec, exec, s[0:1]
	s_and_saveexec_b64 s[0:1], s[6:7]
	s_cbranch_execnz .LBB147_27
.LBB147_24:                             ;   in Loop: Header=BB147_10 Depth=1
	s_or_b64 exec, exec, s[0:1]
	s_and_saveexec_b64 s[0:1], s[8:9]
	s_cbranch_execz .LBB147_8
	s_branch .LBB147_28
.LBB147_25:                             ;   in Loop: Header=BB147_10 Depth=1
	ds_read_b64 v[34:35], v28
	v_lshl_add_u64 v[36:37], v[0:1], 3, v[16:17]
	v_cndmask_b32_e32 v37, v37, v19, vcc
	v_cndmask_b32_e32 v36, v36, v18, vcc
	s_waitcnt lgkmcnt(0)
	global_store_dwordx2 v[36:37], v[34:35], off
	s_or_b64 exec, exec, s[0:1]
	s_and_saveexec_b64 s[0:1], s[4:5]
	s_cbranch_execz .LBB147_23
.LBB147_26:                             ;   in Loop: Header=BB147_10 Depth=1
	ds_read_b64 v[34:35], v28 offset:32
	v_lshl_add_u64 v[36:37], v[18:19], 0, 32
	v_lshl_add_u64 v[38:39], v[8:9], 3, v[16:17]
	v_cndmask_b32_e32 v37, v39, v37, vcc
	v_cndmask_b32_e32 v36, v38, v36, vcc
	s_waitcnt lgkmcnt(0)
	global_store_dwordx2 v[36:37], v[34:35], off
	s_or_b64 exec, exec, s[0:1]
	s_and_saveexec_b64 s[0:1], s[6:7]
	s_cbranch_execz .LBB147_24
.LBB147_27:                             ;   in Loop: Header=BB147_10 Depth=1
	ds_read_b64 v[34:35], v28 offset:64
	v_lshl_add_u64 v[36:37], v[18:19], 0, 64
	v_lshl_add_u64 v[38:39], v[10:11], 3, v[16:17]
	v_cndmask_b32_e32 v37, v39, v37, vcc
	v_cndmask_b32_e32 v36, v38, v36, vcc
	s_waitcnt lgkmcnt(0)
	global_store_dwordx2 v[36:37], v[34:35], off
	s_or_b64 exec, exec, s[0:1]
	s_and_saveexec_b64 s[0:1], s[8:9]
	s_cbranch_execz .LBB147_8
.LBB147_28:                             ;   in Loop: Header=BB147_10 Depth=1
	ds_read_b64 v[34:35], v28 offset:96
	v_lshl_add_u64 v[18:19], v[18:19], 0, s[24:25]
	v_lshl_add_u64 v[16:17], v[12:13], 3, v[16:17]
	v_cndmask_b32_e32 v17, v17, v19, vcc
	v_cndmask_b32_e32 v16, v16, v18, vcc
	s_waitcnt lgkmcnt(0)
	global_store_dwordx2 v[16:17], v[34:35], off
	s_branch .LBB147_8
.LBB147_29:
	s_endpgm
	.section	.rodata,"a",@progbits
	.p2align	6, 0x0
	.amdhsa_kernel _ZN9rocsparseL44csr2gebsr_wavefront_per_row_multipass_kernelILi256ELi8ELi16ELi32E21rocsparse_complex_numIfEEEv20rocsparse_direction_iiiiii21rocsparse_index_base_PKT3_PKiS9_S4_PS5_PiSB_
		.amdhsa_group_segment_fixed_size 8200
		.amdhsa_private_segment_fixed_size 0
		.amdhsa_kernarg_size 88
		.amdhsa_user_sgpr_count 2
		.amdhsa_user_sgpr_dispatch_ptr 0
		.amdhsa_user_sgpr_queue_ptr 0
		.amdhsa_user_sgpr_kernarg_segment_ptr 1
		.amdhsa_user_sgpr_dispatch_id 0
		.amdhsa_user_sgpr_kernarg_preload_length 0
		.amdhsa_user_sgpr_kernarg_preload_offset 0
		.amdhsa_user_sgpr_private_segment_size 0
		.amdhsa_uses_dynamic_stack 0
		.amdhsa_enable_private_segment 0
		.amdhsa_system_sgpr_workgroup_id_x 1
		.amdhsa_system_sgpr_workgroup_id_y 0
		.amdhsa_system_sgpr_workgroup_id_z 0
		.amdhsa_system_sgpr_workgroup_info 0
		.amdhsa_system_vgpr_workitem_id 0
		.amdhsa_next_free_vgpr 40
		.amdhsa_next_free_sgpr 38
		.amdhsa_accum_offset 40
		.amdhsa_reserve_vcc 1
		.amdhsa_float_round_mode_32 0
		.amdhsa_float_round_mode_16_64 0
		.amdhsa_float_denorm_mode_32 3
		.amdhsa_float_denorm_mode_16_64 3
		.amdhsa_dx10_clamp 1
		.amdhsa_ieee_mode 1
		.amdhsa_fp16_overflow 0
		.amdhsa_tg_split 0
		.amdhsa_exception_fp_ieee_invalid_op 0
		.amdhsa_exception_fp_denorm_src 0
		.amdhsa_exception_fp_ieee_div_zero 0
		.amdhsa_exception_fp_ieee_overflow 0
		.amdhsa_exception_fp_ieee_underflow 0
		.amdhsa_exception_fp_ieee_inexact 0
		.amdhsa_exception_int_div_zero 0
	.end_amdhsa_kernel
	.section	.text._ZN9rocsparseL44csr2gebsr_wavefront_per_row_multipass_kernelILi256ELi8ELi16ELi32E21rocsparse_complex_numIfEEEv20rocsparse_direction_iiiiii21rocsparse_index_base_PKT3_PKiS9_S4_PS5_PiSB_,"axG",@progbits,_ZN9rocsparseL44csr2gebsr_wavefront_per_row_multipass_kernelILi256ELi8ELi16ELi32E21rocsparse_complex_numIfEEEv20rocsparse_direction_iiiiii21rocsparse_index_base_PKT3_PKiS9_S4_PS5_PiSB_,comdat
.Lfunc_end147:
	.size	_ZN9rocsparseL44csr2gebsr_wavefront_per_row_multipass_kernelILi256ELi8ELi16ELi32E21rocsparse_complex_numIfEEEv20rocsparse_direction_iiiiii21rocsparse_index_base_PKT3_PKiS9_S4_PS5_PiSB_, .Lfunc_end147-_ZN9rocsparseL44csr2gebsr_wavefront_per_row_multipass_kernelILi256ELi8ELi16ELi32E21rocsparse_complex_numIfEEEv20rocsparse_direction_iiiiii21rocsparse_index_base_PKT3_PKiS9_S4_PS5_PiSB_
                                        ; -- End function
	.section	.AMDGPU.csdata,"",@progbits
; Kernel info:
; codeLenInByte = 1540
; NumSgprs: 44
; NumVgprs: 40
; NumAgprs: 0
; TotalNumVgprs: 40
; ScratchSize: 0
; MemoryBound: 0
; FloatMode: 240
; IeeeMode: 1
; LDSByteSize: 8200 bytes/workgroup (compile time only)
; SGPRBlocks: 5
; VGPRBlocks: 4
; NumSGPRsForWavesPerEU: 44
; NumVGPRsForWavesPerEU: 40
; AccumOffset: 40
; Occupancy: 7
; WaveLimiterHint : 0
; COMPUTE_PGM_RSRC2:SCRATCH_EN: 0
; COMPUTE_PGM_RSRC2:USER_SGPR: 2
; COMPUTE_PGM_RSRC2:TRAP_HANDLER: 0
; COMPUTE_PGM_RSRC2:TGID_X_EN: 1
; COMPUTE_PGM_RSRC2:TGID_Y_EN: 0
; COMPUTE_PGM_RSRC2:TGID_Z_EN: 0
; COMPUTE_PGM_RSRC2:TIDIG_COMP_CNT: 0
; COMPUTE_PGM_RSRC3_GFX90A:ACCUM_OFFSET: 9
; COMPUTE_PGM_RSRC3_GFX90A:TG_SPLIT: 0
	.section	.text._ZN9rocsparseL44csr2gebsr_wavefront_per_row_multipass_kernelILi256ELi8ELi32ELi64E21rocsparse_complex_numIfEEEv20rocsparse_direction_iiiiii21rocsparse_index_base_PKT3_PKiS9_S4_PS5_PiSB_,"axG",@progbits,_ZN9rocsparseL44csr2gebsr_wavefront_per_row_multipass_kernelILi256ELi8ELi32ELi64E21rocsparse_complex_numIfEEEv20rocsparse_direction_iiiiii21rocsparse_index_base_PKT3_PKiS9_S4_PS5_PiSB_,comdat
	.globl	_ZN9rocsparseL44csr2gebsr_wavefront_per_row_multipass_kernelILi256ELi8ELi32ELi64E21rocsparse_complex_numIfEEEv20rocsparse_direction_iiiiii21rocsparse_index_base_PKT3_PKiS9_S4_PS5_PiSB_ ; -- Begin function _ZN9rocsparseL44csr2gebsr_wavefront_per_row_multipass_kernelILi256ELi8ELi32ELi64E21rocsparse_complex_numIfEEEv20rocsparse_direction_iiiiii21rocsparse_index_base_PKT3_PKiS9_S4_PS5_PiSB_
	.p2align	8
	.type	_ZN9rocsparseL44csr2gebsr_wavefront_per_row_multipass_kernelILi256ELi8ELi32ELi64E21rocsparse_complex_numIfEEEv20rocsparse_direction_iiiiii21rocsparse_index_base_PKT3_PKiS9_S4_PS5_PiSB_,@function
_ZN9rocsparseL44csr2gebsr_wavefront_per_row_multipass_kernelILi256ELi8ELi32ELi64E21rocsparse_complex_numIfEEEv20rocsparse_direction_iiiiii21rocsparse_index_base_PKT3_PKiS9_S4_PS5_PiSB_: ; @_ZN9rocsparseL44csr2gebsr_wavefront_per_row_multipass_kernelILi256ELi8ELi32ELi64E21rocsparse_complex_numIfEEEv20rocsparse_direction_iiiiii21rocsparse_index_base_PKT3_PKiS9_S4_PS5_PiSB_
; %bb.0:
	s_load_dwordx2 s[4:5], s[0:1], 0x0
	s_load_dwordx4 s[12:15], s[0:1], 0xc
	s_load_dword s33, s[0:1], 0x1c
	s_load_dwordx2 s[6:7], s[0:1], 0x28
	v_lshrrev_b32_e32 v22, 6, v0
	v_bfe_u32 v6, v0, 3, 3
	v_lshl_or_b32 v4, s2, 2, v22
	s_waitcnt lgkmcnt(0)
	v_mad_u64_u32 v[2:3], s[2:3], v4, s14, v[6:7]
	v_cmp_gt_i32_e32 vcc, s5, v2
	v_cmp_gt_i32_e64 s[2:3], s14, v6
	s_and_b64 s[8:9], s[2:3], vcc
	v_mov_b32_e32 v23, 0
	v_mov_b32_e32 v20, 0
	s_and_saveexec_b64 s[10:11], s[8:9]
	s_cbranch_execz .LBB148_2
; %bb.1:
	v_ashrrev_i32_e32 v3, 31, v2
	v_lshl_add_u64 v[8:9], v[2:3], 2, s[6:7]
	global_load_dword v1, v[8:9], off
	s_waitcnt vmcnt(0)
	v_subrev_u32_e32 v20, s33, v1
.LBB148_2:
	s_or_b64 exec, exec, s[10:11]
	s_and_saveexec_b64 s[10:11], s[8:9]
	s_cbranch_execz .LBB148_4
; %bb.3:
	v_ashrrev_i32_e32 v3, 31, v2
	v_lshl_add_u64 v[2:3], v[2:3], 2, s[6:7]
	global_load_dword v1, v[2:3], off offset:4
	s_waitcnt vmcnt(0)
	v_subrev_u32_e32 v23, s33, v1
.LBB148_4:
	s_or_b64 exec, exec, s[10:11]
	s_load_dword s34, s[0:1], 0x38
	v_cmp_gt_i32_e32 vcc, s12, v4
	v_mov_b32_e32 v2, 0
	s_and_saveexec_b64 s[6:7], vcc
	s_cbranch_execz .LBB148_6
; %bb.5:
	s_load_dwordx2 s[8:9], s[0:1], 0x48
	v_ashrrev_i32_e32 v5, 31, v4
	s_waitcnt lgkmcnt(0)
	v_lshl_add_u64 v[2:3], v[4:5], 2, s[8:9]
	global_load_dword v1, v[2:3], off
	s_waitcnt vmcnt(0)
	v_subrev_u32_e32 v2, s34, v1
.LBB148_6:
	s_or_b64 exec, exec, s[6:7]
	s_cmp_lt_i32 s13, 1
	s_cbranch_scc1 .LBB148_29
; %bb.7:
	v_and_b32_e32 v24, 7, v0
	v_lshlrev_b32_e32 v0, 8, v22
	s_load_dwordx2 s[10:11], s[0:1], 0x20
	s_load_dwordx2 s[16:17], s[0:1], 0x50
	;; [unrolled: 1-line block ×4, first 2 shown]
	v_lshl_or_b32 v25, v6, 5, v0
	v_mbcnt_lo_u32_b32 v0, -1, 0
	v_mbcnt_hi_u32_b32 v0, -1, v0
	v_lshlrev_b32_e32 v3, 2, v0
	v_lshlrev_b32_e32 v0, 3, v6
	v_mul_lo_u32 v6, v6, s15
	v_mov_b32_e32 v1, 0
	s_cmp_eq_u32 s4, 0
	v_ashrrev_i32_e32 v7, 31, v6
	v_or_b32_e32 v26, 28, v3
	s_cselect_b64 vcc, -1, 0
	s_ashr_i32 s12, s15, 31
	s_waitcnt lgkmcnt(0)
	v_lshl_add_u64 v[4:5], s[6:7], 0, v[0:1]
	v_lshl_add_u64 v[6:7], v[6:7], 3, s[6:7]
	v_lshlrev_b32_e32 v0, 3, v24
	v_or_b32_e32 v27, 0xfc, v3
	v_or_b32_e32 v3, 8, v24
	s_mul_hi_u32 s0, s15, s14
	s_mul_i32 s1, s12, s14
	s_mul_i32 s36, s15, s14
	v_lshl_add_u64 v[6:7], v[6:7], 0, v[0:1]
	v_mul_lo_u32 v0, v24, s14
	v_cmp_gt_u32_e64 s[4:5], s15, v3
	s_lshl_b32 s20, s14, 3
	v_or_b32_e32 v3, 16, v24
	s_abs_i32 s14, s15
	v_cmp_gt_u32_e64 s[6:7], s15, v3
	v_cvt_f32_u32_e32 v3, s14
	v_or_b32_e32 v8, v25, v24
	v_lshlrev_b32_e32 v28, 3, v8
	v_add_u32_e32 v8, s20, v0
	v_rcp_iflag_f32_e32 v3, v3
	s_add_i32 s35, s0, s1
	v_cmp_gt_u32_e64 s[0:1], s15, v24
	v_add_u32_e32 v10, s20, v8
	v_mul_f32_e32 v3, 0x4f7ffffe, v3
	v_cvt_u32_f32_e32 v3, v3
	v_or_b32_e32 v12, 24, v24
	v_cmp_gt_u32_e64 s[8:9], s15, v12
	v_add_u32_e32 v12, s20, v10
	s_and_b64 s[20:21], s[0:1], s[2:3]
	s_sub_i32 s0, 0, s14
	v_mul_lo_u32 v14, s0, v3
	v_mul_hi_u32 v14, v3, v14
	v_mov_b32_e32 v9, v1
	v_mov_b32_e32 v11, v1
	;; [unrolled: 1-line block ×3, first 2 shown]
	s_and_b64 s[4:5], s[2:3], s[4:5]
	s_and_b64 s[6:7], s[2:3], s[6:7]
	;; [unrolled: 1-line block ×3, first 2 shown]
	v_add_u32_e32 v29, v3, v14
	v_or_b32_e32 v30, -8, v24
	s_mov_b64 s[22:23], 0
	v_mov_b32_e32 v14, v1
	v_mov_b32_e32 v15, v1
	s_mov_b64 s[24:25], 0x80
	s_mov_b64 s[26:27], 0xc0
	v_mov_b32_e32 v31, 1
	v_mov_b32_e32 v3, v1
	s_branch .LBB148_10
.LBB148_8:                              ;   in Loop: Header=BB148_10 Depth=1
	s_or_b64 exec, exec, s[0:1]
	v_mov_b32_e32 v16, 1
.LBB148_9:                              ;   in Loop: Header=BB148_10 Depth=1
	s_or_b64 exec, exec, s[2:3]
	v_mov_b32_dpp v3, v32 row_shr:1 row_mask:0xf bank_mask:0xf
	v_min_i32_e32 v3, v3, v32
	v_add_u32_e32 v2, v16, v2
	s_waitcnt lgkmcnt(0)
	v_mov_b32_dpp v17, v3 row_shr:2 row_mask:0xf bank_mask:0xf
	v_min_i32_e32 v3, v17, v3
	s_nop 1
	v_mov_b32_dpp v17, v3 row_shr:4 row_mask:0xf bank_mask:0xe
	v_min_i32_e32 v3, v17, v3
	s_nop 1
	;; [unrolled: 3-line block ×3, first 2 shown]
	v_mov_b32_dpp v17, v3 row_bcast:15 row_mask:0xa bank_mask:0xf
	v_min_i32_e32 v3, v17, v3
	s_nop 1
	v_mov_b32_dpp v17, v3 row_bcast:31 row_mask:0xc bank_mask:0xf
	v_min_i32_e32 v3, v17, v3
	ds_bpermute_b32 v3, v27, v3
	s_waitcnt lgkmcnt(0)
	v_cmp_le_i32_e64 s[0:1], s13, v3
	s_or_b64 s[22:23], s[0:1], s[22:23]
	s_andn2_b64 exec, exec, s[22:23]
	s_cbranch_execz .LBB148_29
.LBB148_10:                             ; =>This Loop Header: Depth=1
                                        ;     Child Loop BB148_11 Depth 2
                                        ;     Child Loop BB148_15 Depth 2
	s_mov_b64 s[2:3], 0
	v_mov_b32_e32 v16, v28
	v_mov_b32_e32 v17, v30
	ds_write_b8 v22, v1 offset:8192
.LBB148_11:                             ;   Parent Loop BB148_10 Depth=1
                                        ; =>  This Inner Loop Header: Depth=2
	v_add_u32_e32 v17, 8, v17
	v_cmp_lt_u32_e64 s[0:1], 23, v17
	ds_write_b64 v16, v[14:15]
	s_or_b64 s[2:3], s[0:1], s[2:3]
	v_add_u32_e32 v16, 64, v16
	s_andn2_b64 exec, exec, s[2:3]
	s_cbranch_execnz .LBB148_11
; %bb.12:                               ;   in Loop: Header=BB148_10 Depth=1
	s_or_b64 exec, exec, s[2:3]
	v_add_u32_e32 v16, v20, v24
	v_cmp_lt_i32_e64 s[0:1], v16, v23
	v_mov_b32_e32 v32, s13
	v_mov_b32_e32 v17, v23
	s_waitcnt lgkmcnt(0)
	s_and_saveexec_b64 s[28:29], s[0:1]
	s_cbranch_execz .LBB148_20
; %bb.13:                               ;   in Loop: Header=BB148_10 Depth=1
	v_ashrrev_i32_e32 v17, 31, v16
	v_mul_lo_u32 v33, v3, s15
	v_lshl_add_u64 v[18:19], v[16:17], 2, s[18:19]
	v_lshl_add_u64 v[20:21], v[16:17], 3, s[10:11]
	s_mov_b64 s[30:31], 0
	v_mov_b32_e32 v32, s13
	v_mov_b32_e32 v17, v23
	s_branch .LBB148_15
.LBB148_14:                             ;   in Loop: Header=BB148_15 Depth=2
	s_or_b64 exec, exec, s[2:3]
	v_add_u32_e32 v16, 8, v16
	v_cmp_ge_i32_e64 s[2:3], v16, v23
	s_xor_b64 s[0:1], s[0:1], -1
	s_or_b64 s[0:1], s[0:1], s[2:3]
	s_and_b64 s[0:1], exec, s[0:1]
	v_lshl_add_u64 v[18:19], v[18:19], 0, 32
	s_or_b64 s[30:31], s[0:1], s[30:31]
	v_lshl_add_u64 v[20:21], v[20:21], 0, 64
	s_andn2_b64 exec, exec, s[30:31]
	s_cbranch_execz .LBB148_19
.LBB148_15:                             ;   Parent Loop BB148_10 Depth=1
                                        ; =>  This Inner Loop Header: Depth=2
	global_load_dword v34, v[18:19], off
	s_waitcnt vmcnt(0)
	v_subrev_u32_e32 v34, s33, v34
	v_sub_u32_e32 v36, 0, v34
	v_max_i32_e32 v36, v34, v36
	v_mul_hi_u32 v37, v36, v29
	v_mul_lo_u32 v38, v37, s14
	v_sub_u32_e32 v36, v36, v38
	v_add_u32_e32 v39, 1, v37
	v_cmp_le_u32_e64 s[0:1], s14, v36
	v_subrev_u32_e32 v38, s14, v36
	v_ashrrev_i32_e32 v35, 31, v34
	v_cndmask_b32_e64 v37, v37, v39, s[0:1]
	v_cndmask_b32_e64 v36, v36, v38, s[0:1]
	v_add_u32_e32 v38, 1, v37
	v_cmp_le_u32_e64 s[0:1], s14, v36
	v_xor_b32_e32 v35, s12, v35
	s_nop 0
	v_cndmask_b32_e64 v36, v37, v38, s[0:1]
	v_xor_b32_e32 v36, v36, v35
	v_sub_u32_e32 v36, v36, v35
	v_cmp_eq_u32_e64 s[0:1], v36, v3
	v_cmp_ne_u32_e64 s[2:3], v36, v3
	v_mov_b32_e32 v35, v17
	s_and_saveexec_b64 s[38:39], s[2:3]
	s_xor_b64 s[2:3], exec, s[38:39]
; %bb.16:                               ;   in Loop: Header=BB148_15 Depth=2
	v_min_i32_e32 v32, v36, v32
                                        ; implicit-def: $vgpr34
                                        ; implicit-def: $vgpr35
; %bb.17:                               ;   in Loop: Header=BB148_15 Depth=2
	s_or_saveexec_b64 s[2:3], s[2:3]
	v_mov_b32_e32 v17, v16
	s_xor_b64 exec, exec, s[2:3]
	s_cbranch_execz .LBB148_14
; %bb.18:                               ;   in Loop: Header=BB148_15 Depth=2
	global_load_dwordx2 v[36:37], v[20:21], off
	v_sub_u32_e32 v17, v34, v33
	v_add_lshl_u32 v17, v25, v17, 3
	ds_write_b8 v22, v31 offset:8192
	s_waitcnt vmcnt(0)
	ds_write_b64 v17, v[36:37]
	v_mov_b32_e32 v17, v35
	s_branch .LBB148_14
.LBB148_19:                             ;   in Loop: Header=BB148_10 Depth=1
	s_or_b64 exec, exec, s[30:31]
.LBB148_20:                             ;   in Loop: Header=BB148_10 Depth=1
	s_or_b64 exec, exec, s[28:29]
	v_mov_b32_dpp v16, v17 row_shr:1 row_mask:0xf bank_mask:0xf
	v_min_i32_e32 v16, v16, v17
	s_waitcnt lgkmcnt(0)
	s_nop 0
	v_mov_b32_dpp v17, v16 row_shr:2 row_mask:0xf bank_mask:0xf
	v_min_i32_e32 v16, v17, v16
	ds_read_u8 v17, v22 offset:8192
	s_nop 0
	v_mov_b32_dpp v18, v16 row_shr:4 row_mask:0xf bank_mask:0xe
	v_min_i32_e32 v16, v18, v16
	ds_bpermute_b32 v20, v26, v16
	s_waitcnt lgkmcnt(1)
	v_and_b32_e32 v16, 1, v17
	v_cmp_eq_u32_e64 s[0:1], 1, v16
	v_mov_b32_e32 v16, 0
	s_and_saveexec_b64 s[2:3], s[0:1]
	s_cbranch_execz .LBB148_9
; %bb.21:                               ;   in Loop: Header=BB148_10 Depth=1
	v_add_u32_e32 v18, s34, v3
	v_ashrrev_i32_e32 v3, 31, v2
	v_lshl_add_u64 v[16:17], v[2:3], 2, s[16:17]
	global_store_dword v[16:17], v18, off
	v_mul_lo_u32 v18, s35, v2
	v_mul_lo_u32 v3, s36, v3
	v_mad_u64_u32 v[16:17], s[0:1], s36, v2, 0
	v_add3_u32 v17, v17, v3, v18
	v_lshlrev_b64 v[18:19], 3, v[16:17]
	v_lshl_add_u64 v[16:17], v[4:5], 0, v[18:19]
	v_lshl_add_u64 v[18:19], v[6:7], 0, v[18:19]
	s_and_saveexec_b64 s[0:1], s[20:21]
	s_cbranch_execnz .LBB148_25
; %bb.22:                               ;   in Loop: Header=BB148_10 Depth=1
	s_or_b64 exec, exec, s[0:1]
	s_and_saveexec_b64 s[0:1], s[4:5]
	s_cbranch_execnz .LBB148_26
.LBB148_23:                             ;   in Loop: Header=BB148_10 Depth=1
	s_or_b64 exec, exec, s[0:1]
	s_and_saveexec_b64 s[0:1], s[6:7]
	s_cbranch_execnz .LBB148_27
.LBB148_24:                             ;   in Loop: Header=BB148_10 Depth=1
	s_or_b64 exec, exec, s[0:1]
	s_and_saveexec_b64 s[0:1], s[8:9]
	s_cbranch_execz .LBB148_8
	s_branch .LBB148_28
.LBB148_25:                             ;   in Loop: Header=BB148_10 Depth=1
	ds_read_b64 v[34:35], v28
	v_lshl_add_u64 v[36:37], v[0:1], 3, v[16:17]
	v_cndmask_b32_e32 v37, v37, v19, vcc
	v_cndmask_b32_e32 v36, v36, v18, vcc
	s_waitcnt lgkmcnt(0)
	global_store_dwordx2 v[36:37], v[34:35], off
	s_or_b64 exec, exec, s[0:1]
	s_and_saveexec_b64 s[0:1], s[4:5]
	s_cbranch_execz .LBB148_23
.LBB148_26:                             ;   in Loop: Header=BB148_10 Depth=1
	ds_read_b64 v[34:35], v28 offset:64
	v_lshl_add_u64 v[36:37], v[18:19], 0, 64
	v_lshl_add_u64 v[38:39], v[8:9], 3, v[16:17]
	v_cndmask_b32_e32 v37, v39, v37, vcc
	v_cndmask_b32_e32 v36, v38, v36, vcc
	s_waitcnt lgkmcnt(0)
	global_store_dwordx2 v[36:37], v[34:35], off
	s_or_b64 exec, exec, s[0:1]
	s_and_saveexec_b64 s[0:1], s[6:7]
	s_cbranch_execz .LBB148_24
.LBB148_27:                             ;   in Loop: Header=BB148_10 Depth=1
	ds_read_b64 v[34:35], v28 offset:128
	v_lshl_add_u64 v[36:37], v[18:19], 0, s[24:25]
	v_lshl_add_u64 v[38:39], v[10:11], 3, v[16:17]
	v_cndmask_b32_e32 v37, v39, v37, vcc
	v_cndmask_b32_e32 v36, v38, v36, vcc
	s_waitcnt lgkmcnt(0)
	global_store_dwordx2 v[36:37], v[34:35], off
	s_or_b64 exec, exec, s[0:1]
	s_and_saveexec_b64 s[0:1], s[8:9]
	s_cbranch_execz .LBB148_8
.LBB148_28:                             ;   in Loop: Header=BB148_10 Depth=1
	ds_read_b64 v[34:35], v28 offset:192
	v_lshl_add_u64 v[18:19], v[18:19], 0, s[26:27]
	v_lshl_add_u64 v[16:17], v[12:13], 3, v[16:17]
	v_cndmask_b32_e32 v17, v17, v19, vcc
	v_cndmask_b32_e32 v16, v16, v18, vcc
	s_waitcnt lgkmcnt(0)
	global_store_dwordx2 v[16:17], v[34:35], off
	s_branch .LBB148_8
.LBB148_29:
	s_endpgm
	.section	.rodata,"a",@progbits
	.p2align	6, 0x0
	.amdhsa_kernel _ZN9rocsparseL44csr2gebsr_wavefront_per_row_multipass_kernelILi256ELi8ELi32ELi64E21rocsparse_complex_numIfEEEv20rocsparse_direction_iiiiii21rocsparse_index_base_PKT3_PKiS9_S4_PS5_PiSB_
		.amdhsa_group_segment_fixed_size 8196
		.amdhsa_private_segment_fixed_size 0
		.amdhsa_kernarg_size 88
		.amdhsa_user_sgpr_count 2
		.amdhsa_user_sgpr_dispatch_ptr 0
		.amdhsa_user_sgpr_queue_ptr 0
		.amdhsa_user_sgpr_kernarg_segment_ptr 1
		.amdhsa_user_sgpr_dispatch_id 0
		.amdhsa_user_sgpr_kernarg_preload_length 0
		.amdhsa_user_sgpr_kernarg_preload_offset 0
		.amdhsa_user_sgpr_private_segment_size 0
		.amdhsa_uses_dynamic_stack 0
		.amdhsa_enable_private_segment 0
		.amdhsa_system_sgpr_workgroup_id_x 1
		.amdhsa_system_sgpr_workgroup_id_y 0
		.amdhsa_system_sgpr_workgroup_id_z 0
		.amdhsa_system_sgpr_workgroup_info 0
		.amdhsa_system_vgpr_workitem_id 0
		.amdhsa_next_free_vgpr 40
		.amdhsa_next_free_sgpr 40
		.amdhsa_accum_offset 40
		.amdhsa_reserve_vcc 1
		.amdhsa_float_round_mode_32 0
		.amdhsa_float_round_mode_16_64 0
		.amdhsa_float_denorm_mode_32 3
		.amdhsa_float_denorm_mode_16_64 3
		.amdhsa_dx10_clamp 1
		.amdhsa_ieee_mode 1
		.amdhsa_fp16_overflow 0
		.amdhsa_tg_split 0
		.amdhsa_exception_fp_ieee_invalid_op 0
		.amdhsa_exception_fp_denorm_src 0
		.amdhsa_exception_fp_ieee_div_zero 0
		.amdhsa_exception_fp_ieee_overflow 0
		.amdhsa_exception_fp_ieee_underflow 0
		.amdhsa_exception_fp_ieee_inexact 0
		.amdhsa_exception_int_div_zero 0
	.end_amdhsa_kernel
	.section	.text._ZN9rocsparseL44csr2gebsr_wavefront_per_row_multipass_kernelILi256ELi8ELi32ELi64E21rocsparse_complex_numIfEEEv20rocsparse_direction_iiiiii21rocsparse_index_base_PKT3_PKiS9_S4_PS5_PiSB_,"axG",@progbits,_ZN9rocsparseL44csr2gebsr_wavefront_per_row_multipass_kernelILi256ELi8ELi32ELi64E21rocsparse_complex_numIfEEEv20rocsparse_direction_iiiiii21rocsparse_index_base_PKT3_PKiS9_S4_PS5_PiSB_,comdat
.Lfunc_end148:
	.size	_ZN9rocsparseL44csr2gebsr_wavefront_per_row_multipass_kernelILi256ELi8ELi32ELi64E21rocsparse_complex_numIfEEEv20rocsparse_direction_iiiiii21rocsparse_index_base_PKT3_PKiS9_S4_PS5_PiSB_, .Lfunc_end148-_ZN9rocsparseL44csr2gebsr_wavefront_per_row_multipass_kernelILi256ELi8ELi32ELi64E21rocsparse_complex_numIfEEEv20rocsparse_direction_iiiiii21rocsparse_index_base_PKT3_PKiS9_S4_PS5_PiSB_
                                        ; -- End function
	.section	.AMDGPU.csdata,"",@progbits
; Kernel info:
; codeLenInByte = 1584
; NumSgprs: 46
; NumVgprs: 40
; NumAgprs: 0
; TotalNumVgprs: 40
; ScratchSize: 0
; MemoryBound: 0
; FloatMode: 240
; IeeeMode: 1
; LDSByteSize: 8196 bytes/workgroup (compile time only)
; SGPRBlocks: 5
; VGPRBlocks: 4
; NumSGPRsForWavesPerEU: 46
; NumVGPRsForWavesPerEU: 40
; AccumOffset: 40
; Occupancy: 7
; WaveLimiterHint : 0
; COMPUTE_PGM_RSRC2:SCRATCH_EN: 0
; COMPUTE_PGM_RSRC2:USER_SGPR: 2
; COMPUTE_PGM_RSRC2:TRAP_HANDLER: 0
; COMPUTE_PGM_RSRC2:TGID_X_EN: 1
; COMPUTE_PGM_RSRC2:TGID_Y_EN: 0
; COMPUTE_PGM_RSRC2:TGID_Z_EN: 0
; COMPUTE_PGM_RSRC2:TIDIG_COMP_CNT: 0
; COMPUTE_PGM_RSRC3_GFX90A:ACCUM_OFFSET: 9
; COMPUTE_PGM_RSRC3_GFX90A:TG_SPLIT: 0
	.section	.text._ZN9rocsparseL44csr2gebsr_wavefront_per_row_multipass_kernelILi256ELi8ELi32ELi32E21rocsparse_complex_numIfEEEv20rocsparse_direction_iiiiii21rocsparse_index_base_PKT3_PKiS9_S4_PS5_PiSB_,"axG",@progbits,_ZN9rocsparseL44csr2gebsr_wavefront_per_row_multipass_kernelILi256ELi8ELi32ELi32E21rocsparse_complex_numIfEEEv20rocsparse_direction_iiiiii21rocsparse_index_base_PKT3_PKiS9_S4_PS5_PiSB_,comdat
	.globl	_ZN9rocsparseL44csr2gebsr_wavefront_per_row_multipass_kernelILi256ELi8ELi32ELi32E21rocsparse_complex_numIfEEEv20rocsparse_direction_iiiiii21rocsparse_index_base_PKT3_PKiS9_S4_PS5_PiSB_ ; -- Begin function _ZN9rocsparseL44csr2gebsr_wavefront_per_row_multipass_kernelILi256ELi8ELi32ELi32E21rocsparse_complex_numIfEEEv20rocsparse_direction_iiiiii21rocsparse_index_base_PKT3_PKiS9_S4_PS5_PiSB_
	.p2align	8
	.type	_ZN9rocsparseL44csr2gebsr_wavefront_per_row_multipass_kernelILi256ELi8ELi32ELi32E21rocsparse_complex_numIfEEEv20rocsparse_direction_iiiiii21rocsparse_index_base_PKT3_PKiS9_S4_PS5_PiSB_,@function
_ZN9rocsparseL44csr2gebsr_wavefront_per_row_multipass_kernelILi256ELi8ELi32ELi32E21rocsparse_complex_numIfEEEv20rocsparse_direction_iiiiii21rocsparse_index_base_PKT3_PKiS9_S4_PS5_PiSB_: ; @_ZN9rocsparseL44csr2gebsr_wavefront_per_row_multipass_kernelILi256ELi8ELi32ELi32E21rocsparse_complex_numIfEEEv20rocsparse_direction_iiiiii21rocsparse_index_base_PKT3_PKiS9_S4_PS5_PiSB_
; %bb.0:
	s_load_dwordx2 s[4:5], s[0:1], 0x0
	s_load_dwordx4 s[20:23], s[0:1], 0xc
	s_load_dword s33, s[0:1], 0x1c
	s_load_dwordx2 s[6:7], s[0:1], 0x28
	v_lshrrev_b32_e32 v32, 5, v0
	v_bfe_u32 v8, v0, 2, 3
	v_lshl_or_b32 v4, s2, 3, v32
	s_waitcnt lgkmcnt(0)
	v_mad_u64_u32 v[2:3], s[2:3], v4, s22, v[8:9]
	v_cmp_gt_i32_e32 vcc, s5, v2
	v_cmp_gt_i32_e64 s[2:3], s22, v8
	s_and_b64 s[8:9], s[2:3], vcc
	v_mov_b32_e32 v33, 0
	v_mov_b32_e32 v22, 0
	s_and_saveexec_b64 s[10:11], s[8:9]
	s_cbranch_execz .LBB149_2
; %bb.1:
	v_ashrrev_i32_e32 v3, 31, v2
	v_lshl_add_u64 v[6:7], v[2:3], 2, s[6:7]
	global_load_dword v1, v[6:7], off
	s_waitcnt vmcnt(0)
	v_subrev_u32_e32 v22, s33, v1
.LBB149_2:
	s_or_b64 exec, exec, s[10:11]
	s_and_saveexec_b64 s[10:11], s[8:9]
	s_cbranch_execz .LBB149_4
; %bb.3:
	v_ashrrev_i32_e32 v3, 31, v2
	v_lshl_add_u64 v[2:3], v[2:3], 2, s[6:7]
	global_load_dword v1, v[2:3], off offset:4
	s_waitcnt vmcnt(0)
	v_subrev_u32_e32 v33, s33, v1
.LBB149_4:
	s_or_b64 exec, exec, s[10:11]
	s_load_dword s48, s[0:1], 0x38
	v_cmp_gt_i32_e32 vcc, s20, v4
	v_mov_b32_e32 v2, 0
	s_and_saveexec_b64 s[6:7], vcc
	s_cbranch_execz .LBB149_6
; %bb.5:
	s_load_dwordx2 s[8:9], s[0:1], 0x48
	v_ashrrev_i32_e32 v5, 31, v4
	s_waitcnt lgkmcnt(0)
	v_lshl_add_u64 v[2:3], v[4:5], 2, s[8:9]
	global_load_dword v1, v[2:3], off
	s_waitcnt vmcnt(0)
	v_subrev_u32_e32 v2, s48, v1
.LBB149_6:
	s_or_b64 exec, exec, s[6:7]
	s_cmp_lt_i32 s21, 1
	s_cbranch_scc1 .LBB149_35
; %bb.7:
	s_load_dwordx2 s[18:19], s[0:1], 0x20
	s_load_dwordx2 s[24:25], s[0:1], 0x50
	;; [unrolled: 1-line block ×4, first 2 shown]
	v_lshlrev_b32_e32 v1, 8, v32
	v_lshl_or_b32 v34, v8, 5, v1
	v_lshlrev_b32_e32 v4, 3, v8
	v_mul_lo_u32 v8, v8, s23
	v_and_b32_e32 v0, 3, v0
	v_mbcnt_lo_u32_b32 v1, -1, 0
	s_cmp_eq_u32 s4, 0
	v_mov_b32_e32 v5, 0
	v_ashrrev_i32_e32 v9, 31, v8
	v_mbcnt_hi_u32_b32 v1, -1, v1
	s_cselect_b64 vcc, -1, 0
	s_ashr_i32 s20, s23, 31
	s_waitcnt lgkmcnt(0)
	v_lshl_add_u64 v[6:7], s[6:7], 0, v[4:5]
	v_lshl_add_u64 v[8:9], v[8:9], 3, s[6:7]
	v_lshlrev_b32_e32 v4, 3, v0
	v_lshlrev_b32_e32 v3, 2, v1
	v_or_b32_e32 v10, v34, v0
	s_mul_hi_u32 s0, s23, s22
	s_mul_i32 s1, s20, s22
	s_mul_i32 s50, s23, s22
	v_lshl_add_u64 v[8:9], v[8:9], 0, v[4:5]
	v_mul_lo_u32 v4, v0, s22
	s_lshl_b32 s22, s22, 2
	v_or_b32_e32 v36, 12, v3
	v_or_b32_e32 v37, 0x7c, v3
	v_lshlrev_b32_e32 v38, 3, v10
	v_or_b32_e32 v3, 4, v0
	v_add_u32_e32 v10, s22, v4
	v_cmp_gt_u32_e64 s[4:5], s23, v3
	v_or_b32_e32 v3, 8, v0
	v_add_u32_e32 v12, s22, v10
	v_cmp_gt_u32_e64 s[6:7], s23, v3
	;; [unrolled: 3-line block ×6, first 2 shown]
	v_or_b32_e32 v3, 28, v0
	v_add_u32_e32 v24, s22, v20
	s_abs_i32 s22, s23
	v_cmp_gt_u32_e64 s[16:17], s23, v3
	v_cvt_f32_u32_e32 v3, s22
	s_add_i32 s49, s0, s1
	v_cmp_gt_u32_e64 s[0:1], s23, v0
	s_and_b64 s[28:29], s[0:1], s[2:3]
	v_rcp_iflag_f32_e32 v3, v3
	s_sub_i32 s0, 0, s22
	s_mov_b32 s34, 0
	s_mov_b32 s35, s34
	v_mul_f32_e32 v3, 0x4f7ffffe, v3
	v_cvt_u32_f32_e32 v3, v3
	v_mov_b32_e32 v35, 0
	v_mov_b32_e32 v1, v5
	;; [unrolled: 1-line block ×3, first 2 shown]
	v_mul_lo_u32 v23, s0, v3
	v_mul_hi_u32 v23, v3, v23
	v_mov_b32_e32 v13, v5
	v_mov_b32_e32 v15, v5
	;; [unrolled: 1-line block ×6, first 2 shown]
	s_and_b64 s[4:5], s[2:3], s[4:5]
	s_and_b64 s[6:7], s[2:3], s[6:7]
	;; [unrolled: 1-line block ×7, first 2 shown]
	v_add_u32_e32 v39, v3, v23
	s_mov_b64 s[30:31], 0
	v_mov_b64_e32 v[26:27], s[34:35]
	s_mov_b64 s[34:35], 0x60
	s_mov_b64 s[36:37], 0x80
	;; [unrolled: 1-line block ×5, first 2 shown]
	v_mov_b32_e32 v40, 1
	v_mov_b32_e32 v3, 0
	s_branch .LBB149_10
.LBB149_8:                              ;   in Loop: Header=BB149_10 Depth=1
	s_or_b64 exec, exec, s[0:1]
	v_mov_b32_e32 v23, 1
.LBB149_9:                              ;   in Loop: Header=BB149_10 Depth=1
	s_or_b64 exec, exec, s[2:3]
	v_mov_b32_dpp v3, v41 row_shr:1 row_mask:0xf bank_mask:0xf
	v_min_i32_e32 v3, v3, v41
	v_add_u32_e32 v2, v23, v2
	s_waitcnt lgkmcnt(0)
	v_mov_b32_dpp v28, v3 row_shr:2 row_mask:0xf bank_mask:0xf
	v_min_i32_e32 v3, v28, v3
	s_nop 1
	v_mov_b32_dpp v28, v3 row_shr:4 row_mask:0xf bank_mask:0xe
	v_min_i32_e32 v3, v28, v3
	s_nop 1
	v_mov_b32_dpp v28, v3 row_shr:8 row_mask:0xf bank_mask:0xc
	v_min_i32_e32 v3, v28, v3
	s_nop 1
	v_mov_b32_dpp v28, v3 row_bcast:15 row_mask:0xa bank_mask:0xf
	v_min_i32_e32 v3, v28, v3
	ds_bpermute_b32 v3, v37, v3
	s_waitcnt lgkmcnt(0)
	v_cmp_le_i32_e64 s[0:1], s21, v3
	s_or_b64 s[30:31], s[0:1], s[30:31]
	s_andn2_b64 exec, exec, s[30:31]
	s_cbranch_execz .LBB149_35
.LBB149_10:                             ; =>This Loop Header: Depth=1
                                        ;     Child Loop BB149_13 Depth 2
	v_add_u32_e32 v30, v22, v0
	v_cmp_lt_i32_e64 s[0:1], v30, v33
	v_mov_b32_e32 v41, s21
	v_mov_b32_e32 v42, v33
	ds_write_b8 v32, v35 offset:16384
	ds_write2_b64 v38, v[26:27], v[26:27] offset1:4
	ds_write2_b64 v38, v[26:27], v[26:27] offset0:8 offset1:12
	ds_write2_b64 v38, v[26:27], v[26:27] offset0:16 offset1:20
	;; [unrolled: 1-line block ×3, first 2 shown]
	s_waitcnt lgkmcnt(0)
	s_and_saveexec_b64 s[44:45], s[0:1]
	s_cbranch_execz .LBB149_18
; %bb.11:                               ;   in Loop: Header=BB149_10 Depth=1
	v_ashrrev_i32_e32 v23, 31, v22
	v_lshl_add_u64 v[28:29], v[0:1], 0, v[22:23]
	v_mul_lo_u32 v31, v3, s23
	v_lshl_add_u64 v[22:23], v[28:29], 2, s[26:27]
	v_lshl_add_u64 v[28:29], v[28:29], 3, s[18:19]
	s_mov_b64 s[46:47], 0
	v_mov_b32_e32 v41, s21
	v_mov_b32_e32 v42, v33
	s_branch .LBB149_13
.LBB149_12:                             ;   in Loop: Header=BB149_13 Depth=2
	s_or_b64 exec, exec, s[2:3]
	v_add_u32_e32 v30, 4, v30
	v_cmp_ge_i32_e64 s[2:3], v30, v33
	s_xor_b64 s[0:1], s[0:1], -1
	s_or_b64 s[0:1], s[0:1], s[2:3]
	s_and_b64 s[0:1], exec, s[0:1]
	v_lshl_add_u64 v[22:23], v[22:23], 0, 16
	s_or_b64 s[46:47], s[0:1], s[46:47]
	v_lshl_add_u64 v[28:29], v[28:29], 0, 32
	s_andn2_b64 exec, exec, s[46:47]
	s_cbranch_execz .LBB149_17
.LBB149_13:                             ;   Parent Loop BB149_10 Depth=1
                                        ; =>  This Inner Loop Header: Depth=2
	global_load_dword v43, v[22:23], off
	s_waitcnt vmcnt(0)
	v_subrev_u32_e32 v43, s33, v43
	v_sub_u32_e32 v45, 0, v43
	v_max_i32_e32 v45, v43, v45
	v_mul_hi_u32 v46, v45, v39
	v_mul_lo_u32 v47, v46, s22
	v_sub_u32_e32 v45, v45, v47
	v_add_u32_e32 v48, 1, v46
	v_cmp_le_u32_e64 s[0:1], s22, v45
	v_subrev_u32_e32 v47, s22, v45
	v_ashrrev_i32_e32 v44, 31, v43
	v_cndmask_b32_e64 v46, v46, v48, s[0:1]
	v_cndmask_b32_e64 v45, v45, v47, s[0:1]
	v_add_u32_e32 v47, 1, v46
	v_cmp_le_u32_e64 s[0:1], s22, v45
	v_xor_b32_e32 v44, s20, v44
	s_nop 0
	v_cndmask_b32_e64 v45, v46, v47, s[0:1]
	v_xor_b32_e32 v45, v45, v44
	v_sub_u32_e32 v45, v45, v44
	v_cmp_eq_u32_e64 s[0:1], v45, v3
	v_cmp_ne_u32_e64 s[2:3], v45, v3
	v_mov_b32_e32 v44, v42
	s_and_saveexec_b64 s[52:53], s[2:3]
	s_xor_b64 s[2:3], exec, s[52:53]
; %bb.14:                               ;   in Loop: Header=BB149_13 Depth=2
	v_min_i32_e32 v41, v45, v41
                                        ; implicit-def: $vgpr43
                                        ; implicit-def: $vgpr44
; %bb.15:                               ;   in Loop: Header=BB149_13 Depth=2
	s_or_saveexec_b64 s[2:3], s[2:3]
	v_mov_b32_e32 v42, v30
	s_xor_b64 exec, exec, s[2:3]
	s_cbranch_execz .LBB149_12
; %bb.16:                               ;   in Loop: Header=BB149_13 Depth=2
	global_load_dwordx2 v[46:47], v[28:29], off
	v_sub_u32_e32 v42, v43, v31
	v_add_lshl_u32 v42, v34, v42, 3
	ds_write_b8 v32, v40 offset:16384
	s_waitcnt vmcnt(0)
	ds_write_b64 v42, v[46:47]
	v_mov_b32_e32 v42, v44
	s_branch .LBB149_12
.LBB149_17:                             ;   in Loop: Header=BB149_10 Depth=1
	s_or_b64 exec, exec, s[46:47]
.LBB149_18:                             ;   in Loop: Header=BB149_10 Depth=1
	s_or_b64 exec, exec, s[44:45]
	v_mov_b32_dpp v22, v42 row_shr:1 row_mask:0xf bank_mask:0xf
	v_min_i32_e32 v22, v22, v42
	s_waitcnt lgkmcnt(0)
	ds_read_u8 v23, v32 offset:16384
	v_mov_b32_dpp v28, v22 row_shr:2 row_mask:0xf bank_mask:0xf
	v_min_i32_e32 v22, v28, v22
	ds_bpermute_b32 v22, v36, v22
	s_waitcnt lgkmcnt(1)
	v_and_b32_e32 v23, 1, v23
	v_cmp_eq_u32_e64 s[0:1], 1, v23
	v_mov_b32_e32 v23, 0
	s_and_saveexec_b64 s[2:3], s[0:1]
	s_cbranch_execz .LBB149_9
; %bb.19:                               ;   in Loop: Header=BB149_10 Depth=1
	v_add_u32_e32 v23, s48, v3
	v_ashrrev_i32_e32 v3, 31, v2
	v_lshl_add_u64 v[28:29], v[2:3], 2, s[24:25]
	global_store_dword v[28:29], v23, off
	v_mul_lo_u32 v23, s49, v2
	v_mul_lo_u32 v3, s50, v3
	v_mad_u64_u32 v[28:29], s[0:1], s50, v2, 0
	v_add3_u32 v29, v29, v3, v23
	v_lshlrev_b64 v[30:31], 3, v[28:29]
	v_lshl_add_u64 v[28:29], v[6:7], 0, v[30:31]
	v_lshl_add_u64 v[30:31], v[8:9], 0, v[30:31]
	s_and_saveexec_b64 s[0:1], s[28:29]
	s_cbranch_execnz .LBB149_27
; %bb.20:                               ;   in Loop: Header=BB149_10 Depth=1
	s_or_b64 exec, exec, s[0:1]
	s_and_saveexec_b64 s[0:1], s[4:5]
	s_cbranch_execnz .LBB149_28
.LBB149_21:                             ;   in Loop: Header=BB149_10 Depth=1
	s_or_b64 exec, exec, s[0:1]
	s_and_saveexec_b64 s[0:1], s[6:7]
	s_cbranch_execnz .LBB149_29
.LBB149_22:                             ;   in Loop: Header=BB149_10 Depth=1
	s_or_b64 exec, exec, s[0:1]
	s_and_saveexec_b64 s[0:1], s[8:9]
	s_cbranch_execnz .LBB149_30
.LBB149_23:                             ;   in Loop: Header=BB149_10 Depth=1
	s_or_b64 exec, exec, s[0:1]
	s_and_saveexec_b64 s[0:1], s[10:11]
	s_cbranch_execnz .LBB149_31
.LBB149_24:                             ;   in Loop: Header=BB149_10 Depth=1
	s_or_b64 exec, exec, s[0:1]
	s_and_saveexec_b64 s[0:1], s[12:13]
	s_cbranch_execnz .LBB149_32
.LBB149_25:                             ;   in Loop: Header=BB149_10 Depth=1
	s_or_b64 exec, exec, s[0:1]
	s_and_saveexec_b64 s[0:1], s[14:15]
	s_cbranch_execnz .LBB149_33
.LBB149_26:                             ;   in Loop: Header=BB149_10 Depth=1
	s_or_b64 exec, exec, s[0:1]
	s_and_saveexec_b64 s[0:1], s[16:17]
	s_cbranch_execz .LBB149_8
	s_branch .LBB149_34
.LBB149_27:                             ;   in Loop: Header=BB149_10 Depth=1
	ds_read_b64 v[42:43], v38
	v_lshl_add_u64 v[44:45], v[4:5], 3, v[28:29]
	v_cndmask_b32_e32 v45, v45, v31, vcc
	v_cndmask_b32_e32 v44, v44, v30, vcc
	s_waitcnt lgkmcnt(0)
	global_store_dwordx2 v[44:45], v[42:43], off
	s_or_b64 exec, exec, s[0:1]
	s_and_saveexec_b64 s[0:1], s[4:5]
	s_cbranch_execz .LBB149_21
.LBB149_28:                             ;   in Loop: Header=BB149_10 Depth=1
	ds_read_b64 v[42:43], v38 offset:32
	v_lshl_add_u64 v[44:45], v[30:31], 0, 32
	v_lshl_add_u64 v[46:47], v[10:11], 3, v[28:29]
	v_cndmask_b32_e32 v45, v47, v45, vcc
	v_cndmask_b32_e32 v44, v46, v44, vcc
	s_waitcnt lgkmcnt(0)
	global_store_dwordx2 v[44:45], v[42:43], off
	s_or_b64 exec, exec, s[0:1]
	s_and_saveexec_b64 s[0:1], s[6:7]
	s_cbranch_execz .LBB149_22
.LBB149_29:                             ;   in Loop: Header=BB149_10 Depth=1
	ds_read_b64 v[42:43], v38 offset:64
	v_lshl_add_u64 v[44:45], v[30:31], 0, 64
	v_lshl_add_u64 v[46:47], v[12:13], 3, v[28:29]
	v_cndmask_b32_e32 v45, v47, v45, vcc
	v_cndmask_b32_e32 v44, v46, v44, vcc
	s_waitcnt lgkmcnt(0)
	global_store_dwordx2 v[44:45], v[42:43], off
	s_or_b64 exec, exec, s[0:1]
	s_and_saveexec_b64 s[0:1], s[8:9]
	s_cbranch_execz .LBB149_23
.LBB149_30:                             ;   in Loop: Header=BB149_10 Depth=1
	ds_read_b64 v[42:43], v38 offset:96
	v_lshl_add_u64 v[44:45], v[30:31], 0, s[34:35]
	v_lshl_add_u64 v[46:47], v[14:15], 3, v[28:29]
	v_cndmask_b32_e32 v45, v47, v45, vcc
	v_cndmask_b32_e32 v44, v46, v44, vcc
	s_waitcnt lgkmcnt(0)
	global_store_dwordx2 v[44:45], v[42:43], off
	s_or_b64 exec, exec, s[0:1]
	s_and_saveexec_b64 s[0:1], s[10:11]
	s_cbranch_execz .LBB149_24
.LBB149_31:                             ;   in Loop: Header=BB149_10 Depth=1
	ds_read_b64 v[42:43], v38 offset:128
	v_lshl_add_u64 v[44:45], v[30:31], 0, s[36:37]
	v_lshl_add_u64 v[46:47], v[16:17], 3, v[28:29]
	v_cndmask_b32_e32 v45, v47, v45, vcc
	v_cndmask_b32_e32 v44, v46, v44, vcc
	s_waitcnt lgkmcnt(0)
	global_store_dwordx2 v[44:45], v[42:43], off
	s_or_b64 exec, exec, s[0:1]
	s_and_saveexec_b64 s[0:1], s[12:13]
	s_cbranch_execz .LBB149_25
.LBB149_32:                             ;   in Loop: Header=BB149_10 Depth=1
	ds_read_b64 v[42:43], v38 offset:160
	v_lshl_add_u64 v[44:45], v[30:31], 0, s[38:39]
	v_lshl_add_u64 v[46:47], v[18:19], 3, v[28:29]
	v_cndmask_b32_e32 v45, v47, v45, vcc
	v_cndmask_b32_e32 v44, v46, v44, vcc
	s_waitcnt lgkmcnt(0)
	global_store_dwordx2 v[44:45], v[42:43], off
	s_or_b64 exec, exec, s[0:1]
	s_and_saveexec_b64 s[0:1], s[14:15]
	s_cbranch_execz .LBB149_26
.LBB149_33:                             ;   in Loop: Header=BB149_10 Depth=1
	ds_read_b64 v[42:43], v38 offset:192
	v_lshl_add_u64 v[44:45], v[30:31], 0, s[40:41]
	v_lshl_add_u64 v[46:47], v[20:21], 3, v[28:29]
	v_cndmask_b32_e32 v45, v47, v45, vcc
	v_cndmask_b32_e32 v44, v46, v44, vcc
	s_waitcnt lgkmcnt(0)
	global_store_dwordx2 v[44:45], v[42:43], off
	s_or_b64 exec, exec, s[0:1]
	s_and_saveexec_b64 s[0:1], s[16:17]
	s_cbranch_execz .LBB149_8
.LBB149_34:                             ;   in Loop: Header=BB149_10 Depth=1
	ds_read_b64 v[42:43], v38 offset:224
	v_lshl_add_u64 v[30:31], v[30:31], 0, s[42:43]
	v_lshl_add_u64 v[28:29], v[24:25], 3, v[28:29]
	v_cndmask_b32_e32 v29, v29, v31, vcc
	v_cndmask_b32_e32 v28, v28, v30, vcc
	s_waitcnt lgkmcnt(0)
	global_store_dwordx2 v[28:29], v[42:43], off
	s_branch .LBB149_8
.LBB149_35:
	s_endpgm
	.section	.rodata,"a",@progbits
	.p2align	6, 0x0
	.amdhsa_kernel _ZN9rocsparseL44csr2gebsr_wavefront_per_row_multipass_kernelILi256ELi8ELi32ELi32E21rocsparse_complex_numIfEEEv20rocsparse_direction_iiiiii21rocsparse_index_base_PKT3_PKiS9_S4_PS5_PiSB_
		.amdhsa_group_segment_fixed_size 16392
		.amdhsa_private_segment_fixed_size 0
		.amdhsa_kernarg_size 88
		.amdhsa_user_sgpr_count 2
		.amdhsa_user_sgpr_dispatch_ptr 0
		.amdhsa_user_sgpr_queue_ptr 0
		.amdhsa_user_sgpr_kernarg_segment_ptr 1
		.amdhsa_user_sgpr_dispatch_id 0
		.amdhsa_user_sgpr_kernarg_preload_length 0
		.amdhsa_user_sgpr_kernarg_preload_offset 0
		.amdhsa_user_sgpr_private_segment_size 0
		.amdhsa_uses_dynamic_stack 0
		.amdhsa_enable_private_segment 0
		.amdhsa_system_sgpr_workgroup_id_x 1
		.amdhsa_system_sgpr_workgroup_id_y 0
		.amdhsa_system_sgpr_workgroup_id_z 0
		.amdhsa_system_sgpr_workgroup_info 0
		.amdhsa_system_vgpr_workitem_id 0
		.amdhsa_next_free_vgpr 49
		.amdhsa_next_free_sgpr 54
		.amdhsa_accum_offset 52
		.amdhsa_reserve_vcc 1
		.amdhsa_float_round_mode_32 0
		.amdhsa_float_round_mode_16_64 0
		.amdhsa_float_denorm_mode_32 3
		.amdhsa_float_denorm_mode_16_64 3
		.amdhsa_dx10_clamp 1
		.amdhsa_ieee_mode 1
		.amdhsa_fp16_overflow 0
		.amdhsa_tg_split 0
		.amdhsa_exception_fp_ieee_invalid_op 0
		.amdhsa_exception_fp_denorm_src 0
		.amdhsa_exception_fp_ieee_div_zero 0
		.amdhsa_exception_fp_ieee_overflow 0
		.amdhsa_exception_fp_ieee_underflow 0
		.amdhsa_exception_fp_ieee_inexact 0
		.amdhsa_exception_int_div_zero 0
	.end_amdhsa_kernel
	.section	.text._ZN9rocsparseL44csr2gebsr_wavefront_per_row_multipass_kernelILi256ELi8ELi32ELi32E21rocsparse_complex_numIfEEEv20rocsparse_direction_iiiiii21rocsparse_index_base_PKT3_PKiS9_S4_PS5_PiSB_,"axG",@progbits,_ZN9rocsparseL44csr2gebsr_wavefront_per_row_multipass_kernelILi256ELi8ELi32ELi32E21rocsparse_complex_numIfEEEv20rocsparse_direction_iiiiii21rocsparse_index_base_PKT3_PKiS9_S4_PS5_PiSB_,comdat
.Lfunc_end149:
	.size	_ZN9rocsparseL44csr2gebsr_wavefront_per_row_multipass_kernelILi256ELi8ELi32ELi32E21rocsparse_complex_numIfEEEv20rocsparse_direction_iiiiii21rocsparse_index_base_PKT3_PKiS9_S4_PS5_PiSB_, .Lfunc_end149-_ZN9rocsparseL44csr2gebsr_wavefront_per_row_multipass_kernelILi256ELi8ELi32ELi32E21rocsparse_complex_numIfEEEv20rocsparse_direction_iiiiii21rocsparse_index_base_PKT3_PKiS9_S4_PS5_PiSB_
                                        ; -- End function
	.section	.AMDGPU.csdata,"",@progbits
; Kernel info:
; codeLenInByte = 1936
; NumSgprs: 60
; NumVgprs: 49
; NumAgprs: 0
; TotalNumVgprs: 49
; ScratchSize: 0
; MemoryBound: 0
; FloatMode: 240
; IeeeMode: 1
; LDSByteSize: 16392 bytes/workgroup (compile time only)
; SGPRBlocks: 7
; VGPRBlocks: 6
; NumSGPRsForWavesPerEU: 60
; NumVGPRsForWavesPerEU: 49
; AccumOffset: 52
; Occupancy: 3
; WaveLimiterHint : 0
; COMPUTE_PGM_RSRC2:SCRATCH_EN: 0
; COMPUTE_PGM_RSRC2:USER_SGPR: 2
; COMPUTE_PGM_RSRC2:TRAP_HANDLER: 0
; COMPUTE_PGM_RSRC2:TGID_X_EN: 1
; COMPUTE_PGM_RSRC2:TGID_Y_EN: 0
; COMPUTE_PGM_RSRC2:TGID_Z_EN: 0
; COMPUTE_PGM_RSRC2:TIDIG_COMP_CNT: 0
; COMPUTE_PGM_RSRC3_GFX90A:ACCUM_OFFSET: 12
; COMPUTE_PGM_RSRC3_GFX90A:TG_SPLIT: 0
	.section	.text._ZN9rocsparseL44csr2gebsr_wavefront_per_row_multipass_kernelILi256ELi8ELi64ELi64E21rocsparse_complex_numIfEEEv20rocsparse_direction_iiiiii21rocsparse_index_base_PKT3_PKiS9_S4_PS5_PiSB_,"axG",@progbits,_ZN9rocsparseL44csr2gebsr_wavefront_per_row_multipass_kernelILi256ELi8ELi64ELi64E21rocsparse_complex_numIfEEEv20rocsparse_direction_iiiiii21rocsparse_index_base_PKT3_PKiS9_S4_PS5_PiSB_,comdat
	.globl	_ZN9rocsparseL44csr2gebsr_wavefront_per_row_multipass_kernelILi256ELi8ELi64ELi64E21rocsparse_complex_numIfEEEv20rocsparse_direction_iiiiii21rocsparse_index_base_PKT3_PKiS9_S4_PS5_PiSB_ ; -- Begin function _ZN9rocsparseL44csr2gebsr_wavefront_per_row_multipass_kernelILi256ELi8ELi64ELi64E21rocsparse_complex_numIfEEEv20rocsparse_direction_iiiiii21rocsparse_index_base_PKT3_PKiS9_S4_PS5_PiSB_
	.p2align	8
	.type	_ZN9rocsparseL44csr2gebsr_wavefront_per_row_multipass_kernelILi256ELi8ELi64ELi64E21rocsparse_complex_numIfEEEv20rocsparse_direction_iiiiii21rocsparse_index_base_PKT3_PKiS9_S4_PS5_PiSB_,@function
_ZN9rocsparseL44csr2gebsr_wavefront_per_row_multipass_kernelILi256ELi8ELi64ELi64E21rocsparse_complex_numIfEEEv20rocsparse_direction_iiiiii21rocsparse_index_base_PKT3_PKiS9_S4_PS5_PiSB_: ; @_ZN9rocsparseL44csr2gebsr_wavefront_per_row_multipass_kernelILi256ELi8ELi64ELi64E21rocsparse_complex_numIfEEEv20rocsparse_direction_iiiiii21rocsparse_index_base_PKT3_PKiS9_S4_PS5_PiSB_
; %bb.0:
	s_load_dwordx2 s[4:5], s[0:1], 0x0
	s_load_dwordx4 s[20:23], s[0:1], 0xc
	s_load_dword s33, s[0:1], 0x1c
	s_load_dwordx2 s[6:7], s[0:1], 0x28
	v_lshrrev_b32_e32 v32, 6, v0
	v_bfe_u32 v8, v0, 3, 3
	v_lshl_or_b32 v4, s2, 2, v32
	s_waitcnt lgkmcnt(0)
	v_mad_u64_u32 v[2:3], s[2:3], v4, s22, v[8:9]
	v_cmp_gt_i32_e32 vcc, s5, v2
	v_cmp_gt_i32_e64 s[2:3], s22, v8
	s_and_b64 s[8:9], s[2:3], vcc
	v_mov_b32_e32 v33, 0
	v_mov_b32_e32 v24, 0
	s_and_saveexec_b64 s[10:11], s[8:9]
	s_cbranch_execz .LBB150_2
; %bb.1:
	v_ashrrev_i32_e32 v3, 31, v2
	v_lshl_add_u64 v[6:7], v[2:3], 2, s[6:7]
	global_load_dword v1, v[6:7], off
	s_waitcnt vmcnt(0)
	v_subrev_u32_e32 v24, s33, v1
.LBB150_2:
	s_or_b64 exec, exec, s[10:11]
	s_and_saveexec_b64 s[10:11], s[8:9]
	s_cbranch_execz .LBB150_4
; %bb.3:
	v_ashrrev_i32_e32 v3, 31, v2
	v_lshl_add_u64 v[2:3], v[2:3], 2, s[6:7]
	global_load_dword v1, v[2:3], off offset:4
	s_waitcnt vmcnt(0)
	v_subrev_u32_e32 v33, s33, v1
.LBB150_4:
	s_or_b64 exec, exec, s[10:11]
	s_load_dword s50, s[0:1], 0x38
	v_cmp_gt_i32_e32 vcc, s20, v4
	v_mov_b32_e32 v2, 0
	s_and_saveexec_b64 s[6:7], vcc
	s_cbranch_execz .LBB150_6
; %bb.5:
	s_load_dwordx2 s[8:9], s[0:1], 0x48
	v_ashrrev_i32_e32 v5, 31, v4
	s_waitcnt lgkmcnt(0)
	v_lshl_add_u64 v[2:3], v[4:5], 2, s[8:9]
	global_load_dword v1, v[2:3], off
	s_waitcnt vmcnt(0)
	v_subrev_u32_e32 v2, s50, v1
.LBB150_6:
	s_or_b64 exec, exec, s[6:7]
	s_cmp_lt_i32 s21, 1
	s_cbranch_scc1 .LBB150_35
; %bb.7:
	s_load_dwordx2 s[18:19], s[0:1], 0x20
	s_load_dwordx2 s[24:25], s[0:1], 0x50
	;; [unrolled: 1-line block ×4, first 2 shown]
	v_lshlrev_b32_e32 v1, 9, v32
	v_lshl_or_b32 v34, v8, 6, v1
	v_lshlrev_b32_e32 v4, 3, v8
	v_mul_lo_u32 v8, v8, s23
	v_and_b32_e32 v0, 7, v0
	v_mbcnt_lo_u32_b32 v1, -1, 0
	s_cmp_eq_u32 s4, 0
	v_mov_b32_e32 v5, 0
	v_ashrrev_i32_e32 v9, 31, v8
	v_mbcnt_hi_u32_b32 v1, -1, v1
	s_cselect_b64 vcc, -1, 0
	s_ashr_i32 s20, s23, 31
	s_waitcnt lgkmcnt(0)
	v_lshl_add_u64 v[6:7], s[6:7], 0, v[4:5]
	v_lshl_add_u64 v[8:9], v[8:9], 3, s[6:7]
	v_lshlrev_b32_e32 v4, 3, v0
	v_lshlrev_b32_e32 v3, 2, v1
	v_or_b32_e32 v10, v34, v0
	s_mul_hi_u32 s0, s23, s22
	s_mul_i32 s1, s20, s22
	s_mul_i32 s52, s23, s22
	v_lshl_add_u64 v[8:9], v[8:9], 0, v[4:5]
	v_mul_lo_u32 v4, v0, s22
	s_lshl_b32 s22, s22, 3
	v_or_b32_e32 v36, 28, v3
	v_or_b32_e32 v37, 0xfc, v3
	v_lshlrev_b32_e32 v38, 3, v10
	v_or_b32_e32 v3, 8, v0
	v_add_u32_e32 v10, s22, v4
	v_cmp_gt_u32_e64 s[4:5], s23, v3
	v_or_b32_e32 v3, 16, v0
	v_add_u32_e32 v12, s22, v10
	v_cmp_gt_u32_e64 s[6:7], s23, v3
	;; [unrolled: 3-line block ×6, first 2 shown]
	v_or_b32_e32 v3, 56, v0
	v_add_u32_e32 v22, s22, v20
	s_abs_i32 s22, s23
	v_cmp_gt_u32_e64 s[16:17], s23, v3
	v_cvt_f32_u32_e32 v3, s22
	s_add_i32 s51, s0, s1
	v_cmp_gt_u32_e64 s[0:1], s23, v0
	s_and_b64 s[28:29], s[0:1], s[2:3]
	v_rcp_iflag_f32_e32 v3, v3
	s_sub_i32 s0, 0, s22
	s_mov_b32 s34, 0
	s_mov_b32 s35, s34
	v_mul_f32_e32 v3, 0x4f7ffffe, v3
	v_cvt_u32_f32_e32 v3, v3
	v_mov_b32_e32 v35, 0
	v_mov_b32_e32 v1, v5
	;; [unrolled: 1-line block ×3, first 2 shown]
	v_mul_lo_u32 v25, s0, v3
	v_mul_hi_u32 v25, v3, v25
	v_mov_b32_e32 v13, v5
	v_mov_b32_e32 v15, v5
	;; [unrolled: 1-line block ×6, first 2 shown]
	s_and_b64 s[4:5], s[2:3], s[4:5]
	s_and_b64 s[6:7], s[2:3], s[6:7]
	;; [unrolled: 1-line block ×7, first 2 shown]
	v_add_u32_e32 v39, v3, v25
	s_mov_b64 s[30:31], 0
	v_mov_b64_e32 v[26:27], s[34:35]
	s_mov_b64 s[34:35], 0x80
	s_mov_b64 s[36:37], 0xc0
	s_mov_b64 s[38:39], 0x100
	s_mov_b64 s[40:41], 0x140
	s_mov_b64 s[42:43], 0x180
	s_mov_b64 s[44:45], 0x1c0
	v_mov_b32_e32 v40, 1
	v_mov_b32_e32 v3, 0
	s_branch .LBB150_10
.LBB150_8:                              ;   in Loop: Header=BB150_10 Depth=1
	s_or_b64 exec, exec, s[0:1]
	v_mov_b32_e32 v25, 1
.LBB150_9:                              ;   in Loop: Header=BB150_10 Depth=1
	s_or_b64 exec, exec, s[2:3]
	v_mov_b32_dpp v3, v41 row_shr:1 row_mask:0xf bank_mask:0xf
	v_min_i32_e32 v3, v3, v41
	v_add_u32_e32 v2, v25, v2
	s_waitcnt lgkmcnt(0)
	v_mov_b32_dpp v28, v3 row_shr:2 row_mask:0xf bank_mask:0xf
	v_min_i32_e32 v3, v28, v3
	s_nop 1
	v_mov_b32_dpp v28, v3 row_shr:4 row_mask:0xf bank_mask:0xe
	v_min_i32_e32 v3, v28, v3
	s_nop 1
	;; [unrolled: 3-line block ×3, first 2 shown]
	v_mov_b32_dpp v28, v3 row_bcast:15 row_mask:0xa bank_mask:0xf
	v_min_i32_e32 v3, v28, v3
	s_nop 1
	v_mov_b32_dpp v28, v3 row_bcast:31 row_mask:0xc bank_mask:0xf
	v_min_i32_e32 v3, v28, v3
	ds_bpermute_b32 v3, v37, v3
	s_waitcnt lgkmcnt(0)
	v_cmp_le_i32_e64 s[0:1], s21, v3
	s_or_b64 s[30:31], s[0:1], s[30:31]
	s_andn2_b64 exec, exec, s[30:31]
	s_cbranch_execz .LBB150_35
.LBB150_10:                             ; =>This Loop Header: Depth=1
                                        ;     Child Loop BB150_13 Depth 2
	v_add_u32_e32 v30, v24, v0
	v_cmp_lt_i32_e64 s[0:1], v30, v33
	v_mov_b32_e32 v41, s21
	v_mov_b32_e32 v42, v33
	ds_write_b8 v32, v35 offset:16384
	ds_write2_b64 v38, v[26:27], v[26:27] offset1:8
	ds_write2_b64 v38, v[26:27], v[26:27] offset0:16 offset1:24
	ds_write2_b64 v38, v[26:27], v[26:27] offset0:32 offset1:40
	;; [unrolled: 1-line block ×3, first 2 shown]
	s_waitcnt lgkmcnt(0)
	s_and_saveexec_b64 s[46:47], s[0:1]
	s_cbranch_execz .LBB150_18
; %bb.11:                               ;   in Loop: Header=BB150_10 Depth=1
	v_ashrrev_i32_e32 v25, 31, v24
	v_lshl_add_u64 v[28:29], v[0:1], 0, v[24:25]
	v_mul_lo_u32 v31, v3, s23
	v_lshl_add_u64 v[24:25], v[28:29], 2, s[26:27]
	v_lshl_add_u64 v[28:29], v[28:29], 3, s[18:19]
	s_mov_b64 s[48:49], 0
	v_mov_b32_e32 v41, s21
	v_mov_b32_e32 v42, v33
	s_branch .LBB150_13
.LBB150_12:                             ;   in Loop: Header=BB150_13 Depth=2
	s_or_b64 exec, exec, s[2:3]
	v_add_u32_e32 v30, 8, v30
	v_cmp_ge_i32_e64 s[2:3], v30, v33
	s_xor_b64 s[0:1], s[0:1], -1
	s_or_b64 s[0:1], s[0:1], s[2:3]
	s_and_b64 s[0:1], exec, s[0:1]
	v_lshl_add_u64 v[24:25], v[24:25], 0, 32
	s_or_b64 s[48:49], s[0:1], s[48:49]
	v_lshl_add_u64 v[28:29], v[28:29], 0, 64
	s_andn2_b64 exec, exec, s[48:49]
	s_cbranch_execz .LBB150_17
.LBB150_13:                             ;   Parent Loop BB150_10 Depth=1
                                        ; =>  This Inner Loop Header: Depth=2
	global_load_dword v43, v[24:25], off
	s_waitcnt vmcnt(0)
	v_subrev_u32_e32 v43, s33, v43
	v_sub_u32_e32 v45, 0, v43
	v_max_i32_e32 v45, v43, v45
	v_mul_hi_u32 v46, v45, v39
	v_mul_lo_u32 v47, v46, s22
	v_sub_u32_e32 v45, v45, v47
	v_add_u32_e32 v48, 1, v46
	v_cmp_le_u32_e64 s[0:1], s22, v45
	v_subrev_u32_e32 v47, s22, v45
	v_ashrrev_i32_e32 v44, 31, v43
	v_cndmask_b32_e64 v46, v46, v48, s[0:1]
	v_cndmask_b32_e64 v45, v45, v47, s[0:1]
	v_add_u32_e32 v47, 1, v46
	v_cmp_le_u32_e64 s[0:1], s22, v45
	v_xor_b32_e32 v44, s20, v44
	s_nop 0
	v_cndmask_b32_e64 v45, v46, v47, s[0:1]
	v_xor_b32_e32 v45, v45, v44
	v_sub_u32_e32 v45, v45, v44
	v_cmp_eq_u32_e64 s[0:1], v45, v3
	v_cmp_ne_u32_e64 s[2:3], v45, v3
	v_mov_b32_e32 v44, v42
	s_and_saveexec_b64 s[54:55], s[2:3]
	s_xor_b64 s[2:3], exec, s[54:55]
; %bb.14:                               ;   in Loop: Header=BB150_13 Depth=2
	v_min_i32_e32 v41, v45, v41
                                        ; implicit-def: $vgpr43
                                        ; implicit-def: $vgpr44
; %bb.15:                               ;   in Loop: Header=BB150_13 Depth=2
	s_or_saveexec_b64 s[2:3], s[2:3]
	v_mov_b32_e32 v42, v30
	s_xor_b64 exec, exec, s[2:3]
	s_cbranch_execz .LBB150_12
; %bb.16:                               ;   in Loop: Header=BB150_13 Depth=2
	global_load_dwordx2 v[46:47], v[28:29], off
	v_sub_u32_e32 v42, v43, v31
	v_add_lshl_u32 v42, v34, v42, 3
	ds_write_b8 v32, v40 offset:16384
	s_waitcnt vmcnt(0)
	ds_write_b64 v42, v[46:47]
	v_mov_b32_e32 v42, v44
	s_branch .LBB150_12
.LBB150_17:                             ;   in Loop: Header=BB150_10 Depth=1
	s_or_b64 exec, exec, s[48:49]
.LBB150_18:                             ;   in Loop: Header=BB150_10 Depth=1
	s_or_b64 exec, exec, s[46:47]
	v_mov_b32_dpp v24, v42 row_shr:1 row_mask:0xf bank_mask:0xf
	v_min_i32_e32 v24, v24, v42
	s_waitcnt lgkmcnt(0)
	s_nop 0
	v_mov_b32_dpp v25, v24 row_shr:2 row_mask:0xf bank_mask:0xf
	v_min_i32_e32 v24, v25, v24
	ds_read_u8 v25, v32 offset:16384
	s_waitcnt lgkmcnt(0)
	v_and_b32_e32 v25, 1, v25
	v_mov_b32_dpp v28, v24 row_shr:4 row_mask:0xf bank_mask:0xe
	v_min_i32_e32 v24, v28, v24
	ds_bpermute_b32 v24, v36, v24
	v_cmp_eq_u32_e64 s[0:1], 1, v25
	v_mov_b32_e32 v25, 0
	s_and_saveexec_b64 s[2:3], s[0:1]
	s_cbranch_execz .LBB150_9
; %bb.19:                               ;   in Loop: Header=BB150_10 Depth=1
	v_add_u32_e32 v25, s50, v3
	v_ashrrev_i32_e32 v3, 31, v2
	v_lshl_add_u64 v[28:29], v[2:3], 2, s[24:25]
	global_store_dword v[28:29], v25, off
	v_mul_lo_u32 v25, s51, v2
	v_mul_lo_u32 v3, s52, v3
	v_mad_u64_u32 v[28:29], s[0:1], s52, v2, 0
	v_add3_u32 v29, v29, v3, v25
	v_lshlrev_b64 v[30:31], 3, v[28:29]
	v_lshl_add_u64 v[28:29], v[6:7], 0, v[30:31]
	v_lshl_add_u64 v[30:31], v[8:9], 0, v[30:31]
	s_and_saveexec_b64 s[0:1], s[28:29]
	s_cbranch_execnz .LBB150_27
; %bb.20:                               ;   in Loop: Header=BB150_10 Depth=1
	s_or_b64 exec, exec, s[0:1]
	s_and_saveexec_b64 s[0:1], s[4:5]
	s_cbranch_execnz .LBB150_28
.LBB150_21:                             ;   in Loop: Header=BB150_10 Depth=1
	s_or_b64 exec, exec, s[0:1]
	s_and_saveexec_b64 s[0:1], s[6:7]
	s_cbranch_execnz .LBB150_29
.LBB150_22:                             ;   in Loop: Header=BB150_10 Depth=1
	s_or_b64 exec, exec, s[0:1]
	s_and_saveexec_b64 s[0:1], s[8:9]
	s_cbranch_execnz .LBB150_30
.LBB150_23:                             ;   in Loop: Header=BB150_10 Depth=1
	s_or_b64 exec, exec, s[0:1]
	s_and_saveexec_b64 s[0:1], s[10:11]
	s_cbranch_execnz .LBB150_31
.LBB150_24:                             ;   in Loop: Header=BB150_10 Depth=1
	s_or_b64 exec, exec, s[0:1]
	s_and_saveexec_b64 s[0:1], s[12:13]
	s_cbranch_execnz .LBB150_32
.LBB150_25:                             ;   in Loop: Header=BB150_10 Depth=1
	s_or_b64 exec, exec, s[0:1]
	s_and_saveexec_b64 s[0:1], s[14:15]
	s_cbranch_execnz .LBB150_33
.LBB150_26:                             ;   in Loop: Header=BB150_10 Depth=1
	s_or_b64 exec, exec, s[0:1]
	s_and_saveexec_b64 s[0:1], s[16:17]
	s_cbranch_execz .LBB150_8
	s_branch .LBB150_34
.LBB150_27:                             ;   in Loop: Header=BB150_10 Depth=1
	ds_read_b64 v[42:43], v38
	v_lshl_add_u64 v[44:45], v[4:5], 3, v[28:29]
	v_cndmask_b32_e32 v45, v45, v31, vcc
	v_cndmask_b32_e32 v44, v44, v30, vcc
	s_waitcnt lgkmcnt(0)
	global_store_dwordx2 v[44:45], v[42:43], off
	s_or_b64 exec, exec, s[0:1]
	s_and_saveexec_b64 s[0:1], s[4:5]
	s_cbranch_execz .LBB150_21
.LBB150_28:                             ;   in Loop: Header=BB150_10 Depth=1
	ds_read_b64 v[42:43], v38 offset:64
	v_lshl_add_u64 v[44:45], v[30:31], 0, 64
	v_lshl_add_u64 v[46:47], v[10:11], 3, v[28:29]
	v_cndmask_b32_e32 v45, v47, v45, vcc
	v_cndmask_b32_e32 v44, v46, v44, vcc
	s_waitcnt lgkmcnt(0)
	global_store_dwordx2 v[44:45], v[42:43], off
	s_or_b64 exec, exec, s[0:1]
	s_and_saveexec_b64 s[0:1], s[6:7]
	s_cbranch_execz .LBB150_22
.LBB150_29:                             ;   in Loop: Header=BB150_10 Depth=1
	ds_read_b64 v[42:43], v38 offset:128
	v_lshl_add_u64 v[44:45], v[30:31], 0, s[34:35]
	v_lshl_add_u64 v[46:47], v[12:13], 3, v[28:29]
	v_cndmask_b32_e32 v45, v47, v45, vcc
	v_cndmask_b32_e32 v44, v46, v44, vcc
	s_waitcnt lgkmcnt(0)
	global_store_dwordx2 v[44:45], v[42:43], off
	s_or_b64 exec, exec, s[0:1]
	s_and_saveexec_b64 s[0:1], s[8:9]
	s_cbranch_execz .LBB150_23
.LBB150_30:                             ;   in Loop: Header=BB150_10 Depth=1
	ds_read_b64 v[42:43], v38 offset:192
	v_lshl_add_u64 v[44:45], v[30:31], 0, s[36:37]
	v_lshl_add_u64 v[46:47], v[14:15], 3, v[28:29]
	v_cndmask_b32_e32 v45, v47, v45, vcc
	v_cndmask_b32_e32 v44, v46, v44, vcc
	s_waitcnt lgkmcnt(0)
	global_store_dwordx2 v[44:45], v[42:43], off
	s_or_b64 exec, exec, s[0:1]
	s_and_saveexec_b64 s[0:1], s[10:11]
	s_cbranch_execz .LBB150_24
.LBB150_31:                             ;   in Loop: Header=BB150_10 Depth=1
	ds_read_b64 v[42:43], v38 offset:256
	v_lshl_add_u64 v[44:45], v[30:31], 0, s[38:39]
	v_lshl_add_u64 v[46:47], v[16:17], 3, v[28:29]
	v_cndmask_b32_e32 v45, v47, v45, vcc
	v_cndmask_b32_e32 v44, v46, v44, vcc
	s_waitcnt lgkmcnt(0)
	global_store_dwordx2 v[44:45], v[42:43], off
	s_or_b64 exec, exec, s[0:1]
	s_and_saveexec_b64 s[0:1], s[12:13]
	s_cbranch_execz .LBB150_25
.LBB150_32:                             ;   in Loop: Header=BB150_10 Depth=1
	ds_read_b64 v[42:43], v38 offset:320
	v_lshl_add_u64 v[44:45], v[30:31], 0, s[40:41]
	v_lshl_add_u64 v[46:47], v[18:19], 3, v[28:29]
	v_cndmask_b32_e32 v45, v47, v45, vcc
	v_cndmask_b32_e32 v44, v46, v44, vcc
	s_waitcnt lgkmcnt(0)
	global_store_dwordx2 v[44:45], v[42:43], off
	s_or_b64 exec, exec, s[0:1]
	s_and_saveexec_b64 s[0:1], s[14:15]
	s_cbranch_execz .LBB150_26
.LBB150_33:                             ;   in Loop: Header=BB150_10 Depth=1
	ds_read_b64 v[42:43], v38 offset:384
	v_lshl_add_u64 v[44:45], v[30:31], 0, s[42:43]
	v_lshl_add_u64 v[46:47], v[20:21], 3, v[28:29]
	v_cndmask_b32_e32 v45, v47, v45, vcc
	v_cndmask_b32_e32 v44, v46, v44, vcc
	s_waitcnt lgkmcnt(0)
	global_store_dwordx2 v[44:45], v[42:43], off
	s_or_b64 exec, exec, s[0:1]
	s_and_saveexec_b64 s[0:1], s[16:17]
	s_cbranch_execz .LBB150_8
.LBB150_34:                             ;   in Loop: Header=BB150_10 Depth=1
	ds_read_b64 v[42:43], v38 offset:448
	v_lshl_add_u64 v[30:31], v[30:31], 0, s[44:45]
	v_lshl_add_u64 v[28:29], v[22:23], 3, v[28:29]
	v_cndmask_b32_e32 v29, v29, v31, vcc
	v_cndmask_b32_e32 v28, v28, v30, vcc
	s_waitcnt lgkmcnt(0)
	global_store_dwordx2 v[28:29], v[42:43], off
	s_branch .LBB150_8
.LBB150_35:
	s_endpgm
	.section	.rodata,"a",@progbits
	.p2align	6, 0x0
	.amdhsa_kernel _ZN9rocsparseL44csr2gebsr_wavefront_per_row_multipass_kernelILi256ELi8ELi64ELi64E21rocsparse_complex_numIfEEEv20rocsparse_direction_iiiiii21rocsparse_index_base_PKT3_PKiS9_S4_PS5_PiSB_
		.amdhsa_group_segment_fixed_size 16388
		.amdhsa_private_segment_fixed_size 0
		.amdhsa_kernarg_size 88
		.amdhsa_user_sgpr_count 2
		.amdhsa_user_sgpr_dispatch_ptr 0
		.amdhsa_user_sgpr_queue_ptr 0
		.amdhsa_user_sgpr_kernarg_segment_ptr 1
		.amdhsa_user_sgpr_dispatch_id 0
		.amdhsa_user_sgpr_kernarg_preload_length 0
		.amdhsa_user_sgpr_kernarg_preload_offset 0
		.amdhsa_user_sgpr_private_segment_size 0
		.amdhsa_uses_dynamic_stack 0
		.amdhsa_enable_private_segment 0
		.amdhsa_system_sgpr_workgroup_id_x 1
		.amdhsa_system_sgpr_workgroup_id_y 0
		.amdhsa_system_sgpr_workgroup_id_z 0
		.amdhsa_system_sgpr_workgroup_info 0
		.amdhsa_system_vgpr_workitem_id 0
		.amdhsa_next_free_vgpr 49
		.amdhsa_next_free_sgpr 56
		.amdhsa_accum_offset 52
		.amdhsa_reserve_vcc 1
		.amdhsa_float_round_mode_32 0
		.amdhsa_float_round_mode_16_64 0
		.amdhsa_float_denorm_mode_32 3
		.amdhsa_float_denorm_mode_16_64 3
		.amdhsa_dx10_clamp 1
		.amdhsa_ieee_mode 1
		.amdhsa_fp16_overflow 0
		.amdhsa_tg_split 0
		.amdhsa_exception_fp_ieee_invalid_op 0
		.amdhsa_exception_fp_denorm_src 0
		.amdhsa_exception_fp_ieee_div_zero 0
		.amdhsa_exception_fp_ieee_overflow 0
		.amdhsa_exception_fp_ieee_underflow 0
		.amdhsa_exception_fp_ieee_inexact 0
		.amdhsa_exception_int_div_zero 0
	.end_amdhsa_kernel
	.section	.text._ZN9rocsparseL44csr2gebsr_wavefront_per_row_multipass_kernelILi256ELi8ELi64ELi64E21rocsparse_complex_numIfEEEv20rocsparse_direction_iiiiii21rocsparse_index_base_PKT3_PKiS9_S4_PS5_PiSB_,"axG",@progbits,_ZN9rocsparseL44csr2gebsr_wavefront_per_row_multipass_kernelILi256ELi8ELi64ELi64E21rocsparse_complex_numIfEEEv20rocsparse_direction_iiiiii21rocsparse_index_base_PKT3_PKiS9_S4_PS5_PiSB_,comdat
.Lfunc_end150:
	.size	_ZN9rocsparseL44csr2gebsr_wavefront_per_row_multipass_kernelILi256ELi8ELi64ELi64E21rocsparse_complex_numIfEEEv20rocsparse_direction_iiiiii21rocsparse_index_base_PKT3_PKiS9_S4_PS5_PiSB_, .Lfunc_end150-_ZN9rocsparseL44csr2gebsr_wavefront_per_row_multipass_kernelILi256ELi8ELi64ELi64E21rocsparse_complex_numIfEEEv20rocsparse_direction_iiiiii21rocsparse_index_base_PKT3_PKiS9_S4_PS5_PiSB_
                                        ; -- End function
	.section	.AMDGPU.csdata,"",@progbits
; Kernel info:
; codeLenInByte = 1976
; NumSgprs: 62
; NumVgprs: 49
; NumAgprs: 0
; TotalNumVgprs: 49
; ScratchSize: 0
; MemoryBound: 0
; FloatMode: 240
; IeeeMode: 1
; LDSByteSize: 16388 bytes/workgroup (compile time only)
; SGPRBlocks: 7
; VGPRBlocks: 6
; NumSGPRsForWavesPerEU: 62
; NumVGPRsForWavesPerEU: 49
; AccumOffset: 52
; Occupancy: 3
; WaveLimiterHint : 0
; COMPUTE_PGM_RSRC2:SCRATCH_EN: 0
; COMPUTE_PGM_RSRC2:USER_SGPR: 2
; COMPUTE_PGM_RSRC2:TRAP_HANDLER: 0
; COMPUTE_PGM_RSRC2:TGID_X_EN: 1
; COMPUTE_PGM_RSRC2:TGID_Y_EN: 0
; COMPUTE_PGM_RSRC2:TGID_Z_EN: 0
; COMPUTE_PGM_RSRC2:TIDIG_COMP_CNT: 0
; COMPUTE_PGM_RSRC3_GFX90A:ACCUM_OFFSET: 12
; COMPUTE_PGM_RSRC3_GFX90A:TG_SPLIT: 0
	.section	.text._ZN9rocsparseL44csr2gebsr_wavefront_per_row_multipass_kernelILi128ELi8ELi64ELi32E21rocsparse_complex_numIfEEEv20rocsparse_direction_iiiiii21rocsparse_index_base_PKT3_PKiS9_S4_PS5_PiSB_,"axG",@progbits,_ZN9rocsparseL44csr2gebsr_wavefront_per_row_multipass_kernelILi128ELi8ELi64ELi32E21rocsparse_complex_numIfEEEv20rocsparse_direction_iiiiii21rocsparse_index_base_PKT3_PKiS9_S4_PS5_PiSB_,comdat
	.globl	_ZN9rocsparseL44csr2gebsr_wavefront_per_row_multipass_kernelILi128ELi8ELi64ELi32E21rocsparse_complex_numIfEEEv20rocsparse_direction_iiiiii21rocsparse_index_base_PKT3_PKiS9_S4_PS5_PiSB_ ; -- Begin function _ZN9rocsparseL44csr2gebsr_wavefront_per_row_multipass_kernelILi128ELi8ELi64ELi32E21rocsparse_complex_numIfEEEv20rocsparse_direction_iiiiii21rocsparse_index_base_PKT3_PKiS9_S4_PS5_PiSB_
	.p2align	8
	.type	_ZN9rocsparseL44csr2gebsr_wavefront_per_row_multipass_kernelILi128ELi8ELi64ELi32E21rocsparse_complex_numIfEEEv20rocsparse_direction_iiiiii21rocsparse_index_base_PKT3_PKiS9_S4_PS5_PiSB_,@function
_ZN9rocsparseL44csr2gebsr_wavefront_per_row_multipass_kernelILi128ELi8ELi64ELi32E21rocsparse_complex_numIfEEEv20rocsparse_direction_iiiiii21rocsparse_index_base_PKT3_PKiS9_S4_PS5_PiSB_: ; @_ZN9rocsparseL44csr2gebsr_wavefront_per_row_multipass_kernelILi128ELi8ELi64ELi32E21rocsparse_complex_numIfEEEv20rocsparse_direction_iiiiii21rocsparse_index_base_PKT3_PKiS9_S4_PS5_PiSB_
; %bb.0:
	s_load_dwordx2 s[4:5], s[0:1], 0x0
	s_load_dwordx4 s[36:39], s[0:1], 0xc
	s_load_dword s33, s[0:1], 0x1c
	s_load_dwordx2 s[6:7], s[0:1], 0x28
	v_lshrrev_b32_e32 v46, 5, v0
	v_bfe_u32 v6, v0, 2, 3
	v_lshl_or_b32 v4, s2, 2, v46
	s_waitcnt lgkmcnt(0)
	v_mad_u64_u32 v[2:3], s[2:3], v4, s38, v[6:7]
	v_cmp_gt_i32_e32 vcc, s5, v2
	v_cmp_gt_i32_e64 s[2:3], s38, v6
	s_and_b64 s[8:9], s[2:3], vcc
	v_mov_b32_e32 v47, 0
	v_mov_b32_e32 v44, 0
	s_and_saveexec_b64 s[10:11], s[8:9]
	s_cbranch_execz .LBB151_2
; %bb.1:
	v_ashrrev_i32_e32 v3, 31, v2
	v_lshl_add_u64 v[8:9], v[2:3], 2, s[6:7]
	global_load_dword v1, v[8:9], off
	s_waitcnt vmcnt(0)
	v_subrev_u32_e32 v44, s33, v1
.LBB151_2:
	s_or_b64 exec, exec, s[10:11]
	s_and_saveexec_b64 s[10:11], s[8:9]
	s_cbranch_execz .LBB151_4
; %bb.3:
	v_ashrrev_i32_e32 v3, 31, v2
	v_lshl_add_u64 v[2:3], v[2:3], 2, s[6:7]
	global_load_dword v1, v[2:3], off offset:4
	s_waitcnt vmcnt(0)
	v_subrev_u32_e32 v47, s33, v1
.LBB151_4:
	s_or_b64 exec, exec, s[10:11]
	s_load_dword s80, s[0:1], 0x38
	v_cmp_gt_i32_e32 vcc, s36, v4
	v_mov_b32_e32 v2, 0
	s_and_saveexec_b64 s[6:7], vcc
	s_cbranch_execz .LBB151_6
; %bb.5:
	s_load_dwordx2 s[8:9], s[0:1], 0x48
	v_ashrrev_i32_e32 v5, 31, v4
	s_waitcnt lgkmcnt(0)
	v_lshl_add_u64 v[2:3], v[4:5], 2, s[8:9]
	global_load_dword v1, v[2:3], off
	s_waitcnt vmcnt(0)
	v_subrev_u32_e32 v2, s80, v1
.LBB151_6:
	s_or_b64 exec, exec, s[6:7]
	s_cmp_lt_i32 s37, 1
	s_cbranch_scc1 .LBB151_53
; %bb.7:
	v_and_b32_e32 v48, 3, v0
	v_lshlrev_b32_e32 v0, 9, v46
	s_load_dwordx2 s[40:41], s[0:1], 0x20
	s_load_dwordx2 s[42:43], s[0:1], 0x50
	s_load_dwordx2 s[6:7], s[0:1], 0x40
	s_load_dwordx2 s[44:45], s[0:1], 0x30
	v_lshl_or_b32 v49, v6, 6, v0
	v_mbcnt_lo_u32_b32 v0, -1, 0
	v_mbcnt_hi_u32_b32 v0, -1, v0
	v_lshlrev_b32_e32 v3, 2, v0
	v_lshlrev_b32_e32 v0, 3, v6
	v_mul_lo_u32 v6, v6, s39
	v_mov_b32_e32 v1, 0
	s_cmp_eq_u32 s4, 0
	v_ashrrev_i32_e32 v7, 31, v6
	s_cselect_b64 vcc, -1, 0
	s_ashr_i32 s36, s39, 31
	s_waitcnt lgkmcnt(0)
	v_lshl_add_u64 v[4:5], s[6:7], 0, v[0:1]
	v_lshl_add_u64 v[6:7], v[6:7], 3, s[6:7]
	v_lshlrev_b32_e32 v0, 3, v48
	v_or_b32_e32 v8, v49, v48
	s_mul_hi_u32 s0, s39, s38
	s_mul_i32 s1, s36, s38
	s_mul_i32 s82, s39, s38
	v_lshl_add_u64 v[6:7], v[6:7], 0, v[0:1]
	v_mul_lo_u32 v0, v48, s38
	s_lshl_b32 s38, s38, 2
	v_or_b32_e32 v50, 12, v3
	v_or_b32_e32 v51, 0x7c, v3
	v_lshlrev_b32_e32 v52, 3, v8
	v_or_b32_e32 v3, 4, v48
	v_add_u32_e32 v8, s38, v0
	v_cmp_gt_u32_e64 s[4:5], s39, v3
	v_or_b32_e32 v3, 8, v48
	v_add_u32_e32 v10, s38, v8
	v_cmp_gt_u32_e64 s[6:7], s39, v3
	;; [unrolled: 3-line block ×14, first 2 shown]
	v_or_b32_e32 v3, 60, v48
	v_add_u32_e32 v36, s38, v34
	s_abs_i32 s38, s39
	v_cmp_gt_u32_e64 s[34:35], s39, v3
	v_cvt_f32_u32_e32 v3, s38
	s_add_i32 s81, s0, s1
	v_cmp_gt_u32_e64 s[0:1], s39, v48
	s_and_b64 s[46:47], s[0:1], s[2:3]
	v_rcp_iflag_f32_e32 v3, v3
	s_sub_i32 s0, 0, s38
	v_mov_b32_e32 v9, v1
	v_mov_b32_e32 v11, v1
	v_mul_f32_e32 v3, 0x4f7ffffe, v3
	v_cvt_u32_f32_e32 v3, v3
	v_mov_b32_e32 v13, v1
	v_mov_b32_e32 v15, v1
	;; [unrolled: 1-line block ×3, first 2 shown]
	v_mul_lo_u32 v38, s0, v3
	v_mul_hi_u32 v38, v3, v38
	v_mov_b32_e32 v19, v1
	v_mov_b32_e32 v21, v1
	;; [unrolled: 1-line block ×10, first 2 shown]
	s_and_b64 s[4:5], s[2:3], s[4:5]
	s_and_b64 s[6:7], s[2:3], s[6:7]
	;; [unrolled: 1-line block ×15, first 2 shown]
	v_add_u32_e32 v53, v3, v38
	v_or_b32_e32 v54, -4, v48
	s_mov_b64 s[48:49], 0
	v_mov_b32_e32 v38, v1
	v_mov_b32_e32 v39, v1
	s_mov_b64 s[50:51], 0x60
	s_mov_b64 s[52:53], 0x80
	;; [unrolled: 1-line block ×13, first 2 shown]
	v_mov_b32_e32 v55, 1
	v_mov_b32_e32 v3, v1
	s_branch .LBB151_10
.LBB151_8:                              ;   in Loop: Header=BB151_10 Depth=1
	s_or_b64 exec, exec, s[0:1]
	v_mov_b32_e32 v40, 1
.LBB151_9:                              ;   in Loop: Header=BB151_10 Depth=1
	s_or_b64 exec, exec, s[2:3]
	v_mov_b32_dpp v3, v56 row_shr:1 row_mask:0xf bank_mask:0xf
	v_min_i32_e32 v3, v3, v56
	v_add_u32_e32 v2, v40, v2
	s_waitcnt lgkmcnt(0)
	v_mov_b32_dpp v41, v3 row_shr:2 row_mask:0xf bank_mask:0xf
	v_min_i32_e32 v3, v41, v3
	s_nop 1
	v_mov_b32_dpp v41, v3 row_shr:4 row_mask:0xf bank_mask:0xe
	v_min_i32_e32 v3, v41, v3
	s_nop 1
	;; [unrolled: 3-line block ×3, first 2 shown]
	v_mov_b32_dpp v41, v3 row_bcast:15 row_mask:0xa bank_mask:0xf
	v_min_i32_e32 v3, v41, v3
	ds_bpermute_b32 v3, v51, v3
	s_waitcnt lgkmcnt(0)
	v_cmp_le_i32_e64 s[0:1], s37, v3
	s_or_b64 s[48:49], s[0:1], s[48:49]
	s_andn2_b64 exec, exec, s[48:49]
	s_cbranch_execz .LBB151_53
.LBB151_10:                             ; =>This Loop Header: Depth=1
                                        ;     Child Loop BB151_11 Depth 2
                                        ;     Child Loop BB151_15 Depth 2
	s_mov_b64 s[2:3], 0
	v_mov_b32_e32 v40, v52
	v_mov_b32_e32 v41, v54
	ds_write_b8 v46, v1 offset:16384
.LBB151_11:                             ;   Parent Loop BB151_10 Depth=1
                                        ; =>  This Inner Loop Header: Depth=2
	v_add_u32_e32 v41, 4, v41
	v_cmp_lt_u32_e64 s[0:1], 59, v41
	ds_write_b64 v40, v[38:39]
	s_or_b64 s[2:3], s[0:1], s[2:3]
	v_add_u32_e32 v40, 32, v40
	s_andn2_b64 exec, exec, s[2:3]
	s_cbranch_execnz .LBB151_11
; %bb.12:                               ;   in Loop: Header=BB151_10 Depth=1
	s_or_b64 exec, exec, s[2:3]
	v_add_u32_e32 v40, v44, v48
	v_cmp_lt_i32_e64 s[0:1], v40, v47
	v_mov_b32_e32 v56, s37
	v_mov_b32_e32 v41, v47
	s_waitcnt lgkmcnt(0)
	s_and_saveexec_b64 s[76:77], s[0:1]
	s_cbranch_execz .LBB151_20
; %bb.13:                               ;   in Loop: Header=BB151_10 Depth=1
	v_ashrrev_i32_e32 v41, 31, v40
	v_mul_lo_u32 v57, v3, s39
	v_lshl_add_u64 v[42:43], v[40:41], 2, s[44:45]
	v_lshl_add_u64 v[44:45], v[40:41], 3, s[40:41]
	s_mov_b64 s[78:79], 0
	v_mov_b32_e32 v56, s37
	v_mov_b32_e32 v41, v47
	s_branch .LBB151_15
.LBB151_14:                             ;   in Loop: Header=BB151_15 Depth=2
	s_or_b64 exec, exec, s[2:3]
	v_add_u32_e32 v40, 4, v40
	v_cmp_ge_i32_e64 s[2:3], v40, v47
	s_xor_b64 s[0:1], s[0:1], -1
	s_or_b64 s[0:1], s[0:1], s[2:3]
	s_and_b64 s[0:1], exec, s[0:1]
	v_lshl_add_u64 v[42:43], v[42:43], 0, 16
	s_or_b64 s[78:79], s[0:1], s[78:79]
	v_lshl_add_u64 v[44:45], v[44:45], 0, 32
	s_andn2_b64 exec, exec, s[78:79]
	s_cbranch_execz .LBB151_19
.LBB151_15:                             ;   Parent Loop BB151_10 Depth=1
                                        ; =>  This Inner Loop Header: Depth=2
	global_load_dword v58, v[42:43], off
	s_waitcnt vmcnt(0)
	v_subrev_u32_e32 v58, s33, v58
	v_sub_u32_e32 v60, 0, v58
	v_max_i32_e32 v60, v58, v60
	v_mul_hi_u32 v61, v60, v53
	v_mul_lo_u32 v62, v61, s38
	v_sub_u32_e32 v60, v60, v62
	v_add_u32_e32 v63, 1, v61
	v_cmp_le_u32_e64 s[0:1], s38, v60
	v_subrev_u32_e32 v62, s38, v60
	v_ashrrev_i32_e32 v59, 31, v58
	v_cndmask_b32_e64 v61, v61, v63, s[0:1]
	v_cndmask_b32_e64 v60, v60, v62, s[0:1]
	v_add_u32_e32 v62, 1, v61
	v_cmp_le_u32_e64 s[0:1], s38, v60
	v_xor_b32_e32 v59, s36, v59
	s_nop 0
	v_cndmask_b32_e64 v60, v61, v62, s[0:1]
	v_xor_b32_e32 v60, v60, v59
	v_sub_u32_e32 v60, v60, v59
	v_cmp_eq_u32_e64 s[0:1], v60, v3
	v_cmp_ne_u32_e64 s[2:3], v60, v3
	v_mov_b32_e32 v59, v41
	s_and_saveexec_b64 s[84:85], s[2:3]
	s_xor_b64 s[2:3], exec, s[84:85]
; %bb.16:                               ;   in Loop: Header=BB151_15 Depth=2
	v_min_i32_e32 v56, v60, v56
                                        ; implicit-def: $vgpr58
                                        ; implicit-def: $vgpr59
; %bb.17:                               ;   in Loop: Header=BB151_15 Depth=2
	s_or_saveexec_b64 s[2:3], s[2:3]
	v_mov_b32_e32 v41, v40
	s_xor_b64 exec, exec, s[2:3]
	s_cbranch_execz .LBB151_14
; %bb.18:                               ;   in Loop: Header=BB151_15 Depth=2
	global_load_dwordx2 v[60:61], v[44:45], off
	v_sub_u32_e32 v41, v58, v57
	v_add_lshl_u32 v41, v49, v41, 3
	ds_write_b8 v46, v55 offset:16384
	s_waitcnt vmcnt(0)
	ds_write_b64 v41, v[60:61]
	v_mov_b32_e32 v41, v59
	s_branch .LBB151_14
.LBB151_19:                             ;   in Loop: Header=BB151_10 Depth=1
	s_or_b64 exec, exec, s[78:79]
.LBB151_20:                             ;   in Loop: Header=BB151_10 Depth=1
	s_or_b64 exec, exec, s[76:77]
	v_mov_b32_dpp v40, v41 row_shr:1 row_mask:0xf bank_mask:0xf
	v_min_i32_e32 v40, v40, v41
	s_waitcnt lgkmcnt(0)
	ds_read_u8 v41, v46 offset:16384
	v_mov_b32_dpp v42, v40 row_shr:2 row_mask:0xf bank_mask:0xf
	v_min_i32_e32 v40, v42, v40
	ds_bpermute_b32 v44, v50, v40
	s_waitcnt lgkmcnt(1)
	v_and_b32_e32 v40, 1, v41
	v_cmp_eq_u32_e64 s[0:1], 1, v40
	v_mov_b32_e32 v40, 0
	s_and_saveexec_b64 s[2:3], s[0:1]
	s_cbranch_execz .LBB151_9
; %bb.21:                               ;   in Loop: Header=BB151_10 Depth=1
	v_add_u32_e32 v42, s80, v3
	v_ashrrev_i32_e32 v3, 31, v2
	v_lshl_add_u64 v[40:41], v[2:3], 2, s[42:43]
	global_store_dword v[40:41], v42, off
	v_mul_lo_u32 v42, s81, v2
	v_mul_lo_u32 v3, s82, v3
	v_mad_u64_u32 v[40:41], s[0:1], s82, v2, 0
	v_add3_u32 v41, v41, v3, v42
	v_lshlrev_b64 v[42:43], 3, v[40:41]
	v_lshl_add_u64 v[40:41], v[4:5], 0, v[42:43]
	v_lshl_add_u64 v[42:43], v[6:7], 0, v[42:43]
	s_and_saveexec_b64 s[0:1], s[46:47]
	s_cbranch_execnz .LBB151_37
; %bb.22:                               ;   in Loop: Header=BB151_10 Depth=1
	s_or_b64 exec, exec, s[0:1]
	s_and_saveexec_b64 s[0:1], s[4:5]
	s_cbranch_execnz .LBB151_38
.LBB151_23:                             ;   in Loop: Header=BB151_10 Depth=1
	s_or_b64 exec, exec, s[0:1]
	s_and_saveexec_b64 s[0:1], s[6:7]
	s_cbranch_execnz .LBB151_39
.LBB151_24:                             ;   in Loop: Header=BB151_10 Depth=1
	s_or_b64 exec, exec, s[0:1]
	s_and_saveexec_b64 s[0:1], s[8:9]
	s_cbranch_execnz .LBB151_40
.LBB151_25:                             ;   in Loop: Header=BB151_10 Depth=1
	s_or_b64 exec, exec, s[0:1]
	s_and_saveexec_b64 s[0:1], s[10:11]
	s_cbranch_execnz .LBB151_41
.LBB151_26:                             ;   in Loop: Header=BB151_10 Depth=1
	s_or_b64 exec, exec, s[0:1]
	s_and_saveexec_b64 s[0:1], s[12:13]
	s_cbranch_execnz .LBB151_42
.LBB151_27:                             ;   in Loop: Header=BB151_10 Depth=1
	s_or_b64 exec, exec, s[0:1]
	s_and_saveexec_b64 s[0:1], s[14:15]
	s_cbranch_execnz .LBB151_43
.LBB151_28:                             ;   in Loop: Header=BB151_10 Depth=1
	s_or_b64 exec, exec, s[0:1]
	s_and_saveexec_b64 s[0:1], s[16:17]
	s_cbranch_execnz .LBB151_44
.LBB151_29:                             ;   in Loop: Header=BB151_10 Depth=1
	s_or_b64 exec, exec, s[0:1]
	s_and_saveexec_b64 s[0:1], s[18:19]
	s_cbranch_execnz .LBB151_45
.LBB151_30:                             ;   in Loop: Header=BB151_10 Depth=1
	s_or_b64 exec, exec, s[0:1]
	s_and_saveexec_b64 s[0:1], s[20:21]
	s_cbranch_execnz .LBB151_46
.LBB151_31:                             ;   in Loop: Header=BB151_10 Depth=1
	s_or_b64 exec, exec, s[0:1]
	s_and_saveexec_b64 s[0:1], s[22:23]
	s_cbranch_execnz .LBB151_47
.LBB151_32:                             ;   in Loop: Header=BB151_10 Depth=1
	s_or_b64 exec, exec, s[0:1]
	s_and_saveexec_b64 s[0:1], s[24:25]
	s_cbranch_execnz .LBB151_48
.LBB151_33:                             ;   in Loop: Header=BB151_10 Depth=1
	s_or_b64 exec, exec, s[0:1]
	s_and_saveexec_b64 s[0:1], s[26:27]
	s_cbranch_execnz .LBB151_49
.LBB151_34:                             ;   in Loop: Header=BB151_10 Depth=1
	s_or_b64 exec, exec, s[0:1]
	s_and_saveexec_b64 s[0:1], s[28:29]
	s_cbranch_execnz .LBB151_50
.LBB151_35:                             ;   in Loop: Header=BB151_10 Depth=1
	s_or_b64 exec, exec, s[0:1]
	s_and_saveexec_b64 s[0:1], s[30:31]
	s_cbranch_execnz .LBB151_51
.LBB151_36:                             ;   in Loop: Header=BB151_10 Depth=1
	s_or_b64 exec, exec, s[0:1]
	s_and_saveexec_b64 s[0:1], s[34:35]
	s_cbranch_execz .LBB151_8
	s_branch .LBB151_52
.LBB151_37:                             ;   in Loop: Header=BB151_10 Depth=1
	ds_read_b64 v[58:59], v52
	v_lshl_add_u64 v[60:61], v[0:1], 3, v[40:41]
	v_cndmask_b32_e32 v61, v61, v43, vcc
	v_cndmask_b32_e32 v60, v60, v42, vcc
	s_waitcnt lgkmcnt(0)
	global_store_dwordx2 v[60:61], v[58:59], off
	s_or_b64 exec, exec, s[0:1]
	s_and_saveexec_b64 s[0:1], s[4:5]
	s_cbranch_execz .LBB151_23
.LBB151_38:                             ;   in Loop: Header=BB151_10 Depth=1
	ds_read_b64 v[58:59], v52 offset:32
	v_lshl_add_u64 v[60:61], v[42:43], 0, 32
	v_lshl_add_u64 v[62:63], v[8:9], 3, v[40:41]
	v_cndmask_b32_e32 v61, v63, v61, vcc
	v_cndmask_b32_e32 v60, v62, v60, vcc
	s_waitcnt lgkmcnt(0)
	global_store_dwordx2 v[60:61], v[58:59], off
	s_or_b64 exec, exec, s[0:1]
	s_and_saveexec_b64 s[0:1], s[6:7]
	s_cbranch_execz .LBB151_24
.LBB151_39:                             ;   in Loop: Header=BB151_10 Depth=1
	ds_read_b64 v[58:59], v52 offset:64
	v_lshl_add_u64 v[60:61], v[42:43], 0, 64
	v_lshl_add_u64 v[62:63], v[10:11], 3, v[40:41]
	v_cndmask_b32_e32 v61, v63, v61, vcc
	v_cndmask_b32_e32 v60, v62, v60, vcc
	s_waitcnt lgkmcnt(0)
	global_store_dwordx2 v[60:61], v[58:59], off
	s_or_b64 exec, exec, s[0:1]
	s_and_saveexec_b64 s[0:1], s[8:9]
	s_cbranch_execz .LBB151_25
.LBB151_40:                             ;   in Loop: Header=BB151_10 Depth=1
	ds_read_b64 v[58:59], v52 offset:96
	v_lshl_add_u64 v[60:61], v[42:43], 0, s[50:51]
	v_lshl_add_u64 v[62:63], v[12:13], 3, v[40:41]
	v_cndmask_b32_e32 v61, v63, v61, vcc
	v_cndmask_b32_e32 v60, v62, v60, vcc
	s_waitcnt lgkmcnt(0)
	global_store_dwordx2 v[60:61], v[58:59], off
	s_or_b64 exec, exec, s[0:1]
	s_and_saveexec_b64 s[0:1], s[10:11]
	s_cbranch_execz .LBB151_26
.LBB151_41:                             ;   in Loop: Header=BB151_10 Depth=1
	ds_read_b64 v[58:59], v52 offset:128
	v_lshl_add_u64 v[60:61], v[42:43], 0, s[52:53]
	v_lshl_add_u64 v[62:63], v[14:15], 3, v[40:41]
	v_cndmask_b32_e32 v61, v63, v61, vcc
	v_cndmask_b32_e32 v60, v62, v60, vcc
	s_waitcnt lgkmcnt(0)
	global_store_dwordx2 v[60:61], v[58:59], off
	s_or_b64 exec, exec, s[0:1]
	s_and_saveexec_b64 s[0:1], s[12:13]
	s_cbranch_execz .LBB151_27
.LBB151_42:                             ;   in Loop: Header=BB151_10 Depth=1
	ds_read_b64 v[58:59], v52 offset:160
	v_lshl_add_u64 v[60:61], v[42:43], 0, s[54:55]
	v_lshl_add_u64 v[62:63], v[16:17], 3, v[40:41]
	v_cndmask_b32_e32 v61, v63, v61, vcc
	v_cndmask_b32_e32 v60, v62, v60, vcc
	s_waitcnt lgkmcnt(0)
	global_store_dwordx2 v[60:61], v[58:59], off
	s_or_b64 exec, exec, s[0:1]
	s_and_saveexec_b64 s[0:1], s[14:15]
	s_cbranch_execz .LBB151_28
.LBB151_43:                             ;   in Loop: Header=BB151_10 Depth=1
	ds_read_b64 v[58:59], v52 offset:192
	v_lshl_add_u64 v[60:61], v[42:43], 0, s[56:57]
	v_lshl_add_u64 v[62:63], v[18:19], 3, v[40:41]
	v_cndmask_b32_e32 v61, v63, v61, vcc
	v_cndmask_b32_e32 v60, v62, v60, vcc
	s_waitcnt lgkmcnt(0)
	global_store_dwordx2 v[60:61], v[58:59], off
	s_or_b64 exec, exec, s[0:1]
	s_and_saveexec_b64 s[0:1], s[16:17]
	s_cbranch_execz .LBB151_29
.LBB151_44:                             ;   in Loop: Header=BB151_10 Depth=1
	ds_read_b64 v[58:59], v52 offset:224
	v_lshl_add_u64 v[60:61], v[42:43], 0, s[58:59]
	v_lshl_add_u64 v[62:63], v[20:21], 3, v[40:41]
	v_cndmask_b32_e32 v61, v63, v61, vcc
	v_cndmask_b32_e32 v60, v62, v60, vcc
	s_waitcnt lgkmcnt(0)
	global_store_dwordx2 v[60:61], v[58:59], off
	s_or_b64 exec, exec, s[0:1]
	s_and_saveexec_b64 s[0:1], s[18:19]
	s_cbranch_execz .LBB151_30
.LBB151_45:                             ;   in Loop: Header=BB151_10 Depth=1
	ds_read_b64 v[58:59], v52 offset:256
	v_lshl_add_u64 v[60:61], v[42:43], 0, s[60:61]
	v_lshl_add_u64 v[62:63], v[22:23], 3, v[40:41]
	v_cndmask_b32_e32 v61, v63, v61, vcc
	v_cndmask_b32_e32 v60, v62, v60, vcc
	s_waitcnt lgkmcnt(0)
	global_store_dwordx2 v[60:61], v[58:59], off
	s_or_b64 exec, exec, s[0:1]
	s_and_saveexec_b64 s[0:1], s[20:21]
	s_cbranch_execz .LBB151_31
.LBB151_46:                             ;   in Loop: Header=BB151_10 Depth=1
	ds_read_b64 v[58:59], v52 offset:288
	v_lshl_add_u64 v[60:61], v[42:43], 0, s[62:63]
	v_lshl_add_u64 v[62:63], v[24:25], 3, v[40:41]
	v_cndmask_b32_e32 v61, v63, v61, vcc
	v_cndmask_b32_e32 v60, v62, v60, vcc
	s_waitcnt lgkmcnt(0)
	global_store_dwordx2 v[60:61], v[58:59], off
	s_or_b64 exec, exec, s[0:1]
	s_and_saveexec_b64 s[0:1], s[22:23]
	s_cbranch_execz .LBB151_32
.LBB151_47:                             ;   in Loop: Header=BB151_10 Depth=1
	ds_read_b64 v[58:59], v52 offset:320
	v_lshl_add_u64 v[60:61], v[42:43], 0, s[64:65]
	v_lshl_add_u64 v[62:63], v[26:27], 3, v[40:41]
	v_cndmask_b32_e32 v61, v63, v61, vcc
	v_cndmask_b32_e32 v60, v62, v60, vcc
	s_waitcnt lgkmcnt(0)
	global_store_dwordx2 v[60:61], v[58:59], off
	s_or_b64 exec, exec, s[0:1]
	s_and_saveexec_b64 s[0:1], s[24:25]
	s_cbranch_execz .LBB151_33
.LBB151_48:                             ;   in Loop: Header=BB151_10 Depth=1
	ds_read_b64 v[58:59], v52 offset:352
	v_lshl_add_u64 v[60:61], v[42:43], 0, s[66:67]
	v_lshl_add_u64 v[62:63], v[28:29], 3, v[40:41]
	v_cndmask_b32_e32 v61, v63, v61, vcc
	v_cndmask_b32_e32 v60, v62, v60, vcc
	s_waitcnt lgkmcnt(0)
	global_store_dwordx2 v[60:61], v[58:59], off
	s_or_b64 exec, exec, s[0:1]
	s_and_saveexec_b64 s[0:1], s[26:27]
	s_cbranch_execz .LBB151_34
.LBB151_49:                             ;   in Loop: Header=BB151_10 Depth=1
	ds_read_b64 v[58:59], v52 offset:384
	v_lshl_add_u64 v[60:61], v[42:43], 0, s[68:69]
	v_lshl_add_u64 v[62:63], v[30:31], 3, v[40:41]
	v_cndmask_b32_e32 v61, v63, v61, vcc
	v_cndmask_b32_e32 v60, v62, v60, vcc
	s_waitcnt lgkmcnt(0)
	global_store_dwordx2 v[60:61], v[58:59], off
	s_or_b64 exec, exec, s[0:1]
	s_and_saveexec_b64 s[0:1], s[28:29]
	s_cbranch_execz .LBB151_35
.LBB151_50:                             ;   in Loop: Header=BB151_10 Depth=1
	ds_read_b64 v[58:59], v52 offset:416
	v_lshl_add_u64 v[60:61], v[42:43], 0, s[70:71]
	v_lshl_add_u64 v[62:63], v[32:33], 3, v[40:41]
	v_cndmask_b32_e32 v61, v63, v61, vcc
	v_cndmask_b32_e32 v60, v62, v60, vcc
	s_waitcnt lgkmcnt(0)
	global_store_dwordx2 v[60:61], v[58:59], off
	s_or_b64 exec, exec, s[0:1]
	s_and_saveexec_b64 s[0:1], s[30:31]
	s_cbranch_execz .LBB151_36
.LBB151_51:                             ;   in Loop: Header=BB151_10 Depth=1
	ds_read_b64 v[58:59], v52 offset:448
	v_lshl_add_u64 v[60:61], v[42:43], 0, s[72:73]
	v_lshl_add_u64 v[62:63], v[34:35], 3, v[40:41]
	v_cndmask_b32_e32 v61, v63, v61, vcc
	v_cndmask_b32_e32 v60, v62, v60, vcc
	s_waitcnt lgkmcnt(0)
	global_store_dwordx2 v[60:61], v[58:59], off
	s_or_b64 exec, exec, s[0:1]
	s_and_saveexec_b64 s[0:1], s[34:35]
	s_cbranch_execz .LBB151_8
.LBB151_52:                             ;   in Loop: Header=BB151_10 Depth=1
	ds_read_b64 v[58:59], v52 offset:480
	v_lshl_add_u64 v[42:43], v[42:43], 0, s[74:75]
	v_lshl_add_u64 v[40:41], v[36:37], 3, v[40:41]
	v_cndmask_b32_e32 v41, v41, v43, vcc
	v_cndmask_b32_e32 v40, v40, v42, vcc
	s_waitcnt lgkmcnt(0)
	global_store_dwordx2 v[40:41], v[58:59], off
	s_branch .LBB151_8
.LBB151_53:
	s_endpgm
	.section	.rodata,"a",@progbits
	.p2align	6, 0x0
	.amdhsa_kernel _ZN9rocsparseL44csr2gebsr_wavefront_per_row_multipass_kernelILi128ELi8ELi64ELi32E21rocsparse_complex_numIfEEEv20rocsparse_direction_iiiiii21rocsparse_index_base_PKT3_PKiS9_S4_PS5_PiSB_
		.amdhsa_group_segment_fixed_size 16388
		.amdhsa_private_segment_fixed_size 0
		.amdhsa_kernarg_size 88
		.amdhsa_user_sgpr_count 2
		.amdhsa_user_sgpr_dispatch_ptr 0
		.amdhsa_user_sgpr_queue_ptr 0
		.amdhsa_user_sgpr_kernarg_segment_ptr 1
		.amdhsa_user_sgpr_dispatch_id 0
		.amdhsa_user_sgpr_kernarg_preload_length 0
		.amdhsa_user_sgpr_kernarg_preload_offset 0
		.amdhsa_user_sgpr_private_segment_size 0
		.amdhsa_uses_dynamic_stack 0
		.amdhsa_enable_private_segment 0
		.amdhsa_system_sgpr_workgroup_id_x 1
		.amdhsa_system_sgpr_workgroup_id_y 0
		.amdhsa_system_sgpr_workgroup_id_z 0
		.amdhsa_system_sgpr_workgroup_info 0
		.amdhsa_system_vgpr_workitem_id 0
		.amdhsa_next_free_vgpr 64
		.amdhsa_next_free_sgpr 86
		.amdhsa_accum_offset 64
		.amdhsa_reserve_vcc 1
		.amdhsa_float_round_mode_32 0
		.amdhsa_float_round_mode_16_64 0
		.amdhsa_float_denorm_mode_32 3
		.amdhsa_float_denorm_mode_16_64 3
		.amdhsa_dx10_clamp 1
		.amdhsa_ieee_mode 1
		.amdhsa_fp16_overflow 0
		.amdhsa_tg_split 0
		.amdhsa_exception_fp_ieee_invalid_op 0
		.amdhsa_exception_fp_denorm_src 0
		.amdhsa_exception_fp_ieee_div_zero 0
		.amdhsa_exception_fp_ieee_overflow 0
		.amdhsa_exception_fp_ieee_underflow 0
		.amdhsa_exception_fp_ieee_inexact 0
		.amdhsa_exception_int_div_zero 0
	.end_amdhsa_kernel
	.section	.text._ZN9rocsparseL44csr2gebsr_wavefront_per_row_multipass_kernelILi128ELi8ELi64ELi32E21rocsparse_complex_numIfEEEv20rocsparse_direction_iiiiii21rocsparse_index_base_PKT3_PKiS9_S4_PS5_PiSB_,"axG",@progbits,_ZN9rocsparseL44csr2gebsr_wavefront_per_row_multipass_kernelILi128ELi8ELi64ELi32E21rocsparse_complex_numIfEEEv20rocsparse_direction_iiiiii21rocsparse_index_base_PKT3_PKiS9_S4_PS5_PiSB_,comdat
.Lfunc_end151:
	.size	_ZN9rocsparseL44csr2gebsr_wavefront_per_row_multipass_kernelILi128ELi8ELi64ELi32E21rocsparse_complex_numIfEEEv20rocsparse_direction_iiiiii21rocsparse_index_base_PKT3_PKiS9_S4_PS5_PiSB_, .Lfunc_end151-_ZN9rocsparseL44csr2gebsr_wavefront_per_row_multipass_kernelILi128ELi8ELi64ELi32E21rocsparse_complex_numIfEEEv20rocsparse_direction_iiiiii21rocsparse_index_base_PKT3_PKiS9_S4_PS5_PiSB_
                                        ; -- End function
	.section	.AMDGPU.csdata,"",@progbits
; Kernel info:
; codeLenInByte = 2740
; NumSgprs: 92
; NumVgprs: 64
; NumAgprs: 0
; TotalNumVgprs: 64
; ScratchSize: 0
; MemoryBound: 0
; FloatMode: 240
; IeeeMode: 1
; LDSByteSize: 16388 bytes/workgroup (compile time only)
; SGPRBlocks: 11
; VGPRBlocks: 7
; NumSGPRsForWavesPerEU: 92
; NumVGPRsForWavesPerEU: 64
; AccumOffset: 64
; Occupancy: 2
; WaveLimiterHint : 0
; COMPUTE_PGM_RSRC2:SCRATCH_EN: 0
; COMPUTE_PGM_RSRC2:USER_SGPR: 2
; COMPUTE_PGM_RSRC2:TRAP_HANDLER: 0
; COMPUTE_PGM_RSRC2:TGID_X_EN: 1
; COMPUTE_PGM_RSRC2:TGID_Y_EN: 0
; COMPUTE_PGM_RSRC2:TGID_Z_EN: 0
; COMPUTE_PGM_RSRC2:TIDIG_COMP_CNT: 0
; COMPUTE_PGM_RSRC3_GFX90A:ACCUM_OFFSET: 15
; COMPUTE_PGM_RSRC3_GFX90A:TG_SPLIT: 0
	.section	.text._ZN9rocsparseL44csr2gebsr_wavefront_per_row_multipass_kernelILi256ELi16ELi2ELi32E21rocsparse_complex_numIfEEEv20rocsparse_direction_iiiiii21rocsparse_index_base_PKT3_PKiS9_S4_PS5_PiSB_,"axG",@progbits,_ZN9rocsparseL44csr2gebsr_wavefront_per_row_multipass_kernelILi256ELi16ELi2ELi32E21rocsparse_complex_numIfEEEv20rocsparse_direction_iiiiii21rocsparse_index_base_PKT3_PKiS9_S4_PS5_PiSB_,comdat
	.globl	_ZN9rocsparseL44csr2gebsr_wavefront_per_row_multipass_kernelILi256ELi16ELi2ELi32E21rocsparse_complex_numIfEEEv20rocsparse_direction_iiiiii21rocsparse_index_base_PKT3_PKiS9_S4_PS5_PiSB_ ; -- Begin function _ZN9rocsparseL44csr2gebsr_wavefront_per_row_multipass_kernelILi256ELi16ELi2ELi32E21rocsparse_complex_numIfEEEv20rocsparse_direction_iiiiii21rocsparse_index_base_PKT3_PKiS9_S4_PS5_PiSB_
	.p2align	8
	.type	_ZN9rocsparseL44csr2gebsr_wavefront_per_row_multipass_kernelILi256ELi16ELi2ELi32E21rocsparse_complex_numIfEEEv20rocsparse_direction_iiiiii21rocsparse_index_base_PKT3_PKiS9_S4_PS5_PiSB_,@function
_ZN9rocsparseL44csr2gebsr_wavefront_per_row_multipass_kernelILi256ELi16ELi2ELi32E21rocsparse_complex_numIfEEEv20rocsparse_direction_iiiiii21rocsparse_index_base_PKT3_PKiS9_S4_PS5_PiSB_: ; @_ZN9rocsparseL44csr2gebsr_wavefront_per_row_multipass_kernelILi256ELi16ELi2ELi32E21rocsparse_complex_numIfEEEv20rocsparse_direction_iiiiii21rocsparse_index_base_PKT3_PKiS9_S4_PS5_PiSB_
; %bb.0:
	s_load_dwordx2 s[14:15], s[0:1], 0x0
	s_load_dwordx4 s[4:7], s[0:1], 0xc
	s_load_dword s20, s[0:1], 0x1c
	s_load_dwordx2 s[8:9], s[0:1], 0x28
	v_lshrrev_b32_e32 v12, 5, v0
	v_bfe_u32 v6, v0, 1, 4
	v_lshl_or_b32 v4, s2, 3, v12
	s_waitcnt lgkmcnt(0)
	v_mad_u64_u32 v[2:3], s[2:3], v4, s6, v[6:7]
	v_cmp_gt_i32_e64 s[2:3], s15, v2
	v_cmp_gt_i32_e32 vcc, s6, v6
	s_and_b64 s[2:3], vcc, s[2:3]
	v_mov_b32_e32 v13, 0
	v_mov_b32_e32 v8, 0
	s_and_saveexec_b64 s[10:11], s[2:3]
	s_cbranch_execz .LBB152_2
; %bb.1:
	v_ashrrev_i32_e32 v3, 31, v2
	v_lshl_add_u64 v[8:9], v[2:3], 2, s[8:9]
	global_load_dword v1, v[8:9], off
	s_waitcnt vmcnt(0)
	v_subrev_u32_e32 v8, s20, v1
.LBB152_2:
	s_or_b64 exec, exec, s[10:11]
	s_and_saveexec_b64 s[10:11], s[2:3]
	s_cbranch_execz .LBB152_4
; %bb.3:
	v_ashrrev_i32_e32 v3, 31, v2
	v_lshl_add_u64 v[2:3], v[2:3], 2, s[8:9]
	global_load_dword v1, v[2:3], off offset:4
	s_waitcnt vmcnt(0)
	v_subrev_u32_e32 v13, s20, v1
.LBB152_4:
	s_or_b64 exec, exec, s[10:11]
	s_load_dword s21, s[0:1], 0x38
	v_cmp_gt_i32_e64 s[2:3], s4, v4
	v_mov_b32_e32 v2, 0
	s_and_saveexec_b64 s[8:9], s[2:3]
	s_cbranch_execz .LBB152_6
; %bb.5:
	s_load_dwordx2 s[2:3], s[0:1], 0x48
	v_ashrrev_i32_e32 v5, 31, v4
	s_waitcnt lgkmcnt(0)
	v_lshl_add_u64 v[2:3], v[4:5], 2, s[2:3]
	global_load_dword v1, v[2:3], off
	s_waitcnt vmcnt(0)
	v_subrev_u32_e32 v2, s21, v1
.LBB152_6:
	s_or_b64 exec, exec, s[8:9]
	s_cmp_lt_i32 s5, 1
	s_cbranch_scc1 .LBB152_21
; %bb.7:
	v_and_b32_e32 v4, 1, v0
	s_load_dwordx2 s[2:3], s[0:1], 0x20
	s_load_dwordx2 s[8:9], s[0:1], 0x50
	;; [unrolled: 1-line block ×4, first 2 shown]
	v_cmp_gt_u32_e64 s[0:1], s7, v4
	s_and_b64 s[12:13], vcc, s[0:1]
	s_cmp_eq_u32 s14, 0
	s_cselect_b64 vcc, -1, 0
	s_abs_i32 s4, s7
	v_cvt_f32_u32_e32 v9, s4
	v_and_b32_e32 v0, 0xe0, v0
	v_lshl_or_b32 v14, v6, 1, v0
	v_mbcnt_lo_u32_b32 v0, -1, 0
	v_rcp_iflag_f32_e32 v9, v9
	v_mbcnt_hi_u32_b32 v0, -1, v0
	v_lshlrev_b32_e32 v3, 2, v0
	v_mov_b32_e32 v5, 0
	v_or_b32_e32 v15, 4, v3
	v_or_b32_e32 v0, v14, v4
	;; [unrolled: 1-line block ×3, first 2 shown]
	v_mul_f32_e32 v3, 0x4f7ffffe, v9
	v_lshlrev_b32_e32 v16, 3, v0
	v_mul_lo_u32 v0, v4, s6
	v_mov_b32_e32 v1, v5
	v_lshlrev_b32_e32 v10, 3, v6
	v_mul_lo_u32 v6, v6, s7
	v_cvt_u32_f32_e32 v3, v3
	s_waitcnt lgkmcnt(0)
	v_lshl_add_u64 v[0:1], v[0:1], 3, s[16:17]
	v_mov_b32_e32 v11, v5
	v_ashrrev_i32_e32 v7, 31, v6
	s_ashr_i32 s22, s7, 31
	v_lshl_add_u64 v[0:1], v[0:1], 0, v[10:11]
	v_lshl_add_u64 v[6:7], v[6:7], 3, s[16:17]
	v_lshlrev_b32_e32 v10, 3, v4
	s_mul_hi_u32 s0, s7, s6
	s_mul_i32 s1, s22, s6
	v_lshl_add_u64 v[6:7], v[6:7], 0, v[10:11]
	s_add_i32 s23, s0, s1
	s_sub_i32 s0, 0, s4
	v_cndmask_b32_e32 v0, v0, v6, vcc
	v_mul_lo_u32 v6, s0, v3
	v_mul_hi_u32 v6, v3, v6
	s_mul_i32 s6, s7, s6
	v_cndmask_b32_e32 v1, v1, v7, vcc
	v_add_u32_e32 v18, v3, v6
	s_mov_b64 s[14:15], 0
	v_mov_b32_e32 v6, v5
	v_mov_b32_e32 v7, v5
	;; [unrolled: 1-line block ×4, first 2 shown]
	s_branch .LBB152_10
.LBB152_8:                              ;   in Loop: Header=BB152_10 Depth=1
	s_or_b64 exec, exec, s[16:17]
	v_mov_b32_e32 v9, 1
.LBB152_9:                              ;   in Loop: Header=BB152_10 Depth=1
	s_or_b64 exec, exec, s[0:1]
	v_mov_b32_dpp v3, v20 row_shr:1 row_mask:0xf bank_mask:0xf
	v_min_i32_e32 v3, v3, v20
	v_add_u32_e32 v2, v9, v2
	s_waitcnt lgkmcnt(0)
	v_mov_b32_dpp v10, v3 row_shr:2 row_mask:0xf bank_mask:0xf
	v_min_i32_e32 v3, v10, v3
	s_nop 1
	v_mov_b32_dpp v10, v3 row_shr:4 row_mask:0xf bank_mask:0xe
	v_min_i32_e32 v3, v10, v3
	s_nop 1
	;; [unrolled: 3-line block ×3, first 2 shown]
	v_mov_b32_dpp v10, v3 row_bcast:15 row_mask:0xa bank_mask:0xf
	v_min_i32_e32 v3, v10, v3
	ds_bpermute_b32 v3, v17, v3
	s_waitcnt lgkmcnt(0)
	v_cmp_le_i32_e32 vcc, s5, v3
	s_or_b64 s[14:15], vcc, s[14:15]
	s_andn2_b64 exec, exec, s[14:15]
	s_cbranch_execz .LBB152_21
.LBB152_10:                             ; =>This Loop Header: Depth=1
                                        ;     Child Loop BB152_13 Depth 2
	v_add_u32_e32 v21, v8, v4
	v_cmp_lt_i32_e32 vcc, v21, v13
	v_mov_b32_e32 v20, s5
	v_mov_b32_e32 v23, v13
	ds_write_b8 v12, v5 offset:2048
	ds_write_b64 v16, v[6:7]
	s_waitcnt lgkmcnt(0)
	s_and_saveexec_b64 s[16:17], vcc
	s_cbranch_execz .LBB152_18
; %bb.11:                               ;   in Loop: Header=BB152_10 Depth=1
	v_ashrrev_i32_e32 v9, 31, v8
	v_lshl_add_u64 v[10:11], v[4:5], 0, v[8:9]
	v_mul_lo_u32 v22, v3, s7
	v_lshl_add_u64 v[8:9], v[10:11], 2, s[10:11]
	v_lshl_add_u64 v[10:11], v[10:11], 3, s[2:3]
	s_mov_b64 s[18:19], 0
	v_mov_b32_e32 v20, s5
	v_mov_b32_e32 v23, v13
	s_branch .LBB152_13
.LBB152_12:                             ;   in Loop: Header=BB152_13 Depth=2
	s_or_b64 exec, exec, s[0:1]
	v_add_u32_e32 v21, 2, v21
	v_cmp_ge_i32_e64 s[0:1], v21, v13
	s_xor_b64 s[24:25], vcc, -1
	s_or_b64 s[0:1], s[24:25], s[0:1]
	s_and_b64 s[0:1], exec, s[0:1]
	v_lshl_add_u64 v[8:9], v[8:9], 0, 8
	s_or_b64 s[18:19], s[0:1], s[18:19]
	v_lshl_add_u64 v[10:11], v[10:11], 0, 16
	s_andn2_b64 exec, exec, s[18:19]
	s_cbranch_execz .LBB152_17
.LBB152_13:                             ;   Parent Loop BB152_10 Depth=1
                                        ; =>  This Inner Loop Header: Depth=2
	global_load_dword v24, v[8:9], off
	s_waitcnt vmcnt(0)
	v_subrev_u32_e32 v24, s20, v24
	v_sub_u32_e32 v26, 0, v24
	v_max_i32_e32 v26, v24, v26
	v_mul_hi_u32 v27, v26, v18
	v_mul_lo_u32 v28, v27, s4
	v_sub_u32_e32 v26, v26, v28
	v_add_u32_e32 v29, 1, v27
	v_cmp_le_u32_e32 vcc, s4, v26
	v_subrev_u32_e32 v28, s4, v26
	v_ashrrev_i32_e32 v25, 31, v24
	v_cndmask_b32_e32 v27, v27, v29, vcc
	v_cndmask_b32_e32 v26, v26, v28, vcc
	v_add_u32_e32 v28, 1, v27
	v_cmp_le_u32_e32 vcc, s4, v26
	v_xor_b32_e32 v25, s22, v25
	s_nop 0
	v_cndmask_b32_e32 v26, v27, v28, vcc
	v_xor_b32_e32 v26, v26, v25
	v_sub_u32_e32 v26, v26, v25
	v_cmp_eq_u32_e32 vcc, v26, v3
	v_cmp_ne_u32_e64 s[0:1], v26, v3
	v_mov_b32_e32 v25, v23
	s_and_saveexec_b64 s[24:25], s[0:1]
	s_xor_b64 s[0:1], exec, s[24:25]
; %bb.14:                               ;   in Loop: Header=BB152_13 Depth=2
	v_min_i32_e32 v20, v26, v20
                                        ; implicit-def: $vgpr24
                                        ; implicit-def: $vgpr25
; %bb.15:                               ;   in Loop: Header=BB152_13 Depth=2
	s_or_saveexec_b64 s[0:1], s[0:1]
	v_mov_b32_e32 v23, v21
	s_xor_b64 exec, exec, s[0:1]
	s_cbranch_execz .LBB152_12
; %bb.16:                               ;   in Loop: Header=BB152_13 Depth=2
	global_load_dwordx2 v[26:27], v[10:11], off
	v_sub_u32_e32 v23, v24, v22
	v_add_lshl_u32 v23, v14, v23, 3
	ds_write_b8 v12, v19 offset:2048
	s_waitcnt vmcnt(0)
	ds_write_b64 v23, v[26:27]
	v_mov_b32_e32 v23, v25
	s_branch .LBB152_12
.LBB152_17:                             ;   in Loop: Header=BB152_10 Depth=1
	s_or_b64 exec, exec, s[18:19]
.LBB152_18:                             ;   in Loop: Header=BB152_10 Depth=1
	s_or_b64 exec, exec, s[16:17]
	s_waitcnt lgkmcnt(0)
	ds_read_u8 v9, v12 offset:2048
	v_mov_b32_dpp v8, v23 row_shr:1 row_mask:0xf bank_mask:0xf
	v_min_i32_e32 v8, v8, v23
	ds_bpermute_b32 v8, v15, v8
	s_waitcnt lgkmcnt(1)
	v_and_b32_e32 v9, 1, v9
	v_cmp_eq_u32_e32 vcc, 1, v9
	v_mov_b32_e32 v9, 0
	s_and_saveexec_b64 s[0:1], vcc
	s_cbranch_execz .LBB152_9
; %bb.19:                               ;   in Loop: Header=BB152_10 Depth=1
	v_add_u32_e32 v9, s21, v3
	v_ashrrev_i32_e32 v3, 31, v2
	v_lshl_add_u64 v[10:11], v[2:3], 2, s[8:9]
	global_store_dword v[10:11], v9, off
	s_and_saveexec_b64 s[16:17], s[12:13]
	s_cbranch_execz .LBB152_8
; %bb.20:                               ;   in Loop: Header=BB152_10 Depth=1
	ds_read_b64 v[10:11], v16
	v_mul_lo_u32 v9, s23, v2
	v_mul_lo_u32 v3, s6, v3
	v_mad_u64_u32 v[22:23], s[18:19], s6, v2, 0
	v_add3_u32 v23, v23, v3, v9
	v_lshl_add_u64 v[22:23], v[22:23], 3, v[0:1]
	s_waitcnt lgkmcnt(0)
	global_store_dwordx2 v[22:23], v[10:11], off
	s_branch .LBB152_8
.LBB152_21:
	s_endpgm
	.section	.rodata,"a",@progbits
	.p2align	6, 0x0
	.amdhsa_kernel _ZN9rocsparseL44csr2gebsr_wavefront_per_row_multipass_kernelILi256ELi16ELi2ELi32E21rocsparse_complex_numIfEEEv20rocsparse_direction_iiiiii21rocsparse_index_base_PKT3_PKiS9_S4_PS5_PiSB_
		.amdhsa_group_segment_fixed_size 2056
		.amdhsa_private_segment_fixed_size 0
		.amdhsa_kernarg_size 88
		.amdhsa_user_sgpr_count 2
		.amdhsa_user_sgpr_dispatch_ptr 0
		.amdhsa_user_sgpr_queue_ptr 0
		.amdhsa_user_sgpr_kernarg_segment_ptr 1
		.amdhsa_user_sgpr_dispatch_id 0
		.amdhsa_user_sgpr_kernarg_preload_length 0
		.amdhsa_user_sgpr_kernarg_preload_offset 0
		.amdhsa_user_sgpr_private_segment_size 0
		.amdhsa_uses_dynamic_stack 0
		.amdhsa_enable_private_segment 0
		.amdhsa_system_sgpr_workgroup_id_x 1
		.amdhsa_system_sgpr_workgroup_id_y 0
		.amdhsa_system_sgpr_workgroup_id_z 0
		.amdhsa_system_sgpr_workgroup_info 0
		.amdhsa_system_vgpr_workitem_id 0
		.amdhsa_next_free_vgpr 30
		.amdhsa_next_free_sgpr 26
		.amdhsa_accum_offset 32
		.amdhsa_reserve_vcc 1
		.amdhsa_float_round_mode_32 0
		.amdhsa_float_round_mode_16_64 0
		.amdhsa_float_denorm_mode_32 3
		.amdhsa_float_denorm_mode_16_64 3
		.amdhsa_dx10_clamp 1
		.amdhsa_ieee_mode 1
		.amdhsa_fp16_overflow 0
		.amdhsa_tg_split 0
		.amdhsa_exception_fp_ieee_invalid_op 0
		.amdhsa_exception_fp_denorm_src 0
		.amdhsa_exception_fp_ieee_div_zero 0
		.amdhsa_exception_fp_ieee_overflow 0
		.amdhsa_exception_fp_ieee_underflow 0
		.amdhsa_exception_fp_ieee_inexact 0
		.amdhsa_exception_int_div_zero 0
	.end_amdhsa_kernel
	.section	.text._ZN9rocsparseL44csr2gebsr_wavefront_per_row_multipass_kernelILi256ELi16ELi2ELi32E21rocsparse_complex_numIfEEEv20rocsparse_direction_iiiiii21rocsparse_index_base_PKT3_PKiS9_S4_PS5_PiSB_,"axG",@progbits,_ZN9rocsparseL44csr2gebsr_wavefront_per_row_multipass_kernelILi256ELi16ELi2ELi32E21rocsparse_complex_numIfEEEv20rocsparse_direction_iiiiii21rocsparse_index_base_PKT3_PKiS9_S4_PS5_PiSB_,comdat
.Lfunc_end152:
	.size	_ZN9rocsparseL44csr2gebsr_wavefront_per_row_multipass_kernelILi256ELi16ELi2ELi32E21rocsparse_complex_numIfEEEv20rocsparse_direction_iiiiii21rocsparse_index_base_PKT3_PKiS9_S4_PS5_PiSB_, .Lfunc_end152-_ZN9rocsparseL44csr2gebsr_wavefront_per_row_multipass_kernelILi256ELi16ELi2ELi32E21rocsparse_complex_numIfEEEv20rocsparse_direction_iiiiii21rocsparse_index_base_PKT3_PKiS9_S4_PS5_PiSB_
                                        ; -- End function
	.section	.AMDGPU.csdata,"",@progbits
; Kernel info:
; codeLenInByte = 1160
; NumSgprs: 32
; NumVgprs: 30
; NumAgprs: 0
; TotalNumVgprs: 30
; ScratchSize: 0
; MemoryBound: 0
; FloatMode: 240
; IeeeMode: 1
; LDSByteSize: 2056 bytes/workgroup (compile time only)
; SGPRBlocks: 3
; VGPRBlocks: 3
; NumSGPRsForWavesPerEU: 32
; NumVGPRsForWavesPerEU: 30
; AccumOffset: 32
; Occupancy: 8
; WaveLimiterHint : 0
; COMPUTE_PGM_RSRC2:SCRATCH_EN: 0
; COMPUTE_PGM_RSRC2:USER_SGPR: 2
; COMPUTE_PGM_RSRC2:TRAP_HANDLER: 0
; COMPUTE_PGM_RSRC2:TGID_X_EN: 1
; COMPUTE_PGM_RSRC2:TGID_Y_EN: 0
; COMPUTE_PGM_RSRC2:TGID_Z_EN: 0
; COMPUTE_PGM_RSRC2:TIDIG_COMP_CNT: 0
; COMPUTE_PGM_RSRC3_GFX90A:ACCUM_OFFSET: 7
; COMPUTE_PGM_RSRC3_GFX90A:TG_SPLIT: 0
	.section	.text._ZN9rocsparseL44csr2gebsr_wavefront_per_row_multipass_kernelILi256ELi16ELi4ELi64E21rocsparse_complex_numIfEEEv20rocsparse_direction_iiiiii21rocsparse_index_base_PKT3_PKiS9_S4_PS5_PiSB_,"axG",@progbits,_ZN9rocsparseL44csr2gebsr_wavefront_per_row_multipass_kernelILi256ELi16ELi4ELi64E21rocsparse_complex_numIfEEEv20rocsparse_direction_iiiiii21rocsparse_index_base_PKT3_PKiS9_S4_PS5_PiSB_,comdat
	.globl	_ZN9rocsparseL44csr2gebsr_wavefront_per_row_multipass_kernelILi256ELi16ELi4ELi64E21rocsparse_complex_numIfEEEv20rocsparse_direction_iiiiii21rocsparse_index_base_PKT3_PKiS9_S4_PS5_PiSB_ ; -- Begin function _ZN9rocsparseL44csr2gebsr_wavefront_per_row_multipass_kernelILi256ELi16ELi4ELi64E21rocsparse_complex_numIfEEEv20rocsparse_direction_iiiiii21rocsparse_index_base_PKT3_PKiS9_S4_PS5_PiSB_
	.p2align	8
	.type	_ZN9rocsparseL44csr2gebsr_wavefront_per_row_multipass_kernelILi256ELi16ELi4ELi64E21rocsparse_complex_numIfEEEv20rocsparse_direction_iiiiii21rocsparse_index_base_PKT3_PKiS9_S4_PS5_PiSB_,@function
_ZN9rocsparseL44csr2gebsr_wavefront_per_row_multipass_kernelILi256ELi16ELi4ELi64E21rocsparse_complex_numIfEEEv20rocsparse_direction_iiiiii21rocsparse_index_base_PKT3_PKiS9_S4_PS5_PiSB_: ; @_ZN9rocsparseL44csr2gebsr_wavefront_per_row_multipass_kernelILi256ELi16ELi4ELi64E21rocsparse_complex_numIfEEEv20rocsparse_direction_iiiiii21rocsparse_index_base_PKT3_PKiS9_S4_PS5_PiSB_
; %bb.0:
	s_load_dwordx2 s[14:15], s[0:1], 0x0
	s_load_dwordx4 s[4:7], s[0:1], 0xc
	s_load_dword s20, s[0:1], 0x1c
	s_load_dwordx2 s[8:9], s[0:1], 0x28
	v_lshrrev_b32_e32 v12, 6, v0
	v_bfe_u32 v6, v0, 2, 4
	v_lshl_or_b32 v4, s2, 2, v12
	s_waitcnt lgkmcnt(0)
	v_mad_u64_u32 v[2:3], s[2:3], v4, s6, v[6:7]
	v_cmp_gt_i32_e64 s[2:3], s15, v2
	v_cmp_gt_i32_e32 vcc, s6, v6
	s_and_b64 s[2:3], vcc, s[2:3]
	v_mov_b32_e32 v13, 0
	v_mov_b32_e32 v8, 0
	s_and_saveexec_b64 s[10:11], s[2:3]
	s_cbranch_execz .LBB153_2
; %bb.1:
	v_ashrrev_i32_e32 v3, 31, v2
	v_lshl_add_u64 v[8:9], v[2:3], 2, s[8:9]
	global_load_dword v1, v[8:9], off
	s_waitcnt vmcnt(0)
	v_subrev_u32_e32 v8, s20, v1
.LBB153_2:
	s_or_b64 exec, exec, s[10:11]
	s_and_saveexec_b64 s[10:11], s[2:3]
	s_cbranch_execz .LBB153_4
; %bb.3:
	v_ashrrev_i32_e32 v3, 31, v2
	v_lshl_add_u64 v[2:3], v[2:3], 2, s[8:9]
	global_load_dword v1, v[2:3], off offset:4
	s_waitcnt vmcnt(0)
	v_subrev_u32_e32 v13, s20, v1
.LBB153_4:
	s_or_b64 exec, exec, s[10:11]
	s_load_dword s21, s[0:1], 0x38
	v_cmp_gt_i32_e64 s[2:3], s4, v4
	v_mov_b32_e32 v2, 0
	s_and_saveexec_b64 s[8:9], s[2:3]
	s_cbranch_execz .LBB153_6
; %bb.5:
	s_load_dwordx2 s[2:3], s[0:1], 0x48
	v_ashrrev_i32_e32 v5, 31, v4
	s_waitcnt lgkmcnt(0)
	v_lshl_add_u64 v[2:3], v[4:5], 2, s[2:3]
	global_load_dword v1, v[2:3], off
	s_waitcnt vmcnt(0)
	v_subrev_u32_e32 v2, s21, v1
.LBB153_6:
	s_or_b64 exec, exec, s[8:9]
	s_cmp_lt_i32 s5, 1
	s_cbranch_scc1 .LBB153_21
; %bb.7:
	v_and_b32_e32 v4, 3, v0
	s_load_dwordx2 s[2:3], s[0:1], 0x20
	s_load_dwordx2 s[8:9], s[0:1], 0x50
	;; [unrolled: 1-line block ×4, first 2 shown]
	v_cmp_gt_u32_e64 s[0:1], s7, v4
	s_and_b64 s[12:13], vcc, s[0:1]
	s_cmp_eq_u32 s14, 0
	s_cselect_b64 vcc, -1, 0
	s_abs_i32 s4, s7
	v_cvt_f32_u32_e32 v9, s4
	v_and_b32_e32 v0, 0xc0, v0
	v_lshl_or_b32 v14, v6, 2, v0
	v_mbcnt_lo_u32_b32 v0, -1, 0
	v_rcp_iflag_f32_e32 v9, v9
	v_mbcnt_hi_u32_b32 v0, -1, v0
	v_lshlrev_b32_e32 v3, 2, v0
	v_mov_b32_e32 v5, 0
	v_or_b32_e32 v15, 12, v3
	v_or_b32_e32 v0, v14, v4
	v_or_b32_e32 v17, 0xfc, v3
	v_mul_f32_e32 v3, 0x4f7ffffe, v9
	v_lshlrev_b32_e32 v16, 3, v0
	v_mul_lo_u32 v0, v4, s6
	v_mov_b32_e32 v1, v5
	v_lshlrev_b32_e32 v10, 3, v6
	v_mul_lo_u32 v6, v6, s7
	v_cvt_u32_f32_e32 v3, v3
	s_waitcnt lgkmcnt(0)
	v_lshl_add_u64 v[0:1], v[0:1], 3, s[16:17]
	v_mov_b32_e32 v11, v5
	v_ashrrev_i32_e32 v7, 31, v6
	s_ashr_i32 s22, s7, 31
	v_lshl_add_u64 v[0:1], v[0:1], 0, v[10:11]
	v_lshl_add_u64 v[6:7], v[6:7], 3, s[16:17]
	v_lshlrev_b32_e32 v10, 3, v4
	s_mul_hi_u32 s0, s7, s6
	s_mul_i32 s1, s22, s6
	v_lshl_add_u64 v[6:7], v[6:7], 0, v[10:11]
	s_add_i32 s23, s0, s1
	s_sub_i32 s0, 0, s4
	v_cndmask_b32_e32 v0, v0, v6, vcc
	v_mul_lo_u32 v6, s0, v3
	v_mul_hi_u32 v6, v3, v6
	s_mul_i32 s6, s7, s6
	v_cndmask_b32_e32 v1, v1, v7, vcc
	v_add_u32_e32 v18, v3, v6
	s_mov_b64 s[14:15], 0
	v_mov_b32_e32 v6, v5
	v_mov_b32_e32 v7, v5
	;; [unrolled: 1-line block ×4, first 2 shown]
	s_branch .LBB153_10
.LBB153_8:                              ;   in Loop: Header=BB153_10 Depth=1
	s_or_b64 exec, exec, s[16:17]
	v_mov_b32_e32 v9, 1
.LBB153_9:                              ;   in Loop: Header=BB153_10 Depth=1
	s_or_b64 exec, exec, s[0:1]
	v_mov_b32_dpp v3, v20 row_shr:1 row_mask:0xf bank_mask:0xf
	v_min_i32_e32 v3, v3, v20
	v_add_u32_e32 v2, v9, v2
	s_waitcnt lgkmcnt(0)
	v_mov_b32_dpp v10, v3 row_shr:2 row_mask:0xf bank_mask:0xf
	v_min_i32_e32 v3, v10, v3
	s_nop 1
	v_mov_b32_dpp v10, v3 row_shr:4 row_mask:0xf bank_mask:0xe
	v_min_i32_e32 v3, v10, v3
	s_nop 1
	;; [unrolled: 3-line block ×3, first 2 shown]
	v_mov_b32_dpp v10, v3 row_bcast:15 row_mask:0xa bank_mask:0xf
	v_min_i32_e32 v3, v10, v3
	s_nop 1
	v_mov_b32_dpp v10, v3 row_bcast:31 row_mask:0xc bank_mask:0xf
	v_min_i32_e32 v3, v10, v3
	ds_bpermute_b32 v3, v17, v3
	s_waitcnt lgkmcnt(0)
	v_cmp_le_i32_e32 vcc, s5, v3
	s_or_b64 s[14:15], vcc, s[14:15]
	s_andn2_b64 exec, exec, s[14:15]
	s_cbranch_execz .LBB153_21
.LBB153_10:                             ; =>This Loop Header: Depth=1
                                        ;     Child Loop BB153_13 Depth 2
	v_add_u32_e32 v21, v8, v4
	v_cmp_lt_i32_e32 vcc, v21, v13
	v_mov_b32_e32 v20, s5
	v_mov_b32_e32 v23, v13
	ds_write_b8 v12, v5 offset:2048
	ds_write_b64 v16, v[6:7]
	s_waitcnt lgkmcnt(0)
	s_and_saveexec_b64 s[16:17], vcc
	s_cbranch_execz .LBB153_18
; %bb.11:                               ;   in Loop: Header=BB153_10 Depth=1
	v_ashrrev_i32_e32 v9, 31, v8
	v_lshl_add_u64 v[10:11], v[4:5], 0, v[8:9]
	v_mul_lo_u32 v22, v3, s7
	v_lshl_add_u64 v[8:9], v[10:11], 2, s[10:11]
	v_lshl_add_u64 v[10:11], v[10:11], 3, s[2:3]
	s_mov_b64 s[18:19], 0
	v_mov_b32_e32 v20, s5
	v_mov_b32_e32 v23, v13
	s_branch .LBB153_13
.LBB153_12:                             ;   in Loop: Header=BB153_13 Depth=2
	s_or_b64 exec, exec, s[0:1]
	v_add_u32_e32 v21, 4, v21
	v_cmp_ge_i32_e64 s[0:1], v21, v13
	s_xor_b64 s[24:25], vcc, -1
	s_or_b64 s[0:1], s[24:25], s[0:1]
	s_and_b64 s[0:1], exec, s[0:1]
	v_lshl_add_u64 v[8:9], v[8:9], 0, 16
	s_or_b64 s[18:19], s[0:1], s[18:19]
	v_lshl_add_u64 v[10:11], v[10:11], 0, 32
	s_andn2_b64 exec, exec, s[18:19]
	s_cbranch_execz .LBB153_17
.LBB153_13:                             ;   Parent Loop BB153_10 Depth=1
                                        ; =>  This Inner Loop Header: Depth=2
	global_load_dword v24, v[8:9], off
	s_waitcnt vmcnt(0)
	v_subrev_u32_e32 v24, s20, v24
	v_sub_u32_e32 v26, 0, v24
	v_max_i32_e32 v26, v24, v26
	v_mul_hi_u32 v27, v26, v18
	v_mul_lo_u32 v28, v27, s4
	v_sub_u32_e32 v26, v26, v28
	v_add_u32_e32 v29, 1, v27
	v_cmp_le_u32_e32 vcc, s4, v26
	v_subrev_u32_e32 v28, s4, v26
	v_ashrrev_i32_e32 v25, 31, v24
	v_cndmask_b32_e32 v27, v27, v29, vcc
	v_cndmask_b32_e32 v26, v26, v28, vcc
	v_add_u32_e32 v28, 1, v27
	v_cmp_le_u32_e32 vcc, s4, v26
	v_xor_b32_e32 v25, s22, v25
	s_nop 0
	v_cndmask_b32_e32 v26, v27, v28, vcc
	v_xor_b32_e32 v26, v26, v25
	v_sub_u32_e32 v26, v26, v25
	v_cmp_eq_u32_e32 vcc, v26, v3
	v_cmp_ne_u32_e64 s[0:1], v26, v3
	v_mov_b32_e32 v25, v23
	s_and_saveexec_b64 s[24:25], s[0:1]
	s_xor_b64 s[0:1], exec, s[24:25]
; %bb.14:                               ;   in Loop: Header=BB153_13 Depth=2
	v_min_i32_e32 v20, v26, v20
                                        ; implicit-def: $vgpr24
                                        ; implicit-def: $vgpr25
; %bb.15:                               ;   in Loop: Header=BB153_13 Depth=2
	s_or_saveexec_b64 s[0:1], s[0:1]
	v_mov_b32_e32 v23, v21
	s_xor_b64 exec, exec, s[0:1]
	s_cbranch_execz .LBB153_12
; %bb.16:                               ;   in Loop: Header=BB153_13 Depth=2
	global_load_dwordx2 v[26:27], v[10:11], off
	v_sub_u32_e32 v23, v24, v22
	v_add_lshl_u32 v23, v14, v23, 3
	ds_write_b8 v12, v19 offset:2048
	s_waitcnt vmcnt(0)
	ds_write_b64 v23, v[26:27]
	v_mov_b32_e32 v23, v25
	s_branch .LBB153_12
.LBB153_17:                             ;   in Loop: Header=BB153_10 Depth=1
	s_or_b64 exec, exec, s[18:19]
.LBB153_18:                             ;   in Loop: Header=BB153_10 Depth=1
	s_or_b64 exec, exec, s[16:17]
	v_mov_b32_dpp v8, v23 row_shr:1 row_mask:0xf bank_mask:0xf
	v_min_i32_e32 v8, v8, v23
	s_waitcnt lgkmcnt(0)
	ds_read_u8 v9, v12 offset:2048
	v_mov_b32_dpp v10, v8 row_shr:2 row_mask:0xf bank_mask:0xf
	v_min_i32_e32 v8, v10, v8
	ds_bpermute_b32 v8, v15, v8
	s_waitcnt lgkmcnt(1)
	v_and_b32_e32 v9, 1, v9
	v_cmp_eq_u32_e32 vcc, 1, v9
	v_mov_b32_e32 v9, 0
	s_and_saveexec_b64 s[0:1], vcc
	s_cbranch_execz .LBB153_9
; %bb.19:                               ;   in Loop: Header=BB153_10 Depth=1
	v_add_u32_e32 v9, s21, v3
	v_ashrrev_i32_e32 v3, 31, v2
	v_lshl_add_u64 v[10:11], v[2:3], 2, s[8:9]
	global_store_dword v[10:11], v9, off
	s_and_saveexec_b64 s[16:17], s[12:13]
	s_cbranch_execz .LBB153_8
; %bb.20:                               ;   in Loop: Header=BB153_10 Depth=1
	ds_read_b64 v[10:11], v16
	v_mul_lo_u32 v9, s23, v2
	v_mul_lo_u32 v3, s6, v3
	v_mad_u64_u32 v[22:23], s[18:19], s6, v2, 0
	v_add3_u32 v23, v23, v3, v9
	v_lshl_add_u64 v[22:23], v[22:23], 3, v[0:1]
	s_waitcnt lgkmcnt(0)
	global_store_dwordx2 v[22:23], v[10:11], off
	s_branch .LBB153_8
.LBB153_21:
	s_endpgm
	.section	.rodata,"a",@progbits
	.p2align	6, 0x0
	.amdhsa_kernel _ZN9rocsparseL44csr2gebsr_wavefront_per_row_multipass_kernelILi256ELi16ELi4ELi64E21rocsparse_complex_numIfEEEv20rocsparse_direction_iiiiii21rocsparse_index_base_PKT3_PKiS9_S4_PS5_PiSB_
		.amdhsa_group_segment_fixed_size 2052
		.amdhsa_private_segment_fixed_size 0
		.amdhsa_kernarg_size 88
		.amdhsa_user_sgpr_count 2
		.amdhsa_user_sgpr_dispatch_ptr 0
		.amdhsa_user_sgpr_queue_ptr 0
		.amdhsa_user_sgpr_kernarg_segment_ptr 1
		.amdhsa_user_sgpr_dispatch_id 0
		.amdhsa_user_sgpr_kernarg_preload_length 0
		.amdhsa_user_sgpr_kernarg_preload_offset 0
		.amdhsa_user_sgpr_private_segment_size 0
		.amdhsa_uses_dynamic_stack 0
		.amdhsa_enable_private_segment 0
		.amdhsa_system_sgpr_workgroup_id_x 1
		.amdhsa_system_sgpr_workgroup_id_y 0
		.amdhsa_system_sgpr_workgroup_id_z 0
		.amdhsa_system_sgpr_workgroup_info 0
		.amdhsa_system_vgpr_workitem_id 0
		.amdhsa_next_free_vgpr 30
		.amdhsa_next_free_sgpr 26
		.amdhsa_accum_offset 32
		.amdhsa_reserve_vcc 1
		.amdhsa_float_round_mode_32 0
		.amdhsa_float_round_mode_16_64 0
		.amdhsa_float_denorm_mode_32 3
		.amdhsa_float_denorm_mode_16_64 3
		.amdhsa_dx10_clamp 1
		.amdhsa_ieee_mode 1
		.amdhsa_fp16_overflow 0
		.amdhsa_tg_split 0
		.amdhsa_exception_fp_ieee_invalid_op 0
		.amdhsa_exception_fp_denorm_src 0
		.amdhsa_exception_fp_ieee_div_zero 0
		.amdhsa_exception_fp_ieee_overflow 0
		.amdhsa_exception_fp_ieee_underflow 0
		.amdhsa_exception_fp_ieee_inexact 0
		.amdhsa_exception_int_div_zero 0
	.end_amdhsa_kernel
	.section	.text._ZN9rocsparseL44csr2gebsr_wavefront_per_row_multipass_kernelILi256ELi16ELi4ELi64E21rocsparse_complex_numIfEEEv20rocsparse_direction_iiiiii21rocsparse_index_base_PKT3_PKiS9_S4_PS5_PiSB_,"axG",@progbits,_ZN9rocsparseL44csr2gebsr_wavefront_per_row_multipass_kernelILi256ELi16ELi4ELi64E21rocsparse_complex_numIfEEEv20rocsparse_direction_iiiiii21rocsparse_index_base_PKT3_PKiS9_S4_PS5_PiSB_,comdat
.Lfunc_end153:
	.size	_ZN9rocsparseL44csr2gebsr_wavefront_per_row_multipass_kernelILi256ELi16ELi4ELi64E21rocsparse_complex_numIfEEEv20rocsparse_direction_iiiiii21rocsparse_index_base_PKT3_PKiS9_S4_PS5_PiSB_, .Lfunc_end153-_ZN9rocsparseL44csr2gebsr_wavefront_per_row_multipass_kernelILi256ELi16ELi4ELi64E21rocsparse_complex_numIfEEEv20rocsparse_direction_iiiiii21rocsparse_index_base_PKT3_PKiS9_S4_PS5_PiSB_
                                        ; -- End function
	.section	.AMDGPU.csdata,"",@progbits
; Kernel info:
; codeLenInByte = 1188
; NumSgprs: 32
; NumVgprs: 30
; NumAgprs: 0
; TotalNumVgprs: 30
; ScratchSize: 0
; MemoryBound: 0
; FloatMode: 240
; IeeeMode: 1
; LDSByteSize: 2052 bytes/workgroup (compile time only)
; SGPRBlocks: 3
; VGPRBlocks: 3
; NumSGPRsForWavesPerEU: 32
; NumVGPRsForWavesPerEU: 30
; AccumOffset: 32
; Occupancy: 8
; WaveLimiterHint : 0
; COMPUTE_PGM_RSRC2:SCRATCH_EN: 0
; COMPUTE_PGM_RSRC2:USER_SGPR: 2
; COMPUTE_PGM_RSRC2:TRAP_HANDLER: 0
; COMPUTE_PGM_RSRC2:TGID_X_EN: 1
; COMPUTE_PGM_RSRC2:TGID_Y_EN: 0
; COMPUTE_PGM_RSRC2:TGID_Z_EN: 0
; COMPUTE_PGM_RSRC2:TIDIG_COMP_CNT: 0
; COMPUTE_PGM_RSRC3_GFX90A:ACCUM_OFFSET: 7
; COMPUTE_PGM_RSRC3_GFX90A:TG_SPLIT: 0
	.section	.text._ZN9rocsparseL44csr2gebsr_wavefront_per_row_multipass_kernelILi256ELi16ELi4ELi32E21rocsparse_complex_numIfEEEv20rocsparse_direction_iiiiii21rocsparse_index_base_PKT3_PKiS9_S4_PS5_PiSB_,"axG",@progbits,_ZN9rocsparseL44csr2gebsr_wavefront_per_row_multipass_kernelILi256ELi16ELi4ELi32E21rocsparse_complex_numIfEEEv20rocsparse_direction_iiiiii21rocsparse_index_base_PKT3_PKiS9_S4_PS5_PiSB_,comdat
	.globl	_ZN9rocsparseL44csr2gebsr_wavefront_per_row_multipass_kernelILi256ELi16ELi4ELi32E21rocsparse_complex_numIfEEEv20rocsparse_direction_iiiiii21rocsparse_index_base_PKT3_PKiS9_S4_PS5_PiSB_ ; -- Begin function _ZN9rocsparseL44csr2gebsr_wavefront_per_row_multipass_kernelILi256ELi16ELi4ELi32E21rocsparse_complex_numIfEEEv20rocsparse_direction_iiiiii21rocsparse_index_base_PKT3_PKiS9_S4_PS5_PiSB_
	.p2align	8
	.type	_ZN9rocsparseL44csr2gebsr_wavefront_per_row_multipass_kernelILi256ELi16ELi4ELi32E21rocsparse_complex_numIfEEEv20rocsparse_direction_iiiiii21rocsparse_index_base_PKT3_PKiS9_S4_PS5_PiSB_,@function
_ZN9rocsparseL44csr2gebsr_wavefront_per_row_multipass_kernelILi256ELi16ELi4ELi32E21rocsparse_complex_numIfEEEv20rocsparse_direction_iiiiii21rocsparse_index_base_PKT3_PKiS9_S4_PS5_PiSB_: ; @_ZN9rocsparseL44csr2gebsr_wavefront_per_row_multipass_kernelILi256ELi16ELi4ELi32E21rocsparse_complex_numIfEEEv20rocsparse_direction_iiiiii21rocsparse_index_base_PKT3_PKiS9_S4_PS5_PiSB_
; %bb.0:
	s_load_dwordx2 s[4:5], s[0:1], 0x0
	s_load_dwordx4 s[8:11], s[0:1], 0xc
	s_load_dword s24, s[0:1], 0x1c
	s_load_dwordx2 s[6:7], s[0:1], 0x28
	v_lshrrev_b32_e32 v18, 5, v0
	v_bfe_u32 v6, v0, 1, 4
	v_lshl_or_b32 v4, s2, 3, v18
	s_waitcnt lgkmcnt(0)
	v_mad_u64_u32 v[2:3], s[2:3], v4, s10, v[6:7]
	v_cmp_gt_i32_e32 vcc, s5, v2
	v_cmp_gt_i32_e64 s[2:3], s10, v6
	s_and_b64 s[12:13], s[2:3], vcc
	v_mov_b32_e32 v19, 0
	v_mov_b32_e32 v16, 0
	s_and_saveexec_b64 s[14:15], s[12:13]
	s_cbranch_execz .LBB154_2
; %bb.1:
	v_ashrrev_i32_e32 v3, 31, v2
	v_lshl_add_u64 v[8:9], v[2:3], 2, s[6:7]
	global_load_dword v1, v[8:9], off
	s_waitcnt vmcnt(0)
	v_subrev_u32_e32 v16, s24, v1
.LBB154_2:
	s_or_b64 exec, exec, s[14:15]
	s_and_saveexec_b64 s[14:15], s[12:13]
	s_cbranch_execz .LBB154_4
; %bb.3:
	v_ashrrev_i32_e32 v3, 31, v2
	v_lshl_add_u64 v[2:3], v[2:3], 2, s[6:7]
	global_load_dword v1, v[2:3], off offset:4
	s_waitcnt vmcnt(0)
	v_subrev_u32_e32 v19, s24, v1
.LBB154_4:
	s_or_b64 exec, exec, s[14:15]
	s_load_dword s25, s[0:1], 0x38
	v_cmp_gt_i32_e32 vcc, s8, v4
	v_mov_b32_e32 v2, 0
	s_and_saveexec_b64 s[6:7], vcc
	s_cbranch_execz .LBB154_6
; %bb.5:
	s_load_dwordx2 s[12:13], s[0:1], 0x48
	v_ashrrev_i32_e32 v5, 31, v4
	s_waitcnt lgkmcnt(0)
	v_lshl_add_u64 v[2:3], v[4:5], 2, s[12:13]
	global_load_dword v1, v[2:3], off
	s_waitcnt vmcnt(0)
	v_subrev_u32_e32 v2, s25, v1
.LBB154_6:
	s_or_b64 exec, exec, s[6:7]
	s_cmp_lt_i32 s9, 1
	s_cbranch_scc1 .LBB154_25
; %bb.7:
	v_and_b32_e32 v20, 1, v0
	v_lshlrev_b32_e32 v0, 6, v18
	v_lshl_or_b32 v21, v6, 2, v0
	v_mbcnt_lo_u32_b32 v0, -1, 0
	v_mbcnt_hi_u32_b32 v0, -1, v0
	s_cmp_eq_u32 s4, 0
	v_lshlrev_b32_e32 v3, 2, v0
	s_cselect_b64 vcc, -1, 0
	s_abs_i32 s28, s11
	v_or_b32_e32 v22, 4, v3
	v_or_b32_e32 v23, 0x7c, v3
	v_cvt_f32_u32_e32 v3, s28
	s_load_dwordx2 s[6:7], s[0:1], 0x20
	s_load_dwordx2 s[12:13], s[0:1], 0x50
	;; [unrolled: 1-line block ×4, first 2 shown]
	s_ashr_i32 s8, s11, 31
	s_mul_hi_u32 s0, s11, s10
	v_rcp_iflag_f32_e32 v3, v3
	s_mul_i32 s1, s8, s10
	v_lshlrev_b32_e32 v0, 3, v6
	v_mul_lo_u32 v6, v6, s11
	v_mul_f32_e32 v3, 0x4f7ffffe, v3
	v_cvt_u32_f32_e32 v3, v3
	v_mov_b32_e32 v1, 0
	s_add_i32 s26, s0, s1
	v_ashrrev_i32_e32 v7, 31, v6
	v_cmp_gt_u32_e64 s[0:1], s11, v20
	v_or_b32_e32 v8, v21, v20
	s_waitcnt lgkmcnt(0)
	v_lshl_add_u64 v[4:5], s[16:17], 0, v[0:1]
	v_lshl_add_u64 v[6:7], v[6:7], 3, s[16:17]
	s_and_b64 s[16:17], s[0:1], s[2:3]
	s_sub_i32 s0, 0, s28
	v_lshlrev_b32_e32 v0, 3, v20
	v_lshlrev_b32_e32 v24, 3, v8
	v_or_b32_e32 v8, 2, v20
	v_mul_lo_u32 v10, s0, v3
	v_lshl_add_u64 v[6:7], v[6:7], 0, v[0:1]
	v_mul_lo_u32 v0, v20, s10
	v_cmp_gt_u32_e64 s[4:5], s11, v8
	v_mul_hi_u32 v10, v3, v10
	s_mul_i32 s27, s11, s10
	v_lshl_add_u32 v8, s10, 1, v0
	v_mov_b32_e32 v9, v1
	s_and_b64 s[4:5], s[2:3], s[4:5]
	v_add_u32_e32 v25, v3, v10
	v_or_b32_e32 v26, -2, v20
	s_mov_b64 s[18:19], 0
	v_mov_b32_e32 v10, v1
	v_mov_b32_e32 v11, v1
	;; [unrolled: 1-line block ×4, first 2 shown]
	s_branch .LBB154_10
.LBB154_8:                              ;   in Loop: Header=BB154_10 Depth=1
	s_or_b64 exec, exec, s[0:1]
	v_mov_b32_e32 v12, 1
.LBB154_9:                              ;   in Loop: Header=BB154_10 Depth=1
	s_or_b64 exec, exec, s[2:3]
	v_mov_b32_dpp v3, v28 row_shr:1 row_mask:0xf bank_mask:0xf
	v_min_i32_e32 v3, v3, v28
	v_add_u32_e32 v2, v12, v2
	s_waitcnt lgkmcnt(0)
	v_mov_b32_dpp v13, v3 row_shr:2 row_mask:0xf bank_mask:0xf
	v_min_i32_e32 v3, v13, v3
	s_nop 1
	v_mov_b32_dpp v13, v3 row_shr:4 row_mask:0xf bank_mask:0xe
	v_min_i32_e32 v3, v13, v3
	s_nop 1
	;; [unrolled: 3-line block ×3, first 2 shown]
	v_mov_b32_dpp v13, v3 row_bcast:15 row_mask:0xa bank_mask:0xf
	v_min_i32_e32 v3, v13, v3
	ds_bpermute_b32 v3, v23, v3
	s_waitcnt lgkmcnt(0)
	v_cmp_le_i32_e64 s[0:1], s9, v3
	s_or_b64 s[18:19], s[0:1], s[18:19]
	s_andn2_b64 exec, exec, s[18:19]
	s_cbranch_execz .LBB154_25
.LBB154_10:                             ; =>This Loop Header: Depth=1
                                        ;     Child Loop BB154_11 Depth 2
                                        ;     Child Loop BB154_15 Depth 2
	s_mov_b64 s[2:3], 0
	v_mov_b32_e32 v12, v24
	v_mov_b32_e32 v13, v26
	ds_write_b8 v18, v1 offset:4096
.LBB154_11:                             ;   Parent Loop BB154_10 Depth=1
                                        ; =>  This Inner Loop Header: Depth=2
	v_add_co_u32_e64 v13, s[0:1], 2, v13
	s_xor_b64 s[0:1], s[0:1], -1
	s_and_b64 s[0:1], exec, s[0:1]
	ds_write_b64 v12, v[10:11]
	s_or_b64 s[2:3], s[0:1], s[2:3]
	v_add_u32_e32 v12, 16, v12
	s_andn2_b64 exec, exec, s[2:3]
	s_cbranch_execnz .LBB154_11
; %bb.12:                               ;   in Loop: Header=BB154_10 Depth=1
	s_or_b64 exec, exec, s[2:3]
	v_add_u32_e32 v12, v16, v20
	v_cmp_lt_i32_e64 s[0:1], v12, v19
	v_mov_b32_e32 v28, s9
	v_mov_b32_e32 v13, v19
	s_waitcnt lgkmcnt(0)
	s_and_saveexec_b64 s[20:21], s[0:1]
	s_cbranch_execz .LBB154_20
; %bb.13:                               ;   in Loop: Header=BB154_10 Depth=1
	v_ashrrev_i32_e32 v13, 31, v12
	v_mul_lo_u32 v29, v3, s11
	v_lshl_add_u64 v[14:15], v[12:13], 2, s[14:15]
	v_lshl_add_u64 v[16:17], v[12:13], 3, s[6:7]
	s_mov_b64 s[22:23], 0
	v_mov_b32_e32 v28, s9
	v_mov_b32_e32 v13, v19
	s_branch .LBB154_15
.LBB154_14:                             ;   in Loop: Header=BB154_15 Depth=2
	s_or_b64 exec, exec, s[2:3]
	v_add_u32_e32 v12, 2, v12
	v_cmp_ge_i32_e64 s[2:3], v12, v19
	s_xor_b64 s[0:1], s[0:1], -1
	s_or_b64 s[0:1], s[0:1], s[2:3]
	s_and_b64 s[0:1], exec, s[0:1]
	v_lshl_add_u64 v[14:15], v[14:15], 0, 8
	s_or_b64 s[22:23], s[0:1], s[22:23]
	v_lshl_add_u64 v[16:17], v[16:17], 0, 16
	s_andn2_b64 exec, exec, s[22:23]
	s_cbranch_execz .LBB154_19
.LBB154_15:                             ;   Parent Loop BB154_10 Depth=1
                                        ; =>  This Inner Loop Header: Depth=2
	global_load_dword v30, v[14:15], off
	s_waitcnt vmcnt(0)
	v_subrev_u32_e32 v30, s24, v30
	v_sub_u32_e32 v32, 0, v30
	v_max_i32_e32 v32, v30, v32
	v_mul_hi_u32 v33, v32, v25
	v_mul_lo_u32 v34, v33, s28
	v_sub_u32_e32 v32, v32, v34
	v_add_u32_e32 v35, 1, v33
	v_cmp_le_u32_e64 s[0:1], s28, v32
	v_subrev_u32_e32 v34, s28, v32
	v_ashrrev_i32_e32 v31, 31, v30
	v_cndmask_b32_e64 v33, v33, v35, s[0:1]
	v_cndmask_b32_e64 v32, v32, v34, s[0:1]
	v_add_u32_e32 v34, 1, v33
	v_cmp_le_u32_e64 s[0:1], s28, v32
	v_xor_b32_e32 v31, s8, v31
	s_nop 0
	v_cndmask_b32_e64 v32, v33, v34, s[0:1]
	v_xor_b32_e32 v32, v32, v31
	v_sub_u32_e32 v32, v32, v31
	v_cmp_eq_u32_e64 s[0:1], v32, v3
	v_cmp_ne_u32_e64 s[2:3], v32, v3
	v_mov_b32_e32 v31, v13
	s_and_saveexec_b64 s[30:31], s[2:3]
	s_xor_b64 s[2:3], exec, s[30:31]
; %bb.16:                               ;   in Loop: Header=BB154_15 Depth=2
	v_min_i32_e32 v28, v32, v28
                                        ; implicit-def: $vgpr30
                                        ; implicit-def: $vgpr31
; %bb.17:                               ;   in Loop: Header=BB154_15 Depth=2
	s_or_saveexec_b64 s[2:3], s[2:3]
	v_mov_b32_e32 v13, v12
	s_xor_b64 exec, exec, s[2:3]
	s_cbranch_execz .LBB154_14
; %bb.18:                               ;   in Loop: Header=BB154_15 Depth=2
	global_load_dwordx2 v[32:33], v[16:17], off
	v_sub_u32_e32 v13, v30, v29
	v_add_lshl_u32 v13, v21, v13, 3
	ds_write_b8 v18, v27 offset:4096
	s_waitcnt vmcnt(0)
	ds_write_b64 v13, v[32:33]
	v_mov_b32_e32 v13, v31
	s_branch .LBB154_14
.LBB154_19:                             ;   in Loop: Header=BB154_10 Depth=1
	s_or_b64 exec, exec, s[22:23]
.LBB154_20:                             ;   in Loop: Header=BB154_10 Depth=1
	s_or_b64 exec, exec, s[20:21]
	s_waitcnt lgkmcnt(0)
	ds_read_u8 v12, v18 offset:4096
	v_mov_b32_dpp v14, v13 row_shr:1 row_mask:0xf bank_mask:0xf
	v_min_i32_e32 v13, v14, v13
	ds_bpermute_b32 v16, v22, v13
	s_waitcnt lgkmcnt(1)
	v_and_b32_e32 v12, 1, v12
	v_cmp_eq_u32_e64 s[0:1], 1, v12
	v_mov_b32_e32 v12, 0
	s_and_saveexec_b64 s[2:3], s[0:1]
	s_cbranch_execz .LBB154_9
; %bb.21:                               ;   in Loop: Header=BB154_10 Depth=1
	v_add_u32_e32 v14, s25, v3
	v_ashrrev_i32_e32 v3, 31, v2
	v_lshl_add_u64 v[12:13], v[2:3], 2, s[12:13]
	global_store_dword v[12:13], v14, off
	v_mul_lo_u32 v14, s26, v2
	v_mul_lo_u32 v3, s27, v3
	v_mad_u64_u32 v[12:13], s[0:1], s27, v2, 0
	v_add3_u32 v13, v13, v3, v14
	v_lshlrev_b64 v[14:15], 3, v[12:13]
	v_lshl_add_u64 v[12:13], v[4:5], 0, v[14:15]
	v_lshl_add_u64 v[14:15], v[6:7], 0, v[14:15]
	s_and_saveexec_b64 s[0:1], s[16:17]
	s_cbranch_execz .LBB154_23
; %bb.22:                               ;   in Loop: Header=BB154_10 Depth=1
	ds_read_b64 v[30:31], v24
	v_lshl_add_u64 v[32:33], v[0:1], 3, v[12:13]
	v_cndmask_b32_e32 v33, v33, v15, vcc
	v_cndmask_b32_e32 v32, v32, v14, vcc
	s_waitcnt lgkmcnt(0)
	global_store_dwordx2 v[32:33], v[30:31], off
.LBB154_23:                             ;   in Loop: Header=BB154_10 Depth=1
	s_or_b64 exec, exec, s[0:1]
	s_and_saveexec_b64 s[0:1], s[4:5]
	s_cbranch_execz .LBB154_8
; %bb.24:                               ;   in Loop: Header=BB154_10 Depth=1
	ds_read_b64 v[30:31], v24 offset:16
	v_lshl_add_u64 v[14:15], v[14:15], 0, 16
	v_lshl_add_u64 v[12:13], v[8:9], 3, v[12:13]
	v_cndmask_b32_e32 v13, v13, v15, vcc
	v_cndmask_b32_e32 v12, v12, v14, vcc
	s_waitcnt lgkmcnt(0)
	global_store_dwordx2 v[12:13], v[30:31], off
	s_branch .LBB154_8
.LBB154_25:
	s_endpgm
	.section	.rodata,"a",@progbits
	.p2align	6, 0x0
	.amdhsa_kernel _ZN9rocsparseL44csr2gebsr_wavefront_per_row_multipass_kernelILi256ELi16ELi4ELi32E21rocsparse_complex_numIfEEEv20rocsparse_direction_iiiiii21rocsparse_index_base_PKT3_PKiS9_S4_PS5_PiSB_
		.amdhsa_group_segment_fixed_size 4104
		.amdhsa_private_segment_fixed_size 0
		.amdhsa_kernarg_size 88
		.amdhsa_user_sgpr_count 2
		.amdhsa_user_sgpr_dispatch_ptr 0
		.amdhsa_user_sgpr_queue_ptr 0
		.amdhsa_user_sgpr_kernarg_segment_ptr 1
		.amdhsa_user_sgpr_dispatch_id 0
		.amdhsa_user_sgpr_kernarg_preload_length 0
		.amdhsa_user_sgpr_kernarg_preload_offset 0
		.amdhsa_user_sgpr_private_segment_size 0
		.amdhsa_uses_dynamic_stack 0
		.amdhsa_enable_private_segment 0
		.amdhsa_system_sgpr_workgroup_id_x 1
		.amdhsa_system_sgpr_workgroup_id_y 0
		.amdhsa_system_sgpr_workgroup_id_z 0
		.amdhsa_system_sgpr_workgroup_info 0
		.amdhsa_system_vgpr_workitem_id 0
		.amdhsa_next_free_vgpr 36
		.amdhsa_next_free_sgpr 32
		.amdhsa_accum_offset 36
		.amdhsa_reserve_vcc 1
		.amdhsa_float_round_mode_32 0
		.amdhsa_float_round_mode_16_64 0
		.amdhsa_float_denorm_mode_32 3
		.amdhsa_float_denorm_mode_16_64 3
		.amdhsa_dx10_clamp 1
		.amdhsa_ieee_mode 1
		.amdhsa_fp16_overflow 0
		.amdhsa_tg_split 0
		.amdhsa_exception_fp_ieee_invalid_op 0
		.amdhsa_exception_fp_denorm_src 0
		.amdhsa_exception_fp_ieee_div_zero 0
		.amdhsa_exception_fp_ieee_overflow 0
		.amdhsa_exception_fp_ieee_underflow 0
		.amdhsa_exception_fp_ieee_inexact 0
		.amdhsa_exception_int_div_zero 0
	.end_amdhsa_kernel
	.section	.text._ZN9rocsparseL44csr2gebsr_wavefront_per_row_multipass_kernelILi256ELi16ELi4ELi32E21rocsparse_complex_numIfEEEv20rocsparse_direction_iiiiii21rocsparse_index_base_PKT3_PKiS9_S4_PS5_PiSB_,"axG",@progbits,_ZN9rocsparseL44csr2gebsr_wavefront_per_row_multipass_kernelILi256ELi16ELi4ELi32E21rocsparse_complex_numIfEEEv20rocsparse_direction_iiiiii21rocsparse_index_base_PKT3_PKiS9_S4_PS5_PiSB_,comdat
.Lfunc_end154:
	.size	_ZN9rocsparseL44csr2gebsr_wavefront_per_row_multipass_kernelILi256ELi16ELi4ELi32E21rocsparse_complex_numIfEEEv20rocsparse_direction_iiiiii21rocsparse_index_base_PKT3_PKiS9_S4_PS5_PiSB_, .Lfunc_end154-_ZN9rocsparseL44csr2gebsr_wavefront_per_row_multipass_kernelILi256ELi16ELi4ELi32E21rocsparse_complex_numIfEEEv20rocsparse_direction_iiiiii21rocsparse_index_base_PKT3_PKiS9_S4_PS5_PiSB_
                                        ; -- End function
	.section	.AMDGPU.csdata,"",@progbits
; Kernel info:
; codeLenInByte = 1324
; NumSgprs: 38
; NumVgprs: 36
; NumAgprs: 0
; TotalNumVgprs: 36
; ScratchSize: 0
; MemoryBound: 0
; FloatMode: 240
; IeeeMode: 1
; LDSByteSize: 4104 bytes/workgroup (compile time only)
; SGPRBlocks: 4
; VGPRBlocks: 4
; NumSGPRsForWavesPerEU: 38
; NumVGPRsForWavesPerEU: 36
; AccumOffset: 36
; Occupancy: 8
; WaveLimiterHint : 0
; COMPUTE_PGM_RSRC2:SCRATCH_EN: 0
; COMPUTE_PGM_RSRC2:USER_SGPR: 2
; COMPUTE_PGM_RSRC2:TRAP_HANDLER: 0
; COMPUTE_PGM_RSRC2:TGID_X_EN: 1
; COMPUTE_PGM_RSRC2:TGID_Y_EN: 0
; COMPUTE_PGM_RSRC2:TGID_Z_EN: 0
; COMPUTE_PGM_RSRC2:TIDIG_COMP_CNT: 0
; COMPUTE_PGM_RSRC3_GFX90A:ACCUM_OFFSET: 8
; COMPUTE_PGM_RSRC3_GFX90A:TG_SPLIT: 0
	.section	.text._ZN9rocsparseL44csr2gebsr_wavefront_per_row_multipass_kernelILi256ELi16ELi8ELi64E21rocsparse_complex_numIfEEEv20rocsparse_direction_iiiiii21rocsparse_index_base_PKT3_PKiS9_S4_PS5_PiSB_,"axG",@progbits,_ZN9rocsparseL44csr2gebsr_wavefront_per_row_multipass_kernelILi256ELi16ELi8ELi64E21rocsparse_complex_numIfEEEv20rocsparse_direction_iiiiii21rocsparse_index_base_PKT3_PKiS9_S4_PS5_PiSB_,comdat
	.globl	_ZN9rocsparseL44csr2gebsr_wavefront_per_row_multipass_kernelILi256ELi16ELi8ELi64E21rocsparse_complex_numIfEEEv20rocsparse_direction_iiiiii21rocsparse_index_base_PKT3_PKiS9_S4_PS5_PiSB_ ; -- Begin function _ZN9rocsparseL44csr2gebsr_wavefront_per_row_multipass_kernelILi256ELi16ELi8ELi64E21rocsparse_complex_numIfEEEv20rocsparse_direction_iiiiii21rocsparse_index_base_PKT3_PKiS9_S4_PS5_PiSB_
	.p2align	8
	.type	_ZN9rocsparseL44csr2gebsr_wavefront_per_row_multipass_kernelILi256ELi16ELi8ELi64E21rocsparse_complex_numIfEEEv20rocsparse_direction_iiiiii21rocsparse_index_base_PKT3_PKiS9_S4_PS5_PiSB_,@function
_ZN9rocsparseL44csr2gebsr_wavefront_per_row_multipass_kernelILi256ELi16ELi8ELi64E21rocsparse_complex_numIfEEEv20rocsparse_direction_iiiiii21rocsparse_index_base_PKT3_PKiS9_S4_PS5_PiSB_: ; @_ZN9rocsparseL44csr2gebsr_wavefront_per_row_multipass_kernelILi256ELi16ELi8ELi64E21rocsparse_complex_numIfEEEv20rocsparse_direction_iiiiii21rocsparse_index_base_PKT3_PKiS9_S4_PS5_PiSB_
; %bb.0:
	s_load_dwordx2 s[4:5], s[0:1], 0x0
	s_load_dwordx4 s[8:11], s[0:1], 0xc
	s_load_dword s24, s[0:1], 0x1c
	s_load_dwordx2 s[6:7], s[0:1], 0x28
	v_lshrrev_b32_e32 v18, 6, v0
	v_bfe_u32 v6, v0, 2, 4
	v_lshl_or_b32 v4, s2, 2, v18
	s_waitcnt lgkmcnt(0)
	v_mad_u64_u32 v[2:3], s[2:3], v4, s10, v[6:7]
	v_cmp_gt_i32_e32 vcc, s5, v2
	v_cmp_gt_i32_e64 s[2:3], s10, v6
	s_and_b64 s[12:13], s[2:3], vcc
	v_mov_b32_e32 v19, 0
	v_mov_b32_e32 v16, 0
	s_and_saveexec_b64 s[14:15], s[12:13]
	s_cbranch_execz .LBB155_2
; %bb.1:
	v_ashrrev_i32_e32 v3, 31, v2
	v_lshl_add_u64 v[8:9], v[2:3], 2, s[6:7]
	global_load_dword v1, v[8:9], off
	s_waitcnt vmcnt(0)
	v_subrev_u32_e32 v16, s24, v1
.LBB155_2:
	s_or_b64 exec, exec, s[14:15]
	s_and_saveexec_b64 s[14:15], s[12:13]
	s_cbranch_execz .LBB155_4
; %bb.3:
	v_ashrrev_i32_e32 v3, 31, v2
	v_lshl_add_u64 v[2:3], v[2:3], 2, s[6:7]
	global_load_dword v1, v[2:3], off offset:4
	s_waitcnt vmcnt(0)
	v_subrev_u32_e32 v19, s24, v1
.LBB155_4:
	s_or_b64 exec, exec, s[14:15]
	s_load_dword s25, s[0:1], 0x38
	v_cmp_gt_i32_e32 vcc, s8, v4
	v_mov_b32_e32 v2, 0
	s_and_saveexec_b64 s[6:7], vcc
	s_cbranch_execz .LBB155_6
; %bb.5:
	s_load_dwordx2 s[12:13], s[0:1], 0x48
	v_ashrrev_i32_e32 v5, 31, v4
	s_waitcnt lgkmcnt(0)
	v_lshl_add_u64 v[2:3], v[4:5], 2, s[12:13]
	global_load_dword v1, v[2:3], off
	s_waitcnt vmcnt(0)
	v_subrev_u32_e32 v2, s25, v1
.LBB155_6:
	s_or_b64 exec, exec, s[6:7]
	s_cmp_lt_i32 s9, 1
	s_cbranch_scc1 .LBB155_25
; %bb.7:
	v_mbcnt_lo_u32_b32 v3, -1, 0
	v_mbcnt_hi_u32_b32 v3, -1, v3
	s_cmp_eq_u32 s4, 0
	v_lshlrev_b32_e32 v3, 2, v3
	s_cselect_b64 vcc, -1, 0
	s_abs_i32 s28, s11
	v_or_b32_e32 v22, 12, v3
	v_or_b32_e32 v23, 0xfc, v3
	v_cvt_f32_u32_e32 v3, s28
	s_load_dwordx2 s[6:7], s[0:1], 0x20
	s_load_dwordx2 s[12:13], s[0:1], 0x50
	;; [unrolled: 1-line block ×4, first 2 shown]
	s_ashr_i32 s8, s11, 31
	v_and_b32_e32 v20, 3, v0
	v_rcp_iflag_f32_e32 v3, v3
	v_lshlrev_b32_e32 v0, 3, v6
	s_mul_hi_u32 s0, s11, s10
	s_mul_i32 s1, s8, s10
	v_mul_f32_e32 v3, 0x4f7ffffe, v3
	v_cvt_u32_f32_e32 v3, v3
	v_mul_lo_u32 v6, v6, s11
	v_lshl_or_b32 v21, v18, 7, v0
	v_mov_b32_e32 v1, 0
	s_add_i32 s26, s0, s1
	v_ashrrev_i32_e32 v7, 31, v6
	v_cmp_gt_u32_e64 s[0:1], s11, v20
	v_or_b32_e32 v8, v21, v20
	s_waitcnt lgkmcnt(0)
	v_lshl_add_u64 v[4:5], s[16:17], 0, v[0:1]
	v_lshl_add_u64 v[6:7], v[6:7], 3, s[16:17]
	s_and_b64 s[16:17], s[0:1], s[2:3]
	s_sub_i32 s0, 0, s28
	v_lshlrev_b32_e32 v0, 3, v20
	v_lshlrev_b32_e32 v24, 3, v8
	v_or_b32_e32 v8, 4, v20
	v_mul_lo_u32 v10, s0, v3
	v_lshl_add_u64 v[6:7], v[6:7], 0, v[0:1]
	v_mul_lo_u32 v0, v20, s10
	v_cmp_gt_u32_e64 s[4:5], s11, v8
	v_mul_hi_u32 v10, v3, v10
	s_mul_i32 s27, s11, s10
	v_lshl_add_u32 v8, s10, 2, v0
	v_mov_b32_e32 v9, v1
	s_and_b64 s[4:5], s[2:3], s[4:5]
	v_add_u32_e32 v25, v3, v10
	v_or_b32_e32 v26, -4, v20
	s_mov_b64 s[18:19], 0
	v_mov_b32_e32 v10, v1
	v_mov_b32_e32 v11, v1
	;; [unrolled: 1-line block ×4, first 2 shown]
	s_branch .LBB155_10
.LBB155_8:                              ;   in Loop: Header=BB155_10 Depth=1
	s_or_b64 exec, exec, s[0:1]
	v_mov_b32_e32 v12, 1
.LBB155_9:                              ;   in Loop: Header=BB155_10 Depth=1
	s_or_b64 exec, exec, s[2:3]
	v_mov_b32_dpp v3, v28 row_shr:1 row_mask:0xf bank_mask:0xf
	v_min_i32_e32 v3, v3, v28
	v_add_u32_e32 v2, v12, v2
	s_waitcnt lgkmcnt(0)
	v_mov_b32_dpp v13, v3 row_shr:2 row_mask:0xf bank_mask:0xf
	v_min_i32_e32 v3, v13, v3
	s_nop 1
	v_mov_b32_dpp v13, v3 row_shr:4 row_mask:0xf bank_mask:0xe
	v_min_i32_e32 v3, v13, v3
	s_nop 1
	;; [unrolled: 3-line block ×3, first 2 shown]
	v_mov_b32_dpp v13, v3 row_bcast:15 row_mask:0xa bank_mask:0xf
	v_min_i32_e32 v3, v13, v3
	s_nop 1
	v_mov_b32_dpp v13, v3 row_bcast:31 row_mask:0xc bank_mask:0xf
	v_min_i32_e32 v3, v13, v3
	ds_bpermute_b32 v3, v23, v3
	s_waitcnt lgkmcnt(0)
	v_cmp_le_i32_e64 s[0:1], s9, v3
	s_or_b64 s[18:19], s[0:1], s[18:19]
	s_andn2_b64 exec, exec, s[18:19]
	s_cbranch_execz .LBB155_25
.LBB155_10:                             ; =>This Loop Header: Depth=1
                                        ;     Child Loop BB155_11 Depth 2
                                        ;     Child Loop BB155_15 Depth 2
	s_mov_b64 s[2:3], 0
	v_mov_b32_e32 v12, v24
	v_mov_b32_e32 v13, v26
	ds_write_b8 v18, v1 offset:4096
.LBB155_11:                             ;   Parent Loop BB155_10 Depth=1
                                        ; =>  This Inner Loop Header: Depth=2
	v_add_co_u32_e64 v13, s[0:1], 4, v13
	s_xor_b64 s[0:1], s[0:1], -1
	s_and_b64 s[0:1], exec, s[0:1]
	ds_write_b64 v12, v[10:11]
	s_or_b64 s[2:3], s[0:1], s[2:3]
	v_add_u32_e32 v12, 32, v12
	s_andn2_b64 exec, exec, s[2:3]
	s_cbranch_execnz .LBB155_11
; %bb.12:                               ;   in Loop: Header=BB155_10 Depth=1
	s_or_b64 exec, exec, s[2:3]
	v_add_u32_e32 v12, v16, v20
	v_cmp_lt_i32_e64 s[0:1], v12, v19
	v_mov_b32_e32 v28, s9
	v_mov_b32_e32 v13, v19
	s_waitcnt lgkmcnt(0)
	s_and_saveexec_b64 s[20:21], s[0:1]
	s_cbranch_execz .LBB155_20
; %bb.13:                               ;   in Loop: Header=BB155_10 Depth=1
	v_ashrrev_i32_e32 v13, 31, v12
	v_mul_lo_u32 v29, v3, s11
	v_lshl_add_u64 v[14:15], v[12:13], 2, s[14:15]
	v_lshl_add_u64 v[16:17], v[12:13], 3, s[6:7]
	s_mov_b64 s[22:23], 0
	v_mov_b32_e32 v28, s9
	v_mov_b32_e32 v13, v19
	s_branch .LBB155_15
.LBB155_14:                             ;   in Loop: Header=BB155_15 Depth=2
	s_or_b64 exec, exec, s[2:3]
	v_add_u32_e32 v12, 4, v12
	v_cmp_ge_i32_e64 s[2:3], v12, v19
	s_xor_b64 s[0:1], s[0:1], -1
	s_or_b64 s[0:1], s[0:1], s[2:3]
	s_and_b64 s[0:1], exec, s[0:1]
	v_lshl_add_u64 v[14:15], v[14:15], 0, 16
	s_or_b64 s[22:23], s[0:1], s[22:23]
	v_lshl_add_u64 v[16:17], v[16:17], 0, 32
	s_andn2_b64 exec, exec, s[22:23]
	s_cbranch_execz .LBB155_19
.LBB155_15:                             ;   Parent Loop BB155_10 Depth=1
                                        ; =>  This Inner Loop Header: Depth=2
	global_load_dword v30, v[14:15], off
	s_waitcnt vmcnt(0)
	v_subrev_u32_e32 v30, s24, v30
	v_sub_u32_e32 v32, 0, v30
	v_max_i32_e32 v32, v30, v32
	v_mul_hi_u32 v33, v32, v25
	v_mul_lo_u32 v34, v33, s28
	v_sub_u32_e32 v32, v32, v34
	v_add_u32_e32 v35, 1, v33
	v_cmp_le_u32_e64 s[0:1], s28, v32
	v_subrev_u32_e32 v34, s28, v32
	v_ashrrev_i32_e32 v31, 31, v30
	v_cndmask_b32_e64 v33, v33, v35, s[0:1]
	v_cndmask_b32_e64 v32, v32, v34, s[0:1]
	v_add_u32_e32 v34, 1, v33
	v_cmp_le_u32_e64 s[0:1], s28, v32
	v_xor_b32_e32 v31, s8, v31
	s_nop 0
	v_cndmask_b32_e64 v32, v33, v34, s[0:1]
	v_xor_b32_e32 v32, v32, v31
	v_sub_u32_e32 v32, v32, v31
	v_cmp_eq_u32_e64 s[0:1], v32, v3
	v_cmp_ne_u32_e64 s[2:3], v32, v3
	v_mov_b32_e32 v31, v13
	s_and_saveexec_b64 s[30:31], s[2:3]
	s_xor_b64 s[2:3], exec, s[30:31]
; %bb.16:                               ;   in Loop: Header=BB155_15 Depth=2
	v_min_i32_e32 v28, v32, v28
                                        ; implicit-def: $vgpr30
                                        ; implicit-def: $vgpr31
; %bb.17:                               ;   in Loop: Header=BB155_15 Depth=2
	s_or_saveexec_b64 s[2:3], s[2:3]
	v_mov_b32_e32 v13, v12
	s_xor_b64 exec, exec, s[2:3]
	s_cbranch_execz .LBB155_14
; %bb.18:                               ;   in Loop: Header=BB155_15 Depth=2
	global_load_dwordx2 v[32:33], v[16:17], off
	v_sub_u32_e32 v13, v30, v29
	v_add_lshl_u32 v13, v21, v13, 3
	ds_write_b8 v18, v27 offset:4096
	s_waitcnt vmcnt(0)
	ds_write_b64 v13, v[32:33]
	v_mov_b32_e32 v13, v31
	s_branch .LBB155_14
.LBB155_19:                             ;   in Loop: Header=BB155_10 Depth=1
	s_or_b64 exec, exec, s[22:23]
.LBB155_20:                             ;   in Loop: Header=BB155_10 Depth=1
	s_or_b64 exec, exec, s[20:21]
	v_mov_b32_dpp v12, v13 row_shr:1 row_mask:0xf bank_mask:0xf
	v_min_i32_e32 v12, v12, v13
	s_waitcnt lgkmcnt(0)
	ds_read_u8 v13, v18 offset:4096
	v_mov_b32_dpp v14, v12 row_shr:2 row_mask:0xf bank_mask:0xf
	v_min_i32_e32 v12, v14, v12
	ds_bpermute_b32 v16, v22, v12
	s_waitcnt lgkmcnt(1)
	v_and_b32_e32 v12, 1, v13
	v_cmp_eq_u32_e64 s[0:1], 1, v12
	v_mov_b32_e32 v12, 0
	s_and_saveexec_b64 s[2:3], s[0:1]
	s_cbranch_execz .LBB155_9
; %bb.21:                               ;   in Loop: Header=BB155_10 Depth=1
	v_add_u32_e32 v14, s25, v3
	v_ashrrev_i32_e32 v3, 31, v2
	v_lshl_add_u64 v[12:13], v[2:3], 2, s[12:13]
	global_store_dword v[12:13], v14, off
	v_mul_lo_u32 v14, s26, v2
	v_mul_lo_u32 v3, s27, v3
	v_mad_u64_u32 v[12:13], s[0:1], s27, v2, 0
	v_add3_u32 v13, v13, v3, v14
	v_lshlrev_b64 v[14:15], 3, v[12:13]
	v_lshl_add_u64 v[12:13], v[4:5], 0, v[14:15]
	v_lshl_add_u64 v[14:15], v[6:7], 0, v[14:15]
	s_and_saveexec_b64 s[0:1], s[16:17]
	s_cbranch_execz .LBB155_23
; %bb.22:                               ;   in Loop: Header=BB155_10 Depth=1
	ds_read_b64 v[30:31], v24
	v_lshl_add_u64 v[32:33], v[0:1], 3, v[12:13]
	v_cndmask_b32_e32 v33, v33, v15, vcc
	v_cndmask_b32_e32 v32, v32, v14, vcc
	s_waitcnt lgkmcnt(0)
	global_store_dwordx2 v[32:33], v[30:31], off
.LBB155_23:                             ;   in Loop: Header=BB155_10 Depth=1
	s_or_b64 exec, exec, s[0:1]
	s_and_saveexec_b64 s[0:1], s[4:5]
	s_cbranch_execz .LBB155_8
; %bb.24:                               ;   in Loop: Header=BB155_10 Depth=1
	ds_read_b64 v[30:31], v24 offset:32
	v_lshl_add_u64 v[14:15], v[14:15], 0, 32
	v_lshl_add_u64 v[12:13], v[8:9], 3, v[12:13]
	v_cndmask_b32_e32 v13, v13, v15, vcc
	v_cndmask_b32_e32 v12, v12, v14, vcc
	s_waitcnt lgkmcnt(0)
	global_store_dwordx2 v[12:13], v[30:31], off
	s_branch .LBB155_8
.LBB155_25:
	s_endpgm
	.section	.rodata,"a",@progbits
	.p2align	6, 0x0
	.amdhsa_kernel _ZN9rocsparseL44csr2gebsr_wavefront_per_row_multipass_kernelILi256ELi16ELi8ELi64E21rocsparse_complex_numIfEEEv20rocsparse_direction_iiiiii21rocsparse_index_base_PKT3_PKiS9_S4_PS5_PiSB_
		.amdhsa_group_segment_fixed_size 4100
		.amdhsa_private_segment_fixed_size 0
		.amdhsa_kernarg_size 88
		.amdhsa_user_sgpr_count 2
		.amdhsa_user_sgpr_dispatch_ptr 0
		.amdhsa_user_sgpr_queue_ptr 0
		.amdhsa_user_sgpr_kernarg_segment_ptr 1
		.amdhsa_user_sgpr_dispatch_id 0
		.amdhsa_user_sgpr_kernarg_preload_length 0
		.amdhsa_user_sgpr_kernarg_preload_offset 0
		.amdhsa_user_sgpr_private_segment_size 0
		.amdhsa_uses_dynamic_stack 0
		.amdhsa_enable_private_segment 0
		.amdhsa_system_sgpr_workgroup_id_x 1
		.amdhsa_system_sgpr_workgroup_id_y 0
		.amdhsa_system_sgpr_workgroup_id_z 0
		.amdhsa_system_sgpr_workgroup_info 0
		.amdhsa_system_vgpr_workitem_id 0
		.amdhsa_next_free_vgpr 36
		.amdhsa_next_free_sgpr 32
		.amdhsa_accum_offset 36
		.amdhsa_reserve_vcc 1
		.amdhsa_float_round_mode_32 0
		.amdhsa_float_round_mode_16_64 0
		.amdhsa_float_denorm_mode_32 3
		.amdhsa_float_denorm_mode_16_64 3
		.amdhsa_dx10_clamp 1
		.amdhsa_ieee_mode 1
		.amdhsa_fp16_overflow 0
		.amdhsa_tg_split 0
		.amdhsa_exception_fp_ieee_invalid_op 0
		.amdhsa_exception_fp_denorm_src 0
		.amdhsa_exception_fp_ieee_div_zero 0
		.amdhsa_exception_fp_ieee_overflow 0
		.amdhsa_exception_fp_ieee_underflow 0
		.amdhsa_exception_fp_ieee_inexact 0
		.amdhsa_exception_int_div_zero 0
	.end_amdhsa_kernel
	.section	.text._ZN9rocsparseL44csr2gebsr_wavefront_per_row_multipass_kernelILi256ELi16ELi8ELi64E21rocsparse_complex_numIfEEEv20rocsparse_direction_iiiiii21rocsparse_index_base_PKT3_PKiS9_S4_PS5_PiSB_,"axG",@progbits,_ZN9rocsparseL44csr2gebsr_wavefront_per_row_multipass_kernelILi256ELi16ELi8ELi64E21rocsparse_complex_numIfEEEv20rocsparse_direction_iiiiii21rocsparse_index_base_PKT3_PKiS9_S4_PS5_PiSB_,comdat
.Lfunc_end155:
	.size	_ZN9rocsparseL44csr2gebsr_wavefront_per_row_multipass_kernelILi256ELi16ELi8ELi64E21rocsparse_complex_numIfEEEv20rocsparse_direction_iiiiii21rocsparse_index_base_PKT3_PKiS9_S4_PS5_PiSB_, .Lfunc_end155-_ZN9rocsparseL44csr2gebsr_wavefront_per_row_multipass_kernelILi256ELi16ELi8ELi64E21rocsparse_complex_numIfEEEv20rocsparse_direction_iiiiii21rocsparse_index_base_PKT3_PKiS9_S4_PS5_PiSB_
                                        ; -- End function
	.section	.AMDGPU.csdata,"",@progbits
; Kernel info:
; codeLenInByte = 1348
; NumSgprs: 38
; NumVgprs: 36
; NumAgprs: 0
; TotalNumVgprs: 36
; ScratchSize: 0
; MemoryBound: 0
; FloatMode: 240
; IeeeMode: 1
; LDSByteSize: 4100 bytes/workgroup (compile time only)
; SGPRBlocks: 4
; VGPRBlocks: 4
; NumSGPRsForWavesPerEU: 38
; NumVGPRsForWavesPerEU: 36
; AccumOffset: 36
; Occupancy: 8
; WaveLimiterHint : 0
; COMPUTE_PGM_RSRC2:SCRATCH_EN: 0
; COMPUTE_PGM_RSRC2:USER_SGPR: 2
; COMPUTE_PGM_RSRC2:TRAP_HANDLER: 0
; COMPUTE_PGM_RSRC2:TGID_X_EN: 1
; COMPUTE_PGM_RSRC2:TGID_Y_EN: 0
; COMPUTE_PGM_RSRC2:TGID_Z_EN: 0
; COMPUTE_PGM_RSRC2:TIDIG_COMP_CNT: 0
; COMPUTE_PGM_RSRC3_GFX90A:ACCUM_OFFSET: 8
; COMPUTE_PGM_RSRC3_GFX90A:TG_SPLIT: 0
	.section	.text._ZN9rocsparseL44csr2gebsr_wavefront_per_row_multipass_kernelILi256ELi16ELi8ELi32E21rocsparse_complex_numIfEEEv20rocsparse_direction_iiiiii21rocsparse_index_base_PKT3_PKiS9_S4_PS5_PiSB_,"axG",@progbits,_ZN9rocsparseL44csr2gebsr_wavefront_per_row_multipass_kernelILi256ELi16ELi8ELi32E21rocsparse_complex_numIfEEEv20rocsparse_direction_iiiiii21rocsparse_index_base_PKT3_PKiS9_S4_PS5_PiSB_,comdat
	.globl	_ZN9rocsparseL44csr2gebsr_wavefront_per_row_multipass_kernelILi256ELi16ELi8ELi32E21rocsparse_complex_numIfEEEv20rocsparse_direction_iiiiii21rocsparse_index_base_PKT3_PKiS9_S4_PS5_PiSB_ ; -- Begin function _ZN9rocsparseL44csr2gebsr_wavefront_per_row_multipass_kernelILi256ELi16ELi8ELi32E21rocsparse_complex_numIfEEEv20rocsparse_direction_iiiiii21rocsparse_index_base_PKT3_PKiS9_S4_PS5_PiSB_
	.p2align	8
	.type	_ZN9rocsparseL44csr2gebsr_wavefront_per_row_multipass_kernelILi256ELi16ELi8ELi32E21rocsparse_complex_numIfEEEv20rocsparse_direction_iiiiii21rocsparse_index_base_PKT3_PKiS9_S4_PS5_PiSB_,@function
_ZN9rocsparseL44csr2gebsr_wavefront_per_row_multipass_kernelILi256ELi16ELi8ELi32E21rocsparse_complex_numIfEEEv20rocsparse_direction_iiiiii21rocsparse_index_base_PKT3_PKiS9_S4_PS5_PiSB_: ; @_ZN9rocsparseL44csr2gebsr_wavefront_per_row_multipass_kernelILi256ELi16ELi8ELi32E21rocsparse_complex_numIfEEEv20rocsparse_direction_iiiiii21rocsparse_index_base_PKT3_PKiS9_S4_PS5_PiSB_
; %bb.0:
	s_load_dwordx2 s[4:5], s[0:1], 0x0
	s_load_dwordx4 s[12:15], s[0:1], 0xc
	s_load_dword s28, s[0:1], 0x1c
	s_load_dwordx2 s[6:7], s[0:1], 0x28
	v_lshrrev_b32_e32 v22, 5, v0
	v_bfe_u32 v6, v0, 1, 4
	v_lshl_or_b32 v4, s2, 3, v22
	s_waitcnt lgkmcnt(0)
	v_mad_u64_u32 v[2:3], s[2:3], v4, s14, v[6:7]
	v_cmp_gt_i32_e32 vcc, s5, v2
	v_cmp_gt_i32_e64 s[2:3], s14, v6
	s_and_b64 s[8:9], s[2:3], vcc
	v_mov_b32_e32 v23, 0
	v_mov_b32_e32 v20, 0
	s_and_saveexec_b64 s[10:11], s[8:9]
	s_cbranch_execz .LBB156_2
; %bb.1:
	v_ashrrev_i32_e32 v3, 31, v2
	v_lshl_add_u64 v[8:9], v[2:3], 2, s[6:7]
	global_load_dword v1, v[8:9], off
	s_waitcnt vmcnt(0)
	v_subrev_u32_e32 v20, s28, v1
.LBB156_2:
	s_or_b64 exec, exec, s[10:11]
	s_and_saveexec_b64 s[10:11], s[8:9]
	s_cbranch_execz .LBB156_4
; %bb.3:
	v_ashrrev_i32_e32 v3, 31, v2
	v_lshl_add_u64 v[2:3], v[2:3], 2, s[6:7]
	global_load_dword v1, v[2:3], off offset:4
	s_waitcnt vmcnt(0)
	v_subrev_u32_e32 v23, s28, v1
.LBB156_4:
	s_or_b64 exec, exec, s[10:11]
	s_load_dword s29, s[0:1], 0x38
	v_cmp_gt_i32_e32 vcc, s12, v4
	v_mov_b32_e32 v2, 0
	s_and_saveexec_b64 s[6:7], vcc
	s_cbranch_execz .LBB156_6
; %bb.5:
	s_load_dwordx2 s[8:9], s[0:1], 0x48
	v_ashrrev_i32_e32 v5, 31, v4
	s_waitcnt lgkmcnt(0)
	v_lshl_add_u64 v[2:3], v[4:5], 2, s[8:9]
	global_load_dword v1, v[2:3], off
	s_waitcnt vmcnt(0)
	v_subrev_u32_e32 v2, s29, v1
.LBB156_6:
	s_or_b64 exec, exec, s[6:7]
	s_cmp_lt_i32 s13, 1
	s_cbranch_scc1 .LBB156_29
; %bb.7:
	s_load_dwordx2 s[10:11], s[0:1], 0x20
	s_load_dwordx2 s[16:17], s[0:1], 0x50
	s_load_dwordx2 s[6:7], s[0:1], 0x40
	s_load_dwordx2 s[18:19], s[0:1], 0x30
	v_mbcnt_lo_u32_b32 v3, -1, 0
	v_and_b32_e32 v24, 1, v0
	v_lshlrev_b32_e32 v0, 3, v6
	v_mbcnt_hi_u32_b32 v3, -1, v3
	v_mul_lo_u32 v6, v6, s15
	v_mov_b32_e32 v1, 0
	v_lshlrev_b32_e32 v3, 2, v3
	s_cmp_eq_u32 s4, 0
	v_ashrrev_i32_e32 v7, 31, v6
	v_lshl_or_b32 v25, v22, 7, v0
	v_or_b32_e32 v26, 4, v3
	s_cselect_b64 vcc, -1, 0
	s_ashr_i32 s12, s15, 31
	s_waitcnt lgkmcnt(0)
	v_lshl_add_u64 v[4:5], s[6:7], 0, v[0:1]
	v_lshl_add_u64 v[6:7], v[6:7], 3, s[6:7]
	v_lshlrev_b32_e32 v0, 3, v24
	v_or_b32_e32 v27, 0x7c, v3
	v_or_b32_e32 v3, 2, v24
	s_mul_hi_u32 s0, s15, s14
	s_mul_i32 s1, s12, s14
	s_mul_i32 s31, s15, s14
	v_lshl_add_u64 v[6:7], v[6:7], 0, v[0:1]
	v_mul_lo_u32 v0, v24, s14
	v_cmp_gt_u32_e64 s[4:5], s15, v3
	s_lshl_b32 s20, s14, 1
	v_or_b32_e32 v3, 4, v24
	s_abs_i32 s14, s15
	v_cmp_gt_u32_e64 s[6:7], s15, v3
	v_cvt_f32_u32_e32 v3, s14
	v_or_b32_e32 v8, v25, v24
	v_lshlrev_b32_e32 v28, 3, v8
	v_add_u32_e32 v8, s20, v0
	v_rcp_iflag_f32_e32 v3, v3
	s_add_i32 s30, s0, s1
	v_cmp_gt_u32_e64 s[0:1], s15, v24
	v_add_u32_e32 v10, s20, v8
	v_mul_f32_e32 v3, 0x4f7ffffe, v3
	v_cvt_u32_f32_e32 v3, v3
	v_or_b32_e32 v12, 6, v24
	v_cmp_gt_u32_e64 s[8:9], s15, v12
	v_add_u32_e32 v12, s20, v10
	s_and_b64 s[20:21], s[0:1], s[2:3]
	s_sub_i32 s0, 0, s14
	v_mul_lo_u32 v14, s0, v3
	v_mul_hi_u32 v14, v3, v14
	v_mov_b32_e32 v9, v1
	v_mov_b32_e32 v11, v1
	;; [unrolled: 1-line block ×3, first 2 shown]
	s_and_b64 s[4:5], s[2:3], s[4:5]
	s_and_b64 s[6:7], s[2:3], s[6:7]
	;; [unrolled: 1-line block ×3, first 2 shown]
	v_add_u32_e32 v29, v3, v14
	v_or_b32_e32 v30, -2, v24
	s_mov_b64 s[22:23], 0
	v_mov_b32_e32 v14, v1
	v_mov_b32_e32 v15, v1
	;; [unrolled: 1-line block ×4, first 2 shown]
	s_branch .LBB156_10
.LBB156_8:                              ;   in Loop: Header=BB156_10 Depth=1
	s_or_b64 exec, exec, s[0:1]
	v_mov_b32_e32 v16, 1
.LBB156_9:                              ;   in Loop: Header=BB156_10 Depth=1
	s_or_b64 exec, exec, s[2:3]
	v_mov_b32_dpp v3, v32 row_shr:1 row_mask:0xf bank_mask:0xf
	v_min_i32_e32 v3, v3, v32
	v_add_u32_e32 v2, v16, v2
	s_waitcnt lgkmcnt(0)
	v_mov_b32_dpp v17, v3 row_shr:2 row_mask:0xf bank_mask:0xf
	v_min_i32_e32 v3, v17, v3
	s_nop 1
	v_mov_b32_dpp v17, v3 row_shr:4 row_mask:0xf bank_mask:0xe
	v_min_i32_e32 v3, v17, v3
	s_nop 1
	;; [unrolled: 3-line block ×3, first 2 shown]
	v_mov_b32_dpp v17, v3 row_bcast:15 row_mask:0xa bank_mask:0xf
	v_min_i32_e32 v3, v17, v3
	ds_bpermute_b32 v3, v27, v3
	s_waitcnt lgkmcnt(0)
	v_cmp_le_i32_e64 s[0:1], s13, v3
	s_or_b64 s[22:23], s[0:1], s[22:23]
	s_andn2_b64 exec, exec, s[22:23]
	s_cbranch_execz .LBB156_29
.LBB156_10:                             ; =>This Loop Header: Depth=1
                                        ;     Child Loop BB156_11 Depth 2
                                        ;     Child Loop BB156_15 Depth 2
	s_mov_b64 s[2:3], 0
	v_mov_b32_e32 v16, v28
	v_mov_b32_e32 v17, v30
	ds_write_b8 v22, v1 offset:8192
.LBB156_11:                             ;   Parent Loop BB156_10 Depth=1
                                        ; =>  This Inner Loop Header: Depth=2
	v_add_u32_e32 v17, 2, v17
	v_cmp_lt_u32_e64 s[0:1], 5, v17
	ds_write_b64 v16, v[14:15]
	s_or_b64 s[2:3], s[0:1], s[2:3]
	v_add_u32_e32 v16, 16, v16
	s_andn2_b64 exec, exec, s[2:3]
	s_cbranch_execnz .LBB156_11
; %bb.12:                               ;   in Loop: Header=BB156_10 Depth=1
	s_or_b64 exec, exec, s[2:3]
	v_add_u32_e32 v16, v20, v24
	v_cmp_lt_i32_e64 s[0:1], v16, v23
	v_mov_b32_e32 v32, s13
	v_mov_b32_e32 v17, v23
	s_waitcnt lgkmcnt(0)
	s_and_saveexec_b64 s[24:25], s[0:1]
	s_cbranch_execz .LBB156_20
; %bb.13:                               ;   in Loop: Header=BB156_10 Depth=1
	v_ashrrev_i32_e32 v17, 31, v16
	v_mul_lo_u32 v33, v3, s15
	v_lshl_add_u64 v[18:19], v[16:17], 2, s[18:19]
	v_lshl_add_u64 v[20:21], v[16:17], 3, s[10:11]
	s_mov_b64 s[26:27], 0
	v_mov_b32_e32 v32, s13
	v_mov_b32_e32 v17, v23
	s_branch .LBB156_15
.LBB156_14:                             ;   in Loop: Header=BB156_15 Depth=2
	s_or_b64 exec, exec, s[2:3]
	v_add_u32_e32 v16, 2, v16
	v_cmp_ge_i32_e64 s[2:3], v16, v23
	s_xor_b64 s[0:1], s[0:1], -1
	s_or_b64 s[0:1], s[0:1], s[2:3]
	s_and_b64 s[0:1], exec, s[0:1]
	v_lshl_add_u64 v[18:19], v[18:19], 0, 8
	s_or_b64 s[26:27], s[0:1], s[26:27]
	v_lshl_add_u64 v[20:21], v[20:21], 0, 16
	s_andn2_b64 exec, exec, s[26:27]
	s_cbranch_execz .LBB156_19
.LBB156_15:                             ;   Parent Loop BB156_10 Depth=1
                                        ; =>  This Inner Loop Header: Depth=2
	global_load_dword v34, v[18:19], off
	s_waitcnt vmcnt(0)
	v_subrev_u32_e32 v34, s28, v34
	v_sub_u32_e32 v36, 0, v34
	v_max_i32_e32 v36, v34, v36
	v_mul_hi_u32 v37, v36, v29
	v_mul_lo_u32 v38, v37, s14
	v_sub_u32_e32 v36, v36, v38
	v_add_u32_e32 v39, 1, v37
	v_cmp_le_u32_e64 s[0:1], s14, v36
	v_subrev_u32_e32 v38, s14, v36
	v_ashrrev_i32_e32 v35, 31, v34
	v_cndmask_b32_e64 v37, v37, v39, s[0:1]
	v_cndmask_b32_e64 v36, v36, v38, s[0:1]
	v_add_u32_e32 v38, 1, v37
	v_cmp_le_u32_e64 s[0:1], s14, v36
	v_xor_b32_e32 v35, s12, v35
	s_nop 0
	v_cndmask_b32_e64 v36, v37, v38, s[0:1]
	v_xor_b32_e32 v36, v36, v35
	v_sub_u32_e32 v36, v36, v35
	v_cmp_eq_u32_e64 s[0:1], v36, v3
	v_cmp_ne_u32_e64 s[2:3], v36, v3
	v_mov_b32_e32 v35, v17
	s_and_saveexec_b64 s[34:35], s[2:3]
	s_xor_b64 s[2:3], exec, s[34:35]
; %bb.16:                               ;   in Loop: Header=BB156_15 Depth=2
	v_min_i32_e32 v32, v36, v32
                                        ; implicit-def: $vgpr34
                                        ; implicit-def: $vgpr35
; %bb.17:                               ;   in Loop: Header=BB156_15 Depth=2
	s_or_saveexec_b64 s[2:3], s[2:3]
	v_mov_b32_e32 v17, v16
	s_xor_b64 exec, exec, s[2:3]
	s_cbranch_execz .LBB156_14
; %bb.18:                               ;   in Loop: Header=BB156_15 Depth=2
	global_load_dwordx2 v[36:37], v[20:21], off
	v_sub_u32_e32 v17, v34, v33
	v_add_lshl_u32 v17, v25, v17, 3
	ds_write_b8 v22, v31 offset:8192
	s_waitcnt vmcnt(0)
	ds_write_b64 v17, v[36:37]
	v_mov_b32_e32 v17, v35
	s_branch .LBB156_14
.LBB156_19:                             ;   in Loop: Header=BB156_10 Depth=1
	s_or_b64 exec, exec, s[26:27]
.LBB156_20:                             ;   in Loop: Header=BB156_10 Depth=1
	s_or_b64 exec, exec, s[24:25]
	s_waitcnt lgkmcnt(0)
	ds_read_u8 v16, v22 offset:8192
	v_mov_b32_dpp v18, v17 row_shr:1 row_mask:0xf bank_mask:0xf
	v_min_i32_e32 v17, v18, v17
	ds_bpermute_b32 v20, v26, v17
	s_waitcnt lgkmcnt(1)
	v_and_b32_e32 v16, 1, v16
	v_cmp_eq_u32_e64 s[0:1], 1, v16
	v_mov_b32_e32 v16, 0
	s_and_saveexec_b64 s[2:3], s[0:1]
	s_cbranch_execz .LBB156_9
; %bb.21:                               ;   in Loop: Header=BB156_10 Depth=1
	v_add_u32_e32 v18, s29, v3
	v_ashrrev_i32_e32 v3, 31, v2
	v_lshl_add_u64 v[16:17], v[2:3], 2, s[16:17]
	global_store_dword v[16:17], v18, off
	v_mul_lo_u32 v18, s30, v2
	v_mul_lo_u32 v3, s31, v3
	v_mad_u64_u32 v[16:17], s[0:1], s31, v2, 0
	v_add3_u32 v17, v17, v3, v18
	v_lshlrev_b64 v[18:19], 3, v[16:17]
	v_lshl_add_u64 v[16:17], v[4:5], 0, v[18:19]
	v_lshl_add_u64 v[18:19], v[6:7], 0, v[18:19]
	s_and_saveexec_b64 s[0:1], s[20:21]
	s_cbranch_execnz .LBB156_25
; %bb.22:                               ;   in Loop: Header=BB156_10 Depth=1
	s_or_b64 exec, exec, s[0:1]
	s_and_saveexec_b64 s[0:1], s[4:5]
	s_cbranch_execnz .LBB156_26
.LBB156_23:                             ;   in Loop: Header=BB156_10 Depth=1
	s_or_b64 exec, exec, s[0:1]
	s_and_saveexec_b64 s[0:1], s[6:7]
	s_cbranch_execnz .LBB156_27
.LBB156_24:                             ;   in Loop: Header=BB156_10 Depth=1
	s_or_b64 exec, exec, s[0:1]
	s_and_saveexec_b64 s[0:1], s[8:9]
	s_cbranch_execz .LBB156_8
	s_branch .LBB156_28
.LBB156_25:                             ;   in Loop: Header=BB156_10 Depth=1
	ds_read_b64 v[34:35], v28
	v_lshl_add_u64 v[36:37], v[0:1], 3, v[16:17]
	v_cndmask_b32_e32 v37, v37, v19, vcc
	v_cndmask_b32_e32 v36, v36, v18, vcc
	s_waitcnt lgkmcnt(0)
	global_store_dwordx2 v[36:37], v[34:35], off
	s_or_b64 exec, exec, s[0:1]
	s_and_saveexec_b64 s[0:1], s[4:5]
	s_cbranch_execz .LBB156_23
.LBB156_26:                             ;   in Loop: Header=BB156_10 Depth=1
	ds_read_b64 v[34:35], v28 offset:16
	v_lshl_add_u64 v[36:37], v[18:19], 0, 16
	v_lshl_add_u64 v[38:39], v[8:9], 3, v[16:17]
	v_cndmask_b32_e32 v37, v39, v37, vcc
	v_cndmask_b32_e32 v36, v38, v36, vcc
	s_waitcnt lgkmcnt(0)
	global_store_dwordx2 v[36:37], v[34:35], off
	s_or_b64 exec, exec, s[0:1]
	s_and_saveexec_b64 s[0:1], s[6:7]
	s_cbranch_execz .LBB156_24
.LBB156_27:                             ;   in Loop: Header=BB156_10 Depth=1
	ds_read_b64 v[34:35], v28 offset:32
	v_lshl_add_u64 v[36:37], v[18:19], 0, 32
	v_lshl_add_u64 v[38:39], v[10:11], 3, v[16:17]
	v_cndmask_b32_e32 v37, v39, v37, vcc
	v_cndmask_b32_e32 v36, v38, v36, vcc
	s_waitcnt lgkmcnt(0)
	global_store_dwordx2 v[36:37], v[34:35], off
	s_or_b64 exec, exec, s[0:1]
	s_and_saveexec_b64 s[0:1], s[8:9]
	s_cbranch_execz .LBB156_8
.LBB156_28:                             ;   in Loop: Header=BB156_10 Depth=1
	ds_read_b64 v[34:35], v28 offset:48
	v_lshl_add_u64 v[18:19], v[18:19], 0, 48
	v_lshl_add_u64 v[16:17], v[12:13], 3, v[16:17]
	v_cndmask_b32_e32 v17, v17, v19, vcc
	v_cndmask_b32_e32 v16, v16, v18, vcc
	s_waitcnt lgkmcnt(0)
	global_store_dwordx2 v[16:17], v[34:35], off
	s_branch .LBB156_8
.LBB156_29:
	s_endpgm
	.section	.rodata,"a",@progbits
	.p2align	6, 0x0
	.amdhsa_kernel _ZN9rocsparseL44csr2gebsr_wavefront_per_row_multipass_kernelILi256ELi16ELi8ELi32E21rocsparse_complex_numIfEEEv20rocsparse_direction_iiiiii21rocsparse_index_base_PKT3_PKiS9_S4_PS5_PiSB_
		.amdhsa_group_segment_fixed_size 8200
		.amdhsa_private_segment_fixed_size 0
		.amdhsa_kernarg_size 88
		.amdhsa_user_sgpr_count 2
		.amdhsa_user_sgpr_dispatch_ptr 0
		.amdhsa_user_sgpr_queue_ptr 0
		.amdhsa_user_sgpr_kernarg_segment_ptr 1
		.amdhsa_user_sgpr_dispatch_id 0
		.amdhsa_user_sgpr_kernarg_preload_length 0
		.amdhsa_user_sgpr_kernarg_preload_offset 0
		.amdhsa_user_sgpr_private_segment_size 0
		.amdhsa_uses_dynamic_stack 0
		.amdhsa_enable_private_segment 0
		.amdhsa_system_sgpr_workgroup_id_x 1
		.amdhsa_system_sgpr_workgroup_id_y 0
		.amdhsa_system_sgpr_workgroup_id_z 0
		.amdhsa_system_sgpr_workgroup_info 0
		.amdhsa_system_vgpr_workitem_id 0
		.amdhsa_next_free_vgpr 40
		.amdhsa_next_free_sgpr 36
		.amdhsa_accum_offset 40
		.amdhsa_reserve_vcc 1
		.amdhsa_float_round_mode_32 0
		.amdhsa_float_round_mode_16_64 0
		.amdhsa_float_denorm_mode_32 3
		.amdhsa_float_denorm_mode_16_64 3
		.amdhsa_dx10_clamp 1
		.amdhsa_ieee_mode 1
		.amdhsa_fp16_overflow 0
		.amdhsa_tg_split 0
		.amdhsa_exception_fp_ieee_invalid_op 0
		.amdhsa_exception_fp_denorm_src 0
		.amdhsa_exception_fp_ieee_div_zero 0
		.amdhsa_exception_fp_ieee_overflow 0
		.amdhsa_exception_fp_ieee_underflow 0
		.amdhsa_exception_fp_ieee_inexact 0
		.amdhsa_exception_int_div_zero 0
	.end_amdhsa_kernel
	.section	.text._ZN9rocsparseL44csr2gebsr_wavefront_per_row_multipass_kernelILi256ELi16ELi8ELi32E21rocsparse_complex_numIfEEEv20rocsparse_direction_iiiiii21rocsparse_index_base_PKT3_PKiS9_S4_PS5_PiSB_,"axG",@progbits,_ZN9rocsparseL44csr2gebsr_wavefront_per_row_multipass_kernelILi256ELi16ELi8ELi32E21rocsparse_complex_numIfEEEv20rocsparse_direction_iiiiii21rocsparse_index_base_PKT3_PKiS9_S4_PS5_PiSB_,comdat
.Lfunc_end156:
	.size	_ZN9rocsparseL44csr2gebsr_wavefront_per_row_multipass_kernelILi256ELi16ELi8ELi32E21rocsparse_complex_numIfEEEv20rocsparse_direction_iiiiii21rocsparse_index_base_PKT3_PKiS9_S4_PS5_PiSB_, .Lfunc_end156-_ZN9rocsparseL44csr2gebsr_wavefront_per_row_multipass_kernelILi256ELi16ELi8ELi32E21rocsparse_complex_numIfEEEv20rocsparse_direction_iiiiii21rocsparse_index_base_PKT3_PKiS9_S4_PS5_PiSB_
                                        ; -- End function
	.section	.AMDGPU.csdata,"",@progbits
; Kernel info:
; codeLenInByte = 1516
; NumSgprs: 42
; NumVgprs: 40
; NumAgprs: 0
; TotalNumVgprs: 40
; ScratchSize: 0
; MemoryBound: 0
; FloatMode: 240
; IeeeMode: 1
; LDSByteSize: 8200 bytes/workgroup (compile time only)
; SGPRBlocks: 5
; VGPRBlocks: 4
; NumSGPRsForWavesPerEU: 42
; NumVGPRsForWavesPerEU: 40
; AccumOffset: 40
; Occupancy: 7
; WaveLimiterHint : 0
; COMPUTE_PGM_RSRC2:SCRATCH_EN: 0
; COMPUTE_PGM_RSRC2:USER_SGPR: 2
; COMPUTE_PGM_RSRC2:TRAP_HANDLER: 0
; COMPUTE_PGM_RSRC2:TGID_X_EN: 1
; COMPUTE_PGM_RSRC2:TGID_Y_EN: 0
; COMPUTE_PGM_RSRC2:TGID_Z_EN: 0
; COMPUTE_PGM_RSRC2:TIDIG_COMP_CNT: 0
; COMPUTE_PGM_RSRC3_GFX90A:ACCUM_OFFSET: 9
; COMPUTE_PGM_RSRC3_GFX90A:TG_SPLIT: 0
	.section	.text._ZN9rocsparseL44csr2gebsr_wavefront_per_row_multipass_kernelILi256ELi16ELi16ELi64E21rocsparse_complex_numIfEEEv20rocsparse_direction_iiiiii21rocsparse_index_base_PKT3_PKiS9_S4_PS5_PiSB_,"axG",@progbits,_ZN9rocsparseL44csr2gebsr_wavefront_per_row_multipass_kernelILi256ELi16ELi16ELi64E21rocsparse_complex_numIfEEEv20rocsparse_direction_iiiiii21rocsparse_index_base_PKT3_PKiS9_S4_PS5_PiSB_,comdat
	.globl	_ZN9rocsparseL44csr2gebsr_wavefront_per_row_multipass_kernelILi256ELi16ELi16ELi64E21rocsparse_complex_numIfEEEv20rocsparse_direction_iiiiii21rocsparse_index_base_PKT3_PKiS9_S4_PS5_PiSB_ ; -- Begin function _ZN9rocsparseL44csr2gebsr_wavefront_per_row_multipass_kernelILi256ELi16ELi16ELi64E21rocsparse_complex_numIfEEEv20rocsparse_direction_iiiiii21rocsparse_index_base_PKT3_PKiS9_S4_PS5_PiSB_
	.p2align	8
	.type	_ZN9rocsparseL44csr2gebsr_wavefront_per_row_multipass_kernelILi256ELi16ELi16ELi64E21rocsparse_complex_numIfEEEv20rocsparse_direction_iiiiii21rocsparse_index_base_PKT3_PKiS9_S4_PS5_PiSB_,@function
_ZN9rocsparseL44csr2gebsr_wavefront_per_row_multipass_kernelILi256ELi16ELi16ELi64E21rocsparse_complex_numIfEEEv20rocsparse_direction_iiiiii21rocsparse_index_base_PKT3_PKiS9_S4_PS5_PiSB_: ; @_ZN9rocsparseL44csr2gebsr_wavefront_per_row_multipass_kernelILi256ELi16ELi16ELi64E21rocsparse_complex_numIfEEEv20rocsparse_direction_iiiiii21rocsparse_index_base_PKT3_PKiS9_S4_PS5_PiSB_
; %bb.0:
	s_load_dwordx2 s[4:5], s[0:1], 0x0
	s_load_dwordx4 s[12:15], s[0:1], 0xc
	s_load_dword s30, s[0:1], 0x1c
	s_load_dwordx2 s[6:7], s[0:1], 0x28
	v_lshrrev_b32_e32 v22, 6, v0
	v_bfe_u32 v6, v0, 2, 4
	v_lshl_or_b32 v4, s2, 2, v22
	s_waitcnt lgkmcnt(0)
	v_mad_u64_u32 v[2:3], s[2:3], v4, s14, v[6:7]
	v_cmp_gt_i32_e32 vcc, s5, v2
	v_cmp_gt_i32_e64 s[2:3], s14, v6
	s_and_b64 s[8:9], s[2:3], vcc
	v_mov_b32_e32 v23, 0
	v_mov_b32_e32 v20, 0
	s_and_saveexec_b64 s[10:11], s[8:9]
	s_cbranch_execz .LBB157_2
; %bb.1:
	v_ashrrev_i32_e32 v3, 31, v2
	v_lshl_add_u64 v[8:9], v[2:3], 2, s[6:7]
	global_load_dword v1, v[8:9], off
	s_waitcnt vmcnt(0)
	v_subrev_u32_e32 v20, s30, v1
.LBB157_2:
	s_or_b64 exec, exec, s[10:11]
	s_and_saveexec_b64 s[10:11], s[8:9]
	s_cbranch_execz .LBB157_4
; %bb.3:
	v_ashrrev_i32_e32 v3, 31, v2
	v_lshl_add_u64 v[2:3], v[2:3], 2, s[6:7]
	global_load_dword v1, v[2:3], off offset:4
	s_waitcnt vmcnt(0)
	v_subrev_u32_e32 v23, s30, v1
.LBB157_4:
	s_or_b64 exec, exec, s[10:11]
	s_load_dword s31, s[0:1], 0x38
	v_cmp_gt_i32_e32 vcc, s12, v4
	v_mov_b32_e32 v2, 0
	s_and_saveexec_b64 s[6:7], vcc
	s_cbranch_execz .LBB157_6
; %bb.5:
	s_load_dwordx2 s[8:9], s[0:1], 0x48
	v_ashrrev_i32_e32 v5, 31, v4
	s_waitcnt lgkmcnt(0)
	v_lshl_add_u64 v[2:3], v[4:5], 2, s[8:9]
	global_load_dword v1, v[2:3], off
	s_waitcnt vmcnt(0)
	v_subrev_u32_e32 v2, s31, v1
.LBB157_6:
	s_or_b64 exec, exec, s[6:7]
	s_cmp_lt_i32 s13, 1
	s_cbranch_scc1 .LBB157_29
; %bb.7:
	v_and_b32_e32 v24, 3, v0
	v_lshlrev_b32_e32 v0, 8, v22
	s_load_dwordx2 s[10:11], s[0:1], 0x20
	s_load_dwordx2 s[16:17], s[0:1], 0x50
	;; [unrolled: 1-line block ×4, first 2 shown]
	v_lshl_or_b32 v25, v6, 4, v0
	v_mbcnt_lo_u32_b32 v0, -1, 0
	v_mbcnt_hi_u32_b32 v0, -1, v0
	v_lshlrev_b32_e32 v3, 2, v0
	v_lshlrev_b32_e32 v0, 3, v6
	v_mul_lo_u32 v6, v6, s15
	v_mov_b32_e32 v1, 0
	s_cmp_eq_u32 s4, 0
	v_ashrrev_i32_e32 v7, 31, v6
	v_or_b32_e32 v26, 12, v3
	s_cselect_b64 vcc, -1, 0
	s_ashr_i32 s12, s15, 31
	s_waitcnt lgkmcnt(0)
	v_lshl_add_u64 v[4:5], s[6:7], 0, v[0:1]
	v_lshl_add_u64 v[6:7], v[6:7], 3, s[6:7]
	v_lshlrev_b32_e32 v0, 3, v24
	v_or_b32_e32 v27, 0xfc, v3
	v_or_b32_e32 v3, 4, v24
	s_mul_hi_u32 s0, s15, s14
	s_mul_i32 s1, s12, s14
	s_mul_i32 s34, s15, s14
	v_lshl_add_u64 v[6:7], v[6:7], 0, v[0:1]
	v_mul_lo_u32 v0, v24, s14
	v_cmp_gt_u32_e64 s[4:5], s15, v3
	s_lshl_b32 s20, s14, 2
	v_or_b32_e32 v3, 8, v24
	s_abs_i32 s14, s15
	v_cmp_gt_u32_e64 s[6:7], s15, v3
	v_cvt_f32_u32_e32 v3, s14
	v_or_b32_e32 v8, v25, v24
	v_lshlrev_b32_e32 v28, 3, v8
	v_add_u32_e32 v8, s20, v0
	v_rcp_iflag_f32_e32 v3, v3
	s_add_i32 s33, s0, s1
	v_cmp_gt_u32_e64 s[0:1], s15, v24
	v_add_u32_e32 v10, s20, v8
	v_mul_f32_e32 v3, 0x4f7ffffe, v3
	v_cvt_u32_f32_e32 v3, v3
	v_or_b32_e32 v12, 12, v24
	v_cmp_gt_u32_e64 s[8:9], s15, v12
	v_add_u32_e32 v12, s20, v10
	s_and_b64 s[20:21], s[0:1], s[2:3]
	s_sub_i32 s0, 0, s14
	v_mul_lo_u32 v14, s0, v3
	v_mul_hi_u32 v14, v3, v14
	v_mov_b32_e32 v9, v1
	v_mov_b32_e32 v11, v1
	;; [unrolled: 1-line block ×3, first 2 shown]
	s_and_b64 s[4:5], s[2:3], s[4:5]
	s_and_b64 s[6:7], s[2:3], s[6:7]
	;; [unrolled: 1-line block ×3, first 2 shown]
	v_add_u32_e32 v29, v3, v14
	v_or_b32_e32 v30, -4, v24
	s_mov_b64 s[22:23], 0
	v_mov_b32_e32 v14, v1
	v_mov_b32_e32 v15, v1
	s_mov_b64 s[24:25], 0x60
	v_mov_b32_e32 v31, 1
	v_mov_b32_e32 v3, v1
	s_branch .LBB157_10
.LBB157_8:                              ;   in Loop: Header=BB157_10 Depth=1
	s_or_b64 exec, exec, s[0:1]
	v_mov_b32_e32 v16, 1
.LBB157_9:                              ;   in Loop: Header=BB157_10 Depth=1
	s_or_b64 exec, exec, s[2:3]
	v_mov_b32_dpp v3, v32 row_shr:1 row_mask:0xf bank_mask:0xf
	v_min_i32_e32 v3, v3, v32
	v_add_u32_e32 v2, v16, v2
	s_waitcnt lgkmcnt(0)
	v_mov_b32_dpp v17, v3 row_shr:2 row_mask:0xf bank_mask:0xf
	v_min_i32_e32 v3, v17, v3
	s_nop 1
	v_mov_b32_dpp v17, v3 row_shr:4 row_mask:0xf bank_mask:0xe
	v_min_i32_e32 v3, v17, v3
	s_nop 1
	;; [unrolled: 3-line block ×3, first 2 shown]
	v_mov_b32_dpp v17, v3 row_bcast:15 row_mask:0xa bank_mask:0xf
	v_min_i32_e32 v3, v17, v3
	s_nop 1
	v_mov_b32_dpp v17, v3 row_bcast:31 row_mask:0xc bank_mask:0xf
	v_min_i32_e32 v3, v17, v3
	ds_bpermute_b32 v3, v27, v3
	s_waitcnt lgkmcnt(0)
	v_cmp_le_i32_e64 s[0:1], s13, v3
	s_or_b64 s[22:23], s[0:1], s[22:23]
	s_andn2_b64 exec, exec, s[22:23]
	s_cbranch_execz .LBB157_29
.LBB157_10:                             ; =>This Loop Header: Depth=1
                                        ;     Child Loop BB157_11 Depth 2
                                        ;     Child Loop BB157_15 Depth 2
	s_mov_b64 s[2:3], 0
	v_mov_b32_e32 v16, v28
	v_mov_b32_e32 v17, v30
	ds_write_b8 v22, v1 offset:8192
.LBB157_11:                             ;   Parent Loop BB157_10 Depth=1
                                        ; =>  This Inner Loop Header: Depth=2
	v_add_u32_e32 v17, 4, v17
	v_cmp_lt_u32_e64 s[0:1], 11, v17
	ds_write_b64 v16, v[14:15]
	s_or_b64 s[2:3], s[0:1], s[2:3]
	v_add_u32_e32 v16, 32, v16
	s_andn2_b64 exec, exec, s[2:3]
	s_cbranch_execnz .LBB157_11
; %bb.12:                               ;   in Loop: Header=BB157_10 Depth=1
	s_or_b64 exec, exec, s[2:3]
	v_add_u32_e32 v16, v20, v24
	v_cmp_lt_i32_e64 s[0:1], v16, v23
	v_mov_b32_e32 v32, s13
	v_mov_b32_e32 v17, v23
	s_waitcnt lgkmcnt(0)
	s_and_saveexec_b64 s[26:27], s[0:1]
	s_cbranch_execz .LBB157_20
; %bb.13:                               ;   in Loop: Header=BB157_10 Depth=1
	v_ashrrev_i32_e32 v17, 31, v16
	v_mul_lo_u32 v33, v3, s15
	v_lshl_add_u64 v[18:19], v[16:17], 2, s[18:19]
	v_lshl_add_u64 v[20:21], v[16:17], 3, s[10:11]
	s_mov_b64 s[28:29], 0
	v_mov_b32_e32 v32, s13
	v_mov_b32_e32 v17, v23
	s_branch .LBB157_15
.LBB157_14:                             ;   in Loop: Header=BB157_15 Depth=2
	s_or_b64 exec, exec, s[2:3]
	v_add_u32_e32 v16, 4, v16
	v_cmp_ge_i32_e64 s[2:3], v16, v23
	s_xor_b64 s[0:1], s[0:1], -1
	s_or_b64 s[0:1], s[0:1], s[2:3]
	s_and_b64 s[0:1], exec, s[0:1]
	v_lshl_add_u64 v[18:19], v[18:19], 0, 16
	s_or_b64 s[28:29], s[0:1], s[28:29]
	v_lshl_add_u64 v[20:21], v[20:21], 0, 32
	s_andn2_b64 exec, exec, s[28:29]
	s_cbranch_execz .LBB157_19
.LBB157_15:                             ;   Parent Loop BB157_10 Depth=1
                                        ; =>  This Inner Loop Header: Depth=2
	global_load_dword v34, v[18:19], off
	s_waitcnt vmcnt(0)
	v_subrev_u32_e32 v34, s30, v34
	v_sub_u32_e32 v36, 0, v34
	v_max_i32_e32 v36, v34, v36
	v_mul_hi_u32 v37, v36, v29
	v_mul_lo_u32 v38, v37, s14
	v_sub_u32_e32 v36, v36, v38
	v_add_u32_e32 v39, 1, v37
	v_cmp_le_u32_e64 s[0:1], s14, v36
	v_subrev_u32_e32 v38, s14, v36
	v_ashrrev_i32_e32 v35, 31, v34
	v_cndmask_b32_e64 v37, v37, v39, s[0:1]
	v_cndmask_b32_e64 v36, v36, v38, s[0:1]
	v_add_u32_e32 v38, 1, v37
	v_cmp_le_u32_e64 s[0:1], s14, v36
	v_xor_b32_e32 v35, s12, v35
	s_nop 0
	v_cndmask_b32_e64 v36, v37, v38, s[0:1]
	v_xor_b32_e32 v36, v36, v35
	v_sub_u32_e32 v36, v36, v35
	v_cmp_eq_u32_e64 s[0:1], v36, v3
	v_cmp_ne_u32_e64 s[2:3], v36, v3
	v_mov_b32_e32 v35, v17
	s_and_saveexec_b64 s[36:37], s[2:3]
	s_xor_b64 s[2:3], exec, s[36:37]
; %bb.16:                               ;   in Loop: Header=BB157_15 Depth=2
	v_min_i32_e32 v32, v36, v32
                                        ; implicit-def: $vgpr34
                                        ; implicit-def: $vgpr35
; %bb.17:                               ;   in Loop: Header=BB157_15 Depth=2
	s_or_saveexec_b64 s[2:3], s[2:3]
	v_mov_b32_e32 v17, v16
	s_xor_b64 exec, exec, s[2:3]
	s_cbranch_execz .LBB157_14
; %bb.18:                               ;   in Loop: Header=BB157_15 Depth=2
	global_load_dwordx2 v[36:37], v[20:21], off
	v_sub_u32_e32 v17, v34, v33
	v_add_lshl_u32 v17, v25, v17, 3
	ds_write_b8 v22, v31 offset:8192
	s_waitcnt vmcnt(0)
	ds_write_b64 v17, v[36:37]
	v_mov_b32_e32 v17, v35
	s_branch .LBB157_14
.LBB157_19:                             ;   in Loop: Header=BB157_10 Depth=1
	s_or_b64 exec, exec, s[28:29]
.LBB157_20:                             ;   in Loop: Header=BB157_10 Depth=1
	s_or_b64 exec, exec, s[26:27]
	v_mov_b32_dpp v16, v17 row_shr:1 row_mask:0xf bank_mask:0xf
	v_min_i32_e32 v16, v16, v17
	s_waitcnt lgkmcnt(0)
	ds_read_u8 v17, v22 offset:8192
	v_mov_b32_dpp v18, v16 row_shr:2 row_mask:0xf bank_mask:0xf
	v_min_i32_e32 v16, v18, v16
	ds_bpermute_b32 v20, v26, v16
	s_waitcnt lgkmcnt(1)
	v_and_b32_e32 v16, 1, v17
	v_cmp_eq_u32_e64 s[0:1], 1, v16
	v_mov_b32_e32 v16, 0
	s_and_saveexec_b64 s[2:3], s[0:1]
	s_cbranch_execz .LBB157_9
; %bb.21:                               ;   in Loop: Header=BB157_10 Depth=1
	v_add_u32_e32 v18, s31, v3
	v_ashrrev_i32_e32 v3, 31, v2
	v_lshl_add_u64 v[16:17], v[2:3], 2, s[16:17]
	global_store_dword v[16:17], v18, off
	v_mul_lo_u32 v18, s33, v2
	v_mul_lo_u32 v3, s34, v3
	v_mad_u64_u32 v[16:17], s[0:1], s34, v2, 0
	v_add3_u32 v17, v17, v3, v18
	v_lshlrev_b64 v[18:19], 3, v[16:17]
	v_lshl_add_u64 v[16:17], v[4:5], 0, v[18:19]
	v_lshl_add_u64 v[18:19], v[6:7], 0, v[18:19]
	s_and_saveexec_b64 s[0:1], s[20:21]
	s_cbranch_execnz .LBB157_25
; %bb.22:                               ;   in Loop: Header=BB157_10 Depth=1
	s_or_b64 exec, exec, s[0:1]
	s_and_saveexec_b64 s[0:1], s[4:5]
	s_cbranch_execnz .LBB157_26
.LBB157_23:                             ;   in Loop: Header=BB157_10 Depth=1
	s_or_b64 exec, exec, s[0:1]
	s_and_saveexec_b64 s[0:1], s[6:7]
	s_cbranch_execnz .LBB157_27
.LBB157_24:                             ;   in Loop: Header=BB157_10 Depth=1
	s_or_b64 exec, exec, s[0:1]
	s_and_saveexec_b64 s[0:1], s[8:9]
	s_cbranch_execz .LBB157_8
	s_branch .LBB157_28
.LBB157_25:                             ;   in Loop: Header=BB157_10 Depth=1
	ds_read_b64 v[34:35], v28
	v_lshl_add_u64 v[36:37], v[0:1], 3, v[16:17]
	v_cndmask_b32_e32 v37, v37, v19, vcc
	v_cndmask_b32_e32 v36, v36, v18, vcc
	s_waitcnt lgkmcnt(0)
	global_store_dwordx2 v[36:37], v[34:35], off
	s_or_b64 exec, exec, s[0:1]
	s_and_saveexec_b64 s[0:1], s[4:5]
	s_cbranch_execz .LBB157_23
.LBB157_26:                             ;   in Loop: Header=BB157_10 Depth=1
	ds_read_b64 v[34:35], v28 offset:32
	v_lshl_add_u64 v[36:37], v[18:19], 0, 32
	v_lshl_add_u64 v[38:39], v[8:9], 3, v[16:17]
	v_cndmask_b32_e32 v37, v39, v37, vcc
	v_cndmask_b32_e32 v36, v38, v36, vcc
	s_waitcnt lgkmcnt(0)
	global_store_dwordx2 v[36:37], v[34:35], off
	s_or_b64 exec, exec, s[0:1]
	s_and_saveexec_b64 s[0:1], s[6:7]
	s_cbranch_execz .LBB157_24
.LBB157_27:                             ;   in Loop: Header=BB157_10 Depth=1
	ds_read_b64 v[34:35], v28 offset:64
	v_lshl_add_u64 v[36:37], v[18:19], 0, 64
	v_lshl_add_u64 v[38:39], v[10:11], 3, v[16:17]
	v_cndmask_b32_e32 v37, v39, v37, vcc
	v_cndmask_b32_e32 v36, v38, v36, vcc
	s_waitcnt lgkmcnt(0)
	global_store_dwordx2 v[36:37], v[34:35], off
	s_or_b64 exec, exec, s[0:1]
	s_and_saveexec_b64 s[0:1], s[8:9]
	s_cbranch_execz .LBB157_8
.LBB157_28:                             ;   in Loop: Header=BB157_10 Depth=1
	ds_read_b64 v[34:35], v28 offset:96
	v_lshl_add_u64 v[18:19], v[18:19], 0, s[24:25]
	v_lshl_add_u64 v[16:17], v[12:13], 3, v[16:17]
	v_cndmask_b32_e32 v17, v17, v19, vcc
	v_cndmask_b32_e32 v16, v16, v18, vcc
	s_waitcnt lgkmcnt(0)
	global_store_dwordx2 v[16:17], v[34:35], off
	s_branch .LBB157_8
.LBB157_29:
	s_endpgm
	.section	.rodata,"a",@progbits
	.p2align	6, 0x0
	.amdhsa_kernel _ZN9rocsparseL44csr2gebsr_wavefront_per_row_multipass_kernelILi256ELi16ELi16ELi64E21rocsparse_complex_numIfEEEv20rocsparse_direction_iiiiii21rocsparse_index_base_PKT3_PKiS9_S4_PS5_PiSB_
		.amdhsa_group_segment_fixed_size 8196
		.amdhsa_private_segment_fixed_size 0
		.amdhsa_kernarg_size 88
		.amdhsa_user_sgpr_count 2
		.amdhsa_user_sgpr_dispatch_ptr 0
		.amdhsa_user_sgpr_queue_ptr 0
		.amdhsa_user_sgpr_kernarg_segment_ptr 1
		.amdhsa_user_sgpr_dispatch_id 0
		.amdhsa_user_sgpr_kernarg_preload_length 0
		.amdhsa_user_sgpr_kernarg_preload_offset 0
		.amdhsa_user_sgpr_private_segment_size 0
		.amdhsa_uses_dynamic_stack 0
		.amdhsa_enable_private_segment 0
		.amdhsa_system_sgpr_workgroup_id_x 1
		.amdhsa_system_sgpr_workgroup_id_y 0
		.amdhsa_system_sgpr_workgroup_id_z 0
		.amdhsa_system_sgpr_workgroup_info 0
		.amdhsa_system_vgpr_workitem_id 0
		.amdhsa_next_free_vgpr 40
		.amdhsa_next_free_sgpr 38
		.amdhsa_accum_offset 40
		.amdhsa_reserve_vcc 1
		.amdhsa_float_round_mode_32 0
		.amdhsa_float_round_mode_16_64 0
		.amdhsa_float_denorm_mode_32 3
		.amdhsa_float_denorm_mode_16_64 3
		.amdhsa_dx10_clamp 1
		.amdhsa_ieee_mode 1
		.amdhsa_fp16_overflow 0
		.amdhsa_tg_split 0
		.amdhsa_exception_fp_ieee_invalid_op 0
		.amdhsa_exception_fp_denorm_src 0
		.amdhsa_exception_fp_ieee_div_zero 0
		.amdhsa_exception_fp_ieee_overflow 0
		.amdhsa_exception_fp_ieee_underflow 0
		.amdhsa_exception_fp_ieee_inexact 0
		.amdhsa_exception_int_div_zero 0
	.end_amdhsa_kernel
	.section	.text._ZN9rocsparseL44csr2gebsr_wavefront_per_row_multipass_kernelILi256ELi16ELi16ELi64E21rocsparse_complex_numIfEEEv20rocsparse_direction_iiiiii21rocsparse_index_base_PKT3_PKiS9_S4_PS5_PiSB_,"axG",@progbits,_ZN9rocsparseL44csr2gebsr_wavefront_per_row_multipass_kernelILi256ELi16ELi16ELi64E21rocsparse_complex_numIfEEEv20rocsparse_direction_iiiiii21rocsparse_index_base_PKT3_PKiS9_S4_PS5_PiSB_,comdat
.Lfunc_end157:
	.size	_ZN9rocsparseL44csr2gebsr_wavefront_per_row_multipass_kernelILi256ELi16ELi16ELi64E21rocsparse_complex_numIfEEEv20rocsparse_direction_iiiiii21rocsparse_index_base_PKT3_PKiS9_S4_PS5_PiSB_, .Lfunc_end157-_ZN9rocsparseL44csr2gebsr_wavefront_per_row_multipass_kernelILi256ELi16ELi16ELi64E21rocsparse_complex_numIfEEEv20rocsparse_direction_iiiiii21rocsparse_index_base_PKT3_PKiS9_S4_PS5_PiSB_
                                        ; -- End function
	.section	.AMDGPU.csdata,"",@progbits
; Kernel info:
; codeLenInByte = 1556
; NumSgprs: 44
; NumVgprs: 40
; NumAgprs: 0
; TotalNumVgprs: 40
; ScratchSize: 0
; MemoryBound: 0
; FloatMode: 240
; IeeeMode: 1
; LDSByteSize: 8196 bytes/workgroup (compile time only)
; SGPRBlocks: 5
; VGPRBlocks: 4
; NumSGPRsForWavesPerEU: 44
; NumVGPRsForWavesPerEU: 40
; AccumOffset: 40
; Occupancy: 7
; WaveLimiterHint : 0
; COMPUTE_PGM_RSRC2:SCRATCH_EN: 0
; COMPUTE_PGM_RSRC2:USER_SGPR: 2
; COMPUTE_PGM_RSRC2:TRAP_HANDLER: 0
; COMPUTE_PGM_RSRC2:TGID_X_EN: 1
; COMPUTE_PGM_RSRC2:TGID_Y_EN: 0
; COMPUTE_PGM_RSRC2:TGID_Z_EN: 0
; COMPUTE_PGM_RSRC2:TIDIG_COMP_CNT: 0
; COMPUTE_PGM_RSRC3_GFX90A:ACCUM_OFFSET: 9
; COMPUTE_PGM_RSRC3_GFX90A:TG_SPLIT: 0
	.section	.text._ZN9rocsparseL44csr2gebsr_wavefront_per_row_multipass_kernelILi256ELi16ELi16ELi32E21rocsparse_complex_numIfEEEv20rocsparse_direction_iiiiii21rocsparse_index_base_PKT3_PKiS9_S4_PS5_PiSB_,"axG",@progbits,_ZN9rocsparseL44csr2gebsr_wavefront_per_row_multipass_kernelILi256ELi16ELi16ELi32E21rocsparse_complex_numIfEEEv20rocsparse_direction_iiiiii21rocsparse_index_base_PKT3_PKiS9_S4_PS5_PiSB_,comdat
	.globl	_ZN9rocsparseL44csr2gebsr_wavefront_per_row_multipass_kernelILi256ELi16ELi16ELi32E21rocsparse_complex_numIfEEEv20rocsparse_direction_iiiiii21rocsparse_index_base_PKT3_PKiS9_S4_PS5_PiSB_ ; -- Begin function _ZN9rocsparseL44csr2gebsr_wavefront_per_row_multipass_kernelILi256ELi16ELi16ELi32E21rocsparse_complex_numIfEEEv20rocsparse_direction_iiiiii21rocsparse_index_base_PKT3_PKiS9_S4_PS5_PiSB_
	.p2align	8
	.type	_ZN9rocsparseL44csr2gebsr_wavefront_per_row_multipass_kernelILi256ELi16ELi16ELi32E21rocsparse_complex_numIfEEEv20rocsparse_direction_iiiiii21rocsparse_index_base_PKT3_PKiS9_S4_PS5_PiSB_,@function
_ZN9rocsparseL44csr2gebsr_wavefront_per_row_multipass_kernelILi256ELi16ELi16ELi32E21rocsparse_complex_numIfEEEv20rocsparse_direction_iiiiii21rocsparse_index_base_PKT3_PKiS9_S4_PS5_PiSB_: ; @_ZN9rocsparseL44csr2gebsr_wavefront_per_row_multipass_kernelILi256ELi16ELi16ELi32E21rocsparse_complex_numIfEEEv20rocsparse_direction_iiiiii21rocsparse_index_base_PKT3_PKiS9_S4_PS5_PiSB_
; %bb.0:
	s_load_dwordx2 s[4:5], s[0:1], 0x0
	s_load_dwordx4 s[20:23], s[0:1], 0xc
	s_load_dword s33, s[0:1], 0x1c
	s_load_dwordx2 s[6:7], s[0:1], 0x28
	v_lshrrev_b32_e32 v32, 5, v0
	v_bfe_u32 v8, v0, 1, 4
	v_lshl_or_b32 v4, s2, 3, v32
	s_waitcnt lgkmcnt(0)
	v_mad_u64_u32 v[2:3], s[2:3], v4, s22, v[8:9]
	v_cmp_gt_i32_e32 vcc, s5, v2
	v_cmp_gt_i32_e64 s[2:3], s22, v8
	s_and_b64 s[8:9], s[2:3], vcc
	v_mov_b32_e32 v33, 0
	v_mov_b32_e32 v22, 0
	s_and_saveexec_b64 s[10:11], s[8:9]
	s_cbranch_execz .LBB158_2
; %bb.1:
	v_ashrrev_i32_e32 v3, 31, v2
	v_lshl_add_u64 v[6:7], v[2:3], 2, s[6:7]
	global_load_dword v1, v[6:7], off
	s_waitcnt vmcnt(0)
	v_subrev_u32_e32 v22, s33, v1
.LBB158_2:
	s_or_b64 exec, exec, s[10:11]
	s_and_saveexec_b64 s[10:11], s[8:9]
	s_cbranch_execz .LBB158_4
; %bb.3:
	v_ashrrev_i32_e32 v3, 31, v2
	v_lshl_add_u64 v[2:3], v[2:3], 2, s[6:7]
	global_load_dword v1, v[2:3], off offset:4
	s_waitcnt vmcnt(0)
	v_subrev_u32_e32 v33, s33, v1
.LBB158_4:
	s_or_b64 exec, exec, s[10:11]
	s_load_dword s44, s[0:1], 0x38
	v_cmp_gt_i32_e32 vcc, s20, v4
	v_mov_b32_e32 v2, 0
	s_and_saveexec_b64 s[6:7], vcc
	s_cbranch_execz .LBB158_6
; %bb.5:
	s_load_dwordx2 s[8:9], s[0:1], 0x48
	v_ashrrev_i32_e32 v5, 31, v4
	s_waitcnt lgkmcnt(0)
	v_lshl_add_u64 v[2:3], v[4:5], 2, s[8:9]
	global_load_dword v1, v[2:3], off
	s_waitcnt vmcnt(0)
	v_subrev_u32_e32 v2, s44, v1
.LBB158_6:
	s_or_b64 exec, exec, s[6:7]
	s_cmp_lt_i32 s21, 1
	s_cbranch_scc1 .LBB158_35
; %bb.7:
	s_load_dwordx2 s[18:19], s[0:1], 0x20
	s_load_dwordx2 s[24:25], s[0:1], 0x50
	;; [unrolled: 1-line block ×4, first 2 shown]
	v_lshlrev_b32_e32 v1, 8, v32
	v_lshl_or_b32 v34, v8, 4, v1
	v_lshlrev_b32_e32 v4, 3, v8
	v_mul_lo_u32 v8, v8, s23
	v_and_b32_e32 v0, 1, v0
	v_mbcnt_lo_u32_b32 v1, -1, 0
	s_cmp_eq_u32 s4, 0
	v_mov_b32_e32 v5, 0
	v_ashrrev_i32_e32 v9, 31, v8
	v_mbcnt_hi_u32_b32 v1, -1, v1
	s_cselect_b64 vcc, -1, 0
	s_ashr_i32 s20, s23, 31
	s_waitcnt lgkmcnt(0)
	v_lshl_add_u64 v[6:7], s[6:7], 0, v[4:5]
	v_lshl_add_u64 v[8:9], v[8:9], 3, s[6:7]
	v_lshlrev_b32_e32 v4, 3, v0
	v_lshlrev_b32_e32 v3, 2, v1
	v_or_b32_e32 v10, v34, v0
	s_mul_hi_u32 s0, s23, s22
	s_mul_i32 s1, s20, s22
	s_mul_i32 s46, s23, s22
	v_lshl_add_u64 v[8:9], v[8:9], 0, v[4:5]
	v_mul_lo_u32 v4, v0, s22
	s_lshl_b32 s22, s22, 1
	v_or_b32_e32 v36, 4, v3
	v_or_b32_e32 v37, 0x7c, v3
	v_lshlrev_b32_e32 v38, 3, v10
	v_or_b32_e32 v3, 2, v0
	v_add_u32_e32 v10, s22, v4
	v_cmp_gt_u32_e64 s[4:5], s23, v3
	v_or_b32_e32 v3, 4, v0
	v_add_u32_e32 v12, s22, v10
	v_cmp_gt_u32_e64 s[6:7], s23, v3
	;; [unrolled: 3-line block ×6, first 2 shown]
	v_or_b32_e32 v3, 14, v0
	v_add_u32_e32 v24, s22, v20
	s_abs_i32 s22, s23
	v_cmp_gt_u32_e64 s[16:17], s23, v3
	v_cvt_f32_u32_e32 v3, s22
	s_add_i32 s45, s0, s1
	v_cmp_gt_u32_e64 s[0:1], s23, v0
	s_and_b64 s[28:29], s[0:1], s[2:3]
	v_rcp_iflag_f32_e32 v3, v3
	s_sub_i32 s0, 0, s22
	s_mov_b32 s34, 0
	s_mov_b32 s35, s34
	v_mul_f32_e32 v3, 0x4f7ffffe, v3
	v_cvt_u32_f32_e32 v3, v3
	v_mov_b32_e32 v35, 0
	v_mov_b32_e32 v1, v5
	;; [unrolled: 1-line block ×3, first 2 shown]
	v_mul_lo_u32 v23, s0, v3
	v_mul_hi_u32 v23, v3, v23
	v_mov_b32_e32 v13, v5
	v_mov_b32_e32 v15, v5
	;; [unrolled: 1-line block ×6, first 2 shown]
	s_and_b64 s[4:5], s[2:3], s[4:5]
	s_and_b64 s[6:7], s[2:3], s[6:7]
	;; [unrolled: 1-line block ×7, first 2 shown]
	v_add_u32_e32 v39, v3, v23
	s_mov_b64 s[30:31], 0
	v_mov_b64_e32 v[26:27], s[34:35]
	s_mov_b64 s[34:35], 0x50
	s_mov_b64 s[36:37], 0x60
	;; [unrolled: 1-line block ×3, first 2 shown]
	v_mov_b32_e32 v40, 1
	v_mov_b32_e32 v3, 0
	s_branch .LBB158_10
.LBB158_8:                              ;   in Loop: Header=BB158_10 Depth=1
	s_or_b64 exec, exec, s[0:1]
	v_mov_b32_e32 v23, 1
.LBB158_9:                              ;   in Loop: Header=BB158_10 Depth=1
	s_or_b64 exec, exec, s[2:3]
	v_mov_b32_dpp v3, v41 row_shr:1 row_mask:0xf bank_mask:0xf
	v_min_i32_e32 v3, v3, v41
	v_add_u32_e32 v2, v23, v2
	s_waitcnt lgkmcnt(0)
	v_mov_b32_dpp v28, v3 row_shr:2 row_mask:0xf bank_mask:0xf
	v_min_i32_e32 v3, v28, v3
	s_nop 1
	v_mov_b32_dpp v28, v3 row_shr:4 row_mask:0xf bank_mask:0xe
	v_min_i32_e32 v3, v28, v3
	s_nop 1
	;; [unrolled: 3-line block ×3, first 2 shown]
	v_mov_b32_dpp v28, v3 row_bcast:15 row_mask:0xa bank_mask:0xf
	v_min_i32_e32 v3, v28, v3
	ds_bpermute_b32 v3, v37, v3
	s_waitcnt lgkmcnt(0)
	v_cmp_le_i32_e64 s[0:1], s21, v3
	s_or_b64 s[30:31], s[0:1], s[30:31]
	s_andn2_b64 exec, exec, s[30:31]
	s_cbranch_execz .LBB158_35
.LBB158_10:                             ; =>This Loop Header: Depth=1
                                        ;     Child Loop BB158_13 Depth 2
	v_add_u32_e32 v30, v22, v0
	v_cmp_lt_i32_e64 s[0:1], v30, v33
	v_mov_b32_e32 v41, s21
	v_mov_b32_e32 v42, v33
	ds_write_b8 v32, v35 offset:16384
	ds_write2_b64 v38, v[26:27], v[26:27] offset1:2
	ds_write2_b64 v38, v[26:27], v[26:27] offset0:4 offset1:6
	ds_write2_b64 v38, v[26:27], v[26:27] offset0:8 offset1:10
	;; [unrolled: 1-line block ×3, first 2 shown]
	s_waitcnt lgkmcnt(0)
	s_and_saveexec_b64 s[40:41], s[0:1]
	s_cbranch_execz .LBB158_18
; %bb.11:                               ;   in Loop: Header=BB158_10 Depth=1
	v_ashrrev_i32_e32 v23, 31, v22
	v_lshl_add_u64 v[28:29], v[0:1], 0, v[22:23]
	v_mul_lo_u32 v31, v3, s23
	v_lshl_add_u64 v[22:23], v[28:29], 2, s[26:27]
	v_lshl_add_u64 v[28:29], v[28:29], 3, s[18:19]
	s_mov_b64 s[42:43], 0
	v_mov_b32_e32 v41, s21
	v_mov_b32_e32 v42, v33
	s_branch .LBB158_13
.LBB158_12:                             ;   in Loop: Header=BB158_13 Depth=2
	s_or_b64 exec, exec, s[2:3]
	v_add_u32_e32 v30, 2, v30
	v_cmp_ge_i32_e64 s[2:3], v30, v33
	s_xor_b64 s[0:1], s[0:1], -1
	s_or_b64 s[0:1], s[0:1], s[2:3]
	s_and_b64 s[0:1], exec, s[0:1]
	v_lshl_add_u64 v[22:23], v[22:23], 0, 8
	s_or_b64 s[42:43], s[0:1], s[42:43]
	v_lshl_add_u64 v[28:29], v[28:29], 0, 16
	s_andn2_b64 exec, exec, s[42:43]
	s_cbranch_execz .LBB158_17
.LBB158_13:                             ;   Parent Loop BB158_10 Depth=1
                                        ; =>  This Inner Loop Header: Depth=2
	global_load_dword v43, v[22:23], off
	s_waitcnt vmcnt(0)
	v_subrev_u32_e32 v43, s33, v43
	v_sub_u32_e32 v45, 0, v43
	v_max_i32_e32 v45, v43, v45
	v_mul_hi_u32 v46, v45, v39
	v_mul_lo_u32 v47, v46, s22
	v_sub_u32_e32 v45, v45, v47
	v_add_u32_e32 v48, 1, v46
	v_cmp_le_u32_e64 s[0:1], s22, v45
	v_subrev_u32_e32 v47, s22, v45
	v_ashrrev_i32_e32 v44, 31, v43
	v_cndmask_b32_e64 v46, v46, v48, s[0:1]
	v_cndmask_b32_e64 v45, v45, v47, s[0:1]
	v_add_u32_e32 v47, 1, v46
	v_cmp_le_u32_e64 s[0:1], s22, v45
	v_xor_b32_e32 v44, s20, v44
	s_nop 0
	v_cndmask_b32_e64 v45, v46, v47, s[0:1]
	v_xor_b32_e32 v45, v45, v44
	v_sub_u32_e32 v45, v45, v44
	v_cmp_eq_u32_e64 s[0:1], v45, v3
	v_cmp_ne_u32_e64 s[2:3], v45, v3
	v_mov_b32_e32 v44, v42
	s_and_saveexec_b64 s[48:49], s[2:3]
	s_xor_b64 s[2:3], exec, s[48:49]
; %bb.14:                               ;   in Loop: Header=BB158_13 Depth=2
	v_min_i32_e32 v41, v45, v41
                                        ; implicit-def: $vgpr43
                                        ; implicit-def: $vgpr44
; %bb.15:                               ;   in Loop: Header=BB158_13 Depth=2
	s_or_saveexec_b64 s[2:3], s[2:3]
	v_mov_b32_e32 v42, v30
	s_xor_b64 exec, exec, s[2:3]
	s_cbranch_execz .LBB158_12
; %bb.16:                               ;   in Loop: Header=BB158_13 Depth=2
	global_load_dwordx2 v[46:47], v[28:29], off
	v_sub_u32_e32 v42, v43, v31
	v_add_lshl_u32 v42, v34, v42, 3
	ds_write_b8 v32, v40 offset:16384
	s_waitcnt vmcnt(0)
	ds_write_b64 v42, v[46:47]
	v_mov_b32_e32 v42, v44
	s_branch .LBB158_12
.LBB158_17:                             ;   in Loop: Header=BB158_10 Depth=1
	s_or_b64 exec, exec, s[42:43]
.LBB158_18:                             ;   in Loop: Header=BB158_10 Depth=1
	s_or_b64 exec, exec, s[40:41]
	s_waitcnt lgkmcnt(0)
	ds_read_u8 v23, v32 offset:16384
	v_mov_b32_dpp v22, v42 row_shr:1 row_mask:0xf bank_mask:0xf
	v_min_i32_e32 v22, v22, v42
	ds_bpermute_b32 v22, v36, v22
	s_waitcnt lgkmcnt(1)
	v_and_b32_e32 v23, 1, v23
	v_cmp_eq_u32_e64 s[0:1], 1, v23
	v_mov_b32_e32 v23, 0
	s_and_saveexec_b64 s[2:3], s[0:1]
	s_cbranch_execz .LBB158_9
; %bb.19:                               ;   in Loop: Header=BB158_10 Depth=1
	v_add_u32_e32 v23, s44, v3
	v_ashrrev_i32_e32 v3, 31, v2
	v_lshl_add_u64 v[28:29], v[2:3], 2, s[24:25]
	global_store_dword v[28:29], v23, off
	v_mul_lo_u32 v23, s45, v2
	v_mul_lo_u32 v3, s46, v3
	v_mad_u64_u32 v[28:29], s[0:1], s46, v2, 0
	v_add3_u32 v29, v29, v3, v23
	v_lshlrev_b64 v[30:31], 3, v[28:29]
	v_lshl_add_u64 v[28:29], v[6:7], 0, v[30:31]
	v_lshl_add_u64 v[30:31], v[8:9], 0, v[30:31]
	s_and_saveexec_b64 s[0:1], s[28:29]
	s_cbranch_execnz .LBB158_27
; %bb.20:                               ;   in Loop: Header=BB158_10 Depth=1
	s_or_b64 exec, exec, s[0:1]
	s_and_saveexec_b64 s[0:1], s[4:5]
	s_cbranch_execnz .LBB158_28
.LBB158_21:                             ;   in Loop: Header=BB158_10 Depth=1
	s_or_b64 exec, exec, s[0:1]
	s_and_saveexec_b64 s[0:1], s[6:7]
	s_cbranch_execnz .LBB158_29
.LBB158_22:                             ;   in Loop: Header=BB158_10 Depth=1
	s_or_b64 exec, exec, s[0:1]
	s_and_saveexec_b64 s[0:1], s[8:9]
	s_cbranch_execnz .LBB158_30
.LBB158_23:                             ;   in Loop: Header=BB158_10 Depth=1
	s_or_b64 exec, exec, s[0:1]
	s_and_saveexec_b64 s[0:1], s[10:11]
	s_cbranch_execnz .LBB158_31
.LBB158_24:                             ;   in Loop: Header=BB158_10 Depth=1
	s_or_b64 exec, exec, s[0:1]
	s_and_saveexec_b64 s[0:1], s[12:13]
	s_cbranch_execnz .LBB158_32
.LBB158_25:                             ;   in Loop: Header=BB158_10 Depth=1
	s_or_b64 exec, exec, s[0:1]
	s_and_saveexec_b64 s[0:1], s[14:15]
	s_cbranch_execnz .LBB158_33
.LBB158_26:                             ;   in Loop: Header=BB158_10 Depth=1
	s_or_b64 exec, exec, s[0:1]
	s_and_saveexec_b64 s[0:1], s[16:17]
	s_cbranch_execz .LBB158_8
	s_branch .LBB158_34
.LBB158_27:                             ;   in Loop: Header=BB158_10 Depth=1
	ds_read_b64 v[42:43], v38
	v_lshl_add_u64 v[44:45], v[4:5], 3, v[28:29]
	v_cndmask_b32_e32 v45, v45, v31, vcc
	v_cndmask_b32_e32 v44, v44, v30, vcc
	s_waitcnt lgkmcnt(0)
	global_store_dwordx2 v[44:45], v[42:43], off
	s_or_b64 exec, exec, s[0:1]
	s_and_saveexec_b64 s[0:1], s[4:5]
	s_cbranch_execz .LBB158_21
.LBB158_28:                             ;   in Loop: Header=BB158_10 Depth=1
	ds_read_b64 v[42:43], v38 offset:16
	v_lshl_add_u64 v[44:45], v[30:31], 0, 16
	v_lshl_add_u64 v[46:47], v[10:11], 3, v[28:29]
	v_cndmask_b32_e32 v45, v47, v45, vcc
	v_cndmask_b32_e32 v44, v46, v44, vcc
	s_waitcnt lgkmcnt(0)
	global_store_dwordx2 v[44:45], v[42:43], off
	s_or_b64 exec, exec, s[0:1]
	s_and_saveexec_b64 s[0:1], s[6:7]
	s_cbranch_execz .LBB158_22
.LBB158_29:                             ;   in Loop: Header=BB158_10 Depth=1
	ds_read_b64 v[42:43], v38 offset:32
	v_lshl_add_u64 v[44:45], v[30:31], 0, 32
	v_lshl_add_u64 v[46:47], v[12:13], 3, v[28:29]
	v_cndmask_b32_e32 v45, v47, v45, vcc
	v_cndmask_b32_e32 v44, v46, v44, vcc
	s_waitcnt lgkmcnt(0)
	global_store_dwordx2 v[44:45], v[42:43], off
	s_or_b64 exec, exec, s[0:1]
	s_and_saveexec_b64 s[0:1], s[8:9]
	s_cbranch_execz .LBB158_23
.LBB158_30:                             ;   in Loop: Header=BB158_10 Depth=1
	ds_read_b64 v[42:43], v38 offset:48
	v_lshl_add_u64 v[44:45], v[30:31], 0, 48
	v_lshl_add_u64 v[46:47], v[14:15], 3, v[28:29]
	v_cndmask_b32_e32 v45, v47, v45, vcc
	v_cndmask_b32_e32 v44, v46, v44, vcc
	s_waitcnt lgkmcnt(0)
	global_store_dwordx2 v[44:45], v[42:43], off
	s_or_b64 exec, exec, s[0:1]
	s_and_saveexec_b64 s[0:1], s[10:11]
	s_cbranch_execz .LBB158_24
.LBB158_31:                             ;   in Loop: Header=BB158_10 Depth=1
	ds_read_b64 v[42:43], v38 offset:64
	v_lshl_add_u64 v[44:45], v[30:31], 0, 64
	v_lshl_add_u64 v[46:47], v[16:17], 3, v[28:29]
	v_cndmask_b32_e32 v45, v47, v45, vcc
	v_cndmask_b32_e32 v44, v46, v44, vcc
	s_waitcnt lgkmcnt(0)
	global_store_dwordx2 v[44:45], v[42:43], off
	s_or_b64 exec, exec, s[0:1]
	s_and_saveexec_b64 s[0:1], s[12:13]
	s_cbranch_execz .LBB158_25
.LBB158_32:                             ;   in Loop: Header=BB158_10 Depth=1
	ds_read_b64 v[42:43], v38 offset:80
	v_lshl_add_u64 v[44:45], v[30:31], 0, s[34:35]
	v_lshl_add_u64 v[46:47], v[18:19], 3, v[28:29]
	v_cndmask_b32_e32 v45, v47, v45, vcc
	v_cndmask_b32_e32 v44, v46, v44, vcc
	s_waitcnt lgkmcnt(0)
	global_store_dwordx2 v[44:45], v[42:43], off
	s_or_b64 exec, exec, s[0:1]
	s_and_saveexec_b64 s[0:1], s[14:15]
	s_cbranch_execz .LBB158_26
.LBB158_33:                             ;   in Loop: Header=BB158_10 Depth=1
	ds_read_b64 v[42:43], v38 offset:96
	v_lshl_add_u64 v[44:45], v[30:31], 0, s[36:37]
	v_lshl_add_u64 v[46:47], v[20:21], 3, v[28:29]
	v_cndmask_b32_e32 v45, v47, v45, vcc
	v_cndmask_b32_e32 v44, v46, v44, vcc
	s_waitcnt lgkmcnt(0)
	global_store_dwordx2 v[44:45], v[42:43], off
	s_or_b64 exec, exec, s[0:1]
	s_and_saveexec_b64 s[0:1], s[16:17]
	s_cbranch_execz .LBB158_8
.LBB158_34:                             ;   in Loop: Header=BB158_10 Depth=1
	ds_read_b64 v[42:43], v38 offset:112
	v_lshl_add_u64 v[30:31], v[30:31], 0, s[38:39]
	v_lshl_add_u64 v[28:29], v[24:25], 3, v[28:29]
	v_cndmask_b32_e32 v29, v29, v31, vcc
	v_cndmask_b32_e32 v28, v28, v30, vcc
	s_waitcnt lgkmcnt(0)
	global_store_dwordx2 v[28:29], v[42:43], off
	s_branch .LBB158_8
.LBB158_35:
	s_endpgm
	.section	.rodata,"a",@progbits
	.p2align	6, 0x0
	.amdhsa_kernel _ZN9rocsparseL44csr2gebsr_wavefront_per_row_multipass_kernelILi256ELi16ELi16ELi32E21rocsparse_complex_numIfEEEv20rocsparse_direction_iiiiii21rocsparse_index_base_PKT3_PKiS9_S4_PS5_PiSB_
		.amdhsa_group_segment_fixed_size 16392
		.amdhsa_private_segment_fixed_size 0
		.amdhsa_kernarg_size 88
		.amdhsa_user_sgpr_count 2
		.amdhsa_user_sgpr_dispatch_ptr 0
		.amdhsa_user_sgpr_queue_ptr 0
		.amdhsa_user_sgpr_kernarg_segment_ptr 1
		.amdhsa_user_sgpr_dispatch_id 0
		.amdhsa_user_sgpr_kernarg_preload_length 0
		.amdhsa_user_sgpr_kernarg_preload_offset 0
		.amdhsa_user_sgpr_private_segment_size 0
		.amdhsa_uses_dynamic_stack 0
		.amdhsa_enable_private_segment 0
		.amdhsa_system_sgpr_workgroup_id_x 1
		.amdhsa_system_sgpr_workgroup_id_y 0
		.amdhsa_system_sgpr_workgroup_id_z 0
		.amdhsa_system_sgpr_workgroup_info 0
		.amdhsa_system_vgpr_workitem_id 0
		.amdhsa_next_free_vgpr 49
		.amdhsa_next_free_sgpr 50
		.amdhsa_accum_offset 52
		.amdhsa_reserve_vcc 1
		.amdhsa_float_round_mode_32 0
		.amdhsa_float_round_mode_16_64 0
		.amdhsa_float_denorm_mode_32 3
		.amdhsa_float_denorm_mode_16_64 3
		.amdhsa_dx10_clamp 1
		.amdhsa_ieee_mode 1
		.amdhsa_fp16_overflow 0
		.amdhsa_tg_split 0
		.amdhsa_exception_fp_ieee_invalid_op 0
		.amdhsa_exception_fp_denorm_src 0
		.amdhsa_exception_fp_ieee_div_zero 0
		.amdhsa_exception_fp_ieee_overflow 0
		.amdhsa_exception_fp_ieee_underflow 0
		.amdhsa_exception_fp_ieee_inexact 0
		.amdhsa_exception_int_div_zero 0
	.end_amdhsa_kernel
	.section	.text._ZN9rocsparseL44csr2gebsr_wavefront_per_row_multipass_kernelILi256ELi16ELi16ELi32E21rocsparse_complex_numIfEEEv20rocsparse_direction_iiiiii21rocsparse_index_base_PKT3_PKiS9_S4_PS5_PiSB_,"axG",@progbits,_ZN9rocsparseL44csr2gebsr_wavefront_per_row_multipass_kernelILi256ELi16ELi16ELi32E21rocsparse_complex_numIfEEEv20rocsparse_direction_iiiiii21rocsparse_index_base_PKT3_PKiS9_S4_PS5_PiSB_,comdat
.Lfunc_end158:
	.size	_ZN9rocsparseL44csr2gebsr_wavefront_per_row_multipass_kernelILi256ELi16ELi16ELi32E21rocsparse_complex_numIfEEEv20rocsparse_direction_iiiiii21rocsparse_index_base_PKT3_PKiS9_S4_PS5_PiSB_, .Lfunc_end158-_ZN9rocsparseL44csr2gebsr_wavefront_per_row_multipass_kernelILi256ELi16ELi16ELi32E21rocsparse_complex_numIfEEEv20rocsparse_direction_iiiiii21rocsparse_index_base_PKT3_PKiS9_S4_PS5_PiSB_
                                        ; -- End function
	.section	.AMDGPU.csdata,"",@progbits
; Kernel info:
; codeLenInByte = 1908
; NumSgprs: 56
; NumVgprs: 49
; NumAgprs: 0
; TotalNumVgprs: 49
; ScratchSize: 0
; MemoryBound: 0
; FloatMode: 240
; IeeeMode: 1
; LDSByteSize: 16392 bytes/workgroup (compile time only)
; SGPRBlocks: 6
; VGPRBlocks: 6
; NumSGPRsForWavesPerEU: 56
; NumVGPRsForWavesPerEU: 49
; AccumOffset: 52
; Occupancy: 3
; WaveLimiterHint : 0
; COMPUTE_PGM_RSRC2:SCRATCH_EN: 0
; COMPUTE_PGM_RSRC2:USER_SGPR: 2
; COMPUTE_PGM_RSRC2:TRAP_HANDLER: 0
; COMPUTE_PGM_RSRC2:TGID_X_EN: 1
; COMPUTE_PGM_RSRC2:TGID_Y_EN: 0
; COMPUTE_PGM_RSRC2:TGID_Z_EN: 0
; COMPUTE_PGM_RSRC2:TIDIG_COMP_CNT: 0
; COMPUTE_PGM_RSRC3_GFX90A:ACCUM_OFFSET: 12
; COMPUTE_PGM_RSRC3_GFX90A:TG_SPLIT: 0
	.section	.text._ZN9rocsparseL40csr2gebsr_block_per_row_multipass_kernelILj128ELj16ELj32E21rocsparse_complex_numIfEEEv20rocsparse_direction_iiiiii21rocsparse_index_base_PKT2_PKiS9_S4_PS5_PiSB_,"axG",@progbits,_ZN9rocsparseL40csr2gebsr_block_per_row_multipass_kernelILj128ELj16ELj32E21rocsparse_complex_numIfEEEv20rocsparse_direction_iiiiii21rocsparse_index_base_PKT2_PKiS9_S4_PS5_PiSB_,comdat
	.globl	_ZN9rocsparseL40csr2gebsr_block_per_row_multipass_kernelILj128ELj16ELj32E21rocsparse_complex_numIfEEEv20rocsparse_direction_iiiiii21rocsparse_index_base_PKT2_PKiS9_S4_PS5_PiSB_ ; -- Begin function _ZN9rocsparseL40csr2gebsr_block_per_row_multipass_kernelILj128ELj16ELj32E21rocsparse_complex_numIfEEEv20rocsparse_direction_iiiiii21rocsparse_index_base_PKT2_PKiS9_S4_PS5_PiSB_
	.p2align	8
	.type	_ZN9rocsparseL40csr2gebsr_block_per_row_multipass_kernelILj128ELj16ELj32E21rocsparse_complex_numIfEEEv20rocsparse_direction_iiiiii21rocsparse_index_base_PKT2_PKiS9_S4_PS5_PiSB_,@function
_ZN9rocsparseL40csr2gebsr_block_per_row_multipass_kernelILj128ELj16ELj32E21rocsparse_complex_numIfEEEv20rocsparse_direction_iiiiii21rocsparse_index_base_PKT2_PKiS9_S4_PS5_PiSB_: ; @_ZN9rocsparseL40csr2gebsr_block_per_row_multipass_kernelILj128ELj16ELj32E21rocsparse_complex_numIfEEEv20rocsparse_direction_iiiiii21rocsparse_index_base_PKT2_PKiS9_S4_PS5_PiSB_
; %bb.0:
	s_load_dwordx4 s[20:23], s[0:1], 0x10
	s_load_dwordx2 s[6:7], s[0:1], 0x0
	s_load_dwordx2 s[8:9], s[0:1], 0x28
	v_lshrrev_b32_e32 v1, 3, v0
	v_mov_b32_e32 v18, 0
	s_waitcnt lgkmcnt(0)
	s_mul_i32 s3, s2, s21
	v_add_u32_e32 v2, s3, v1
	v_cmp_gt_i32_e64 s[4:5], s7, v2
	v_cmp_gt_i32_e32 vcc, s21, v1
	s_and_b64 s[4:5], vcc, s[4:5]
	v_mov_b32_e32 v27, 0
	s_and_saveexec_b64 s[10:11], s[4:5]
	s_cbranch_execnz .LBB159_3
; %bb.1:
	s_or_b64 exec, exec, s[10:11]
	s_and_saveexec_b64 s[10:11], s[4:5]
	s_cbranch_execnz .LBB159_4
.LBB159_2:
	s_or_b64 exec, exec, s[10:11]
	s_cmp_lt_i32 s20, 1
	s_cbranch_scc0 .LBB159_5
	s_branch .LBB159_39
.LBB159_3:
	v_ashrrev_i32_e32 v3, 31, v2
	v_lshl_add_u64 v[4:5], v[2:3], 2, s[8:9]
	global_load_dword v3, v[4:5], off
	s_waitcnt vmcnt(0)
	v_subrev_u32_e32 v27, s23, v3
	s_or_b64 exec, exec, s[10:11]
	s_and_saveexec_b64 s[10:11], s[4:5]
	s_cbranch_execz .LBB159_2
.LBB159_4:
	v_ashrrev_i32_e32 v3, 31, v2
	v_lshl_add_u64 v[2:3], v[2:3], 2, s[8:9]
	global_load_dword v2, v[2:3], off offset:4
	s_waitcnt vmcnt(0)
	v_subrev_u32_e32 v18, s23, v2
	s_or_b64 exec, exec, s[10:11]
	s_cmp_lt_i32 s20, 1
	s_cbranch_scc1 .LBB159_39
.LBB159_5:
	s_load_dwordx4 s[8:11], s[0:1], 0x40
	s_load_dwordx2 s[18:19], s[0:1], 0x50
	s_load_dword s33, s[0:1], 0x38
	s_ashr_i32 s3, s2, 31
	s_lshl_b64 s[2:3], s[2:3], 2
	s_waitcnt lgkmcnt(0)
	s_add_u32 s2, s10, s2
	s_addc_u32 s3, s11, s3
	s_load_dword s4, s[2:3], 0x0
	s_load_dwordx2 s[24:25], s[0:1], 0x20
	s_load_dwordx2 s[26:27], s[0:1], 0x30
	v_mbcnt_lo_u32_b32 v2, -1, 0
	v_mbcnt_hi_u32_b32 v2, -1, v2
	s_waitcnt lgkmcnt(0)
	s_sub_i32 s28, s4, s33
	v_mul_lo_u32 v6, v1, s22
	v_and_b32_e32 v19, 7, v0
	v_lshl_or_b32 v22, v2, 2, 28
	s_cmp_eq_u32 s6, 0
	v_lshlrev_b32_e32 v2, 3, v1
	v_mov_b32_e32 v3, 0
	v_ashrrev_i32_e32 v7, 31, v6
	s_cselect_b64 s[0:1], -1, 0
	s_ashr_i32 s48, s22, 31
	v_lshl_add_u64 v[4:5], s[8:9], 0, v[2:3]
	v_lshl_add_u64 v[6:7], v[6:7], 3, s[8:9]
	v_lshlrev_b32_e32 v2, 3, v19
	s_mul_hi_u32 s2, s22, s21
	s_mul_i32 s3, s48, s21
	s_mul_i32 s50, s22, s21
	v_lshl_add_u64 v[6:7], v[6:7], 0, v[2:3]
	v_mul_lo_u32 v2, v19, s21
	s_lshl_b32 s29, s21, 3
	s_abs_i32 s21, s22
	v_cvt_f32_u32_e32 v10, s21
	v_lshlrev_b32_e32 v20, 5, v1
	s_add_i32 s49, s2, s3
	v_lshlrev_b32_e32 v23, 2, v0
	v_rcp_iflag_f32_e32 v10, v10
	v_cmp_gt_u32_e64 s[2:3], 64, v0
	v_cmp_gt_u32_e64 s[4:5], 32, v0
	;; [unrolled: 1-line block ×6, first 2 shown]
	v_cmp_eq_u32_e64 s[14:15], 0, v0
	v_or_b32_e32 v0, v20, v19
	v_lshlrev_b32_e32 v24, 3, v0
	v_cmp_gt_u32_e64 s[16:17], s22, v19
	v_or_b32_e32 v0, 8, v19
	v_mul_f32_e32 v10, 0x4f7ffffe, v10
	s_and_b64 s[30:31], vcc, s[16:17]
	v_cmp_gt_u32_e64 s[16:17], s22, v0
	v_or_b32_e32 v8, 16, v19
	v_cvt_u32_f32_e32 v12, v10
	s_and_b64 s[34:35], vcc, s[16:17]
	v_cmp_gt_u32_e64 s[16:17], s22, v8
	v_or_b32_e32 v11, 24, v19
	s_and_b64 s[36:37], vcc, s[16:17]
	v_cmp_gt_u32_e64 s[16:17], s22, v11
	s_and_b64 s[38:39], vcc, s[16:17]
	s_sub_i32 s16, 0, s21
	s_mov_b32 s40, 0
	v_add_u32_e32 v0, s29, v2
	v_mul_lo_u32 v13, s16, v12
	v_add_u32_e32 v8, s29, v0
	v_mul_hi_u32 v13, v12, v13
	s_mov_b32 s41, s40
	v_mov_b32_e32 v21, 0
	v_mov_b32_e32 v1, v3
	;; [unrolled: 1-line block ×3, first 2 shown]
	v_add_u32_e32 v10, s29, v8
	v_mov_b32_e32 v11, v3
	v_add_u32_e32 v25, v12, v13
	v_mov_b64_e32 v[12:13], s[40:41]
	s_mov_b64 s[40:41], 0x80
	s_mov_b64 s[42:43], 0xc0
	v_mov_b32_e32 v26, 1
	v_mov_b32_e32 v16, 0
	s_branch .LBB159_7
.LBB159_6:                              ;   in Loop: Header=BB159_7 Depth=1
	s_or_b64 exec, exec, s[16:17]
	s_waitcnt lgkmcnt(0)
	s_barrier
	ds_read_b32 v16, v3
	s_add_i32 s28, s29, s28
	s_waitcnt lgkmcnt(0)
	s_barrier
	v_cmp_gt_i32_e32 vcc, s20, v16
	s_cbranch_vccz .LBB159_39
.LBB159_7:                              ; =>This Loop Header: Depth=1
                                        ;     Child Loop BB159_10 Depth 2
	v_add_u32_e32 v14, v27, v19
	v_cmp_lt_i32_e32 vcc, v14, v18
	v_mov_b32_e32 v28, s20
	v_mov_b32_e32 v27, v18
	ds_write_b8 v3, v21 offset:4096
	ds_write2_b64 v24, v[12:13], v[12:13] offset1:8
	ds_write2_b64 v24, v[12:13], v[12:13] offset0:16 offset1:24
	s_waitcnt lgkmcnt(0)
	s_barrier
	s_and_saveexec_b64 s[44:45], vcc
	s_cbranch_execz .LBB159_15
; %bb.8:                                ;   in Loop: Header=BB159_7 Depth=1
	v_mul_lo_u32 v17, v16, s22
	s_mov_b64 s[46:47], 0
	v_mov_b32_e32 v28, s20
	v_mov_b32_e32 v27, v18
	s_branch .LBB159_10
.LBB159_9:                              ;   in Loop: Header=BB159_10 Depth=2
	s_or_b64 exec, exec, s[16:17]
	v_add_u32_e32 v14, 8, v14
	v_cmp_ge_i32_e64 s[16:17], v14, v18
	s_xor_b64 s[52:53], vcc, -1
	s_or_b64 s[16:17], s[52:53], s[16:17]
	s_and_b64 s[16:17], exec, s[16:17]
	s_or_b64 s[46:47], s[16:17], s[46:47]
	s_andn2_b64 exec, exec, s[46:47]
	s_cbranch_execz .LBB159_14
.LBB159_10:                             ;   Parent Loop BB159_7 Depth=1
                                        ; =>  This Inner Loop Header: Depth=2
	v_ashrrev_i32_e32 v15, 31, v14
	v_lshl_add_u64 v[30:31], v[14:15], 2, s[26:27]
	global_load_dword v29, v[30:31], off
	s_waitcnt vmcnt(0)
	v_subrev_u32_e32 v29, s23, v29
	v_sub_u32_e32 v31, 0, v29
	v_max_i32_e32 v31, v29, v31
	v_mul_hi_u32 v32, v31, v25
	v_mul_lo_u32 v33, v32, s21
	v_sub_u32_e32 v31, v31, v33
	v_add_u32_e32 v34, 1, v32
	v_cmp_le_u32_e32 vcc, s21, v31
	v_subrev_u32_e32 v33, s21, v31
	v_ashrrev_i32_e32 v30, 31, v29
	v_cndmask_b32_e32 v32, v32, v34, vcc
	v_cndmask_b32_e32 v31, v31, v33, vcc
	v_add_u32_e32 v33, 1, v32
	v_cmp_le_u32_e32 vcc, s21, v31
	v_xor_b32_e32 v30, s48, v30
	s_nop 0
	v_cndmask_b32_e32 v31, v32, v33, vcc
	v_xor_b32_e32 v31, v31, v30
	v_sub_u32_e32 v31, v31, v30
	v_cmp_eq_u32_e32 vcc, v31, v16
	v_cmp_ne_u32_e64 s[16:17], v31, v16
	v_mov_b32_e32 v30, v27
	s_and_saveexec_b64 s[52:53], s[16:17]
	s_xor_b64 s[16:17], exec, s[52:53]
; %bb.11:                               ;   in Loop: Header=BB159_10 Depth=2
	v_min_i32_e32 v28, v31, v28
                                        ; implicit-def: $vgpr29
                                        ; implicit-def: $vgpr30
; %bb.12:                               ;   in Loop: Header=BB159_10 Depth=2
	s_or_saveexec_b64 s[16:17], s[16:17]
	v_mov_b32_e32 v27, v14
	s_xor_b64 exec, exec, s[16:17]
	s_cbranch_execz .LBB159_9
; %bb.13:                               ;   in Loop: Header=BB159_10 Depth=2
	v_lshl_add_u64 v[32:33], v[14:15], 3, s[24:25]
	global_load_dwordx2 v[32:33], v[32:33], off
	v_sub_u32_e32 v15, v29, v17
	v_add_lshl_u32 v15, v15, v20, 3
	v_mov_b32_e32 v27, v30
	ds_write_b8 v3, v26 offset:4096
	s_waitcnt vmcnt(0)
	ds_write_b64 v15, v[32:33]
	s_branch .LBB159_9
.LBB159_14:                             ;   in Loop: Header=BB159_7 Depth=1
	s_or_b64 exec, exec, s[46:47]
.LBB159_15:                             ;   in Loop: Header=BB159_7 Depth=1
	s_or_b64 exec, exec, s[44:45]
	v_mov_b32_dpp v14, v27 row_shr:1 row_mask:0xf bank_mask:0xf
	v_min_i32_e32 v14, v14, v27
	s_waitcnt lgkmcnt(0)
	s_barrier
	v_mov_b32_dpp v15, v14 row_shr:2 row_mask:0xf bank_mask:0xf
	v_min_i32_e32 v14, v15, v14
	ds_read_u8 v15, v3 offset:4096
	s_nop 0
	v_mov_b32_dpp v17, v14 row_shr:4 row_mask:0xf bank_mask:0xe
	v_min_i32_e32 v14, v17, v14
	ds_bpermute_b32 v27, v22, v14
	s_mov_b32 s29, 0
	s_waitcnt lgkmcnt(1)
	v_cmp_eq_u32_e32 vcc, 0, v15
	s_cbranch_vccnz .LBB159_22
; %bb.16:                               ;   in Loop: Header=BB159_7 Depth=1
	s_ashr_i32 s29, s28, 31
	s_lshl_b64 s[16:17], s[28:29], 2
	s_add_u32 s16, s18, s16
	v_add_u32_e32 v14, s33, v16
	s_addc_u32 s17, s19, s17
	global_store_dword v3, v14, s[16:17]
	s_mul_hi_u32 s16, s50, s28
	s_mul_i32 s17, s50, s29
	s_add_i32 s16, s16, s17
	s_mul_i32 s17, s49, s28
	s_add_i32 s17, s16, s17
	s_mul_i32 s16, s50, s28
	s_lshl_b64 s[16:17], s[16:17], 3
	v_lshl_add_u64 v[14:15], v[4:5], 0, s[16:17]
	v_lshl_add_u64 v[16:17], v[6:7], 0, s[16:17]
	s_and_saveexec_b64 s[16:17], s[30:31]
	s_cbranch_execnz .LBB159_36
; %bb.17:                               ;   in Loop: Header=BB159_7 Depth=1
	s_or_b64 exec, exec, s[16:17]
	s_and_saveexec_b64 s[16:17], s[34:35]
	s_cbranch_execnz .LBB159_37
.LBB159_18:                             ;   in Loop: Header=BB159_7 Depth=1
	s_or_b64 exec, exec, s[16:17]
	s_and_saveexec_b64 s[16:17], s[36:37]
	s_cbranch_execnz .LBB159_38
.LBB159_19:                             ;   in Loop: Header=BB159_7 Depth=1
	s_or_b64 exec, exec, s[16:17]
	s_and_saveexec_b64 s[16:17], s[38:39]
	s_cbranch_execz .LBB159_21
.LBB159_20:                             ;   in Loop: Header=BB159_7 Depth=1
	ds_read_b64 v[30:31], v24 offset:192
	v_lshl_add_u64 v[16:17], v[16:17], 0, s[42:43]
	v_lshl_add_u64 v[14:15], v[10:11], 3, v[14:15]
	v_cndmask_b32_e64 v15, v15, v17, s[0:1]
	v_cndmask_b32_e64 v14, v14, v16, s[0:1]
	s_waitcnt lgkmcnt(0)
	global_store_dwordx2 v[14:15], v[30:31], off
.LBB159_21:                             ;   in Loop: Header=BB159_7 Depth=1
	s_or_b64 exec, exec, s[16:17]
	s_mov_b32 s29, 1
.LBB159_22:                             ;   in Loop: Header=BB159_7 Depth=1
	s_waitcnt lgkmcnt(0)
	s_barrier
	ds_write_b32 v23, v28
	s_waitcnt lgkmcnt(0)
	s_barrier
	s_and_saveexec_b64 s[16:17], s[2:3]
	s_cbranch_execz .LBB159_24
; %bb.23:                               ;   in Loop: Header=BB159_7 Depth=1
	ds_read2st64_b32 v[14:15], v23 offset1:1
	s_waitcnt lgkmcnt(0)
	v_min_i32_e32 v14, v15, v14
	ds_write_b32 v23, v14
.LBB159_24:                             ;   in Loop: Header=BB159_7 Depth=1
	s_or_b64 exec, exec, s[16:17]
	s_waitcnt lgkmcnt(0)
	s_barrier
	s_and_saveexec_b64 s[16:17], s[4:5]
	s_cbranch_execz .LBB159_26
; %bb.25:                               ;   in Loop: Header=BB159_7 Depth=1
	ds_read2_b32 v[14:15], v23 offset1:32
	s_waitcnt lgkmcnt(0)
	v_min_i32_e32 v14, v15, v14
	ds_write_b32 v23, v14
.LBB159_26:                             ;   in Loop: Header=BB159_7 Depth=1
	s_or_b64 exec, exec, s[16:17]
	s_waitcnt lgkmcnt(0)
	s_barrier
	s_and_saveexec_b64 s[16:17], s[6:7]
	s_cbranch_execz .LBB159_28
; %bb.27:                               ;   in Loop: Header=BB159_7 Depth=1
	ds_read2_b32 v[14:15], v23 offset1:16
	s_waitcnt lgkmcnt(0)
	v_min_i32_e32 v14, v15, v14
	ds_write_b32 v23, v14
.LBB159_28:                             ;   in Loop: Header=BB159_7 Depth=1
	;; [unrolled: 11-line block ×5, first 2 shown]
	s_or_b64 exec, exec, s[16:17]
	s_waitcnt lgkmcnt(0)
	s_barrier
	s_and_saveexec_b64 s[16:17], s[14:15]
	s_cbranch_execz .LBB159_6
; %bb.35:                               ;   in Loop: Header=BB159_7 Depth=1
	ds_read_b64 v[14:15], v3
	s_waitcnt lgkmcnt(0)
	v_min_i32_e32 v14, v15, v14
	ds_write_b32 v3, v14
	s_branch .LBB159_6
.LBB159_36:                             ;   in Loop: Header=BB159_7 Depth=1
	ds_read_b64 v[30:31], v24
	v_lshl_add_u64 v[32:33], v[2:3], 3, v[14:15]
	v_cndmask_b32_e64 v33, v33, v17, s[0:1]
	v_cndmask_b32_e64 v32, v32, v16, s[0:1]
	s_waitcnt lgkmcnt(0)
	global_store_dwordx2 v[32:33], v[30:31], off
	s_or_b64 exec, exec, s[16:17]
	s_and_saveexec_b64 s[16:17], s[34:35]
	s_cbranch_execz .LBB159_18
.LBB159_37:                             ;   in Loop: Header=BB159_7 Depth=1
	ds_read_b64 v[30:31], v24 offset:64
	v_lshl_add_u64 v[32:33], v[16:17], 0, 64
	v_lshl_add_u64 v[34:35], v[0:1], 3, v[14:15]
	v_cndmask_b32_e64 v33, v35, v33, s[0:1]
	v_cndmask_b32_e64 v32, v34, v32, s[0:1]
	s_waitcnt lgkmcnt(0)
	global_store_dwordx2 v[32:33], v[30:31], off
	s_or_b64 exec, exec, s[16:17]
	s_and_saveexec_b64 s[16:17], s[36:37]
	s_cbranch_execz .LBB159_19
.LBB159_38:                             ;   in Loop: Header=BB159_7 Depth=1
	ds_read_b64 v[30:31], v24 offset:128
	v_lshl_add_u64 v[32:33], v[16:17], 0, s[40:41]
	v_lshl_add_u64 v[34:35], v[8:9], 3, v[14:15]
	v_cndmask_b32_e64 v33, v35, v33, s[0:1]
	v_cndmask_b32_e64 v32, v34, v32, s[0:1]
	s_waitcnt lgkmcnt(0)
	global_store_dwordx2 v[32:33], v[30:31], off
	s_or_b64 exec, exec, s[16:17]
	s_and_saveexec_b64 s[16:17], s[38:39]
	s_cbranch_execnz .LBB159_20
	s_branch .LBB159_21
.LBB159_39:
	s_endpgm
	.section	.rodata,"a",@progbits
	.p2align	6, 0x0
	.amdhsa_kernel _ZN9rocsparseL40csr2gebsr_block_per_row_multipass_kernelILj128ELj16ELj32E21rocsparse_complex_numIfEEEv20rocsparse_direction_iiiiii21rocsparse_index_base_PKT2_PKiS9_S4_PS5_PiSB_
		.amdhsa_group_segment_fixed_size 4100
		.amdhsa_private_segment_fixed_size 0
		.amdhsa_kernarg_size 88
		.amdhsa_user_sgpr_count 2
		.amdhsa_user_sgpr_dispatch_ptr 0
		.amdhsa_user_sgpr_queue_ptr 0
		.amdhsa_user_sgpr_kernarg_segment_ptr 1
		.amdhsa_user_sgpr_dispatch_id 0
		.amdhsa_user_sgpr_kernarg_preload_length 0
		.amdhsa_user_sgpr_kernarg_preload_offset 0
		.amdhsa_user_sgpr_private_segment_size 0
		.amdhsa_uses_dynamic_stack 0
		.amdhsa_enable_private_segment 0
		.amdhsa_system_sgpr_workgroup_id_x 1
		.amdhsa_system_sgpr_workgroup_id_y 0
		.amdhsa_system_sgpr_workgroup_id_z 0
		.amdhsa_system_sgpr_workgroup_info 0
		.amdhsa_system_vgpr_workitem_id 0
		.amdhsa_next_free_vgpr 36
		.amdhsa_next_free_sgpr 54
		.amdhsa_accum_offset 36
		.amdhsa_reserve_vcc 1
		.amdhsa_float_round_mode_32 0
		.amdhsa_float_round_mode_16_64 0
		.amdhsa_float_denorm_mode_32 3
		.amdhsa_float_denorm_mode_16_64 3
		.amdhsa_dx10_clamp 1
		.amdhsa_ieee_mode 1
		.amdhsa_fp16_overflow 0
		.amdhsa_tg_split 0
		.amdhsa_exception_fp_ieee_invalid_op 0
		.amdhsa_exception_fp_denorm_src 0
		.amdhsa_exception_fp_ieee_div_zero 0
		.amdhsa_exception_fp_ieee_overflow 0
		.amdhsa_exception_fp_ieee_underflow 0
		.amdhsa_exception_fp_ieee_inexact 0
		.amdhsa_exception_int_div_zero 0
	.end_amdhsa_kernel
	.section	.text._ZN9rocsparseL40csr2gebsr_block_per_row_multipass_kernelILj128ELj16ELj32E21rocsparse_complex_numIfEEEv20rocsparse_direction_iiiiii21rocsparse_index_base_PKT2_PKiS9_S4_PS5_PiSB_,"axG",@progbits,_ZN9rocsparseL40csr2gebsr_block_per_row_multipass_kernelILj128ELj16ELj32E21rocsparse_complex_numIfEEEv20rocsparse_direction_iiiiii21rocsparse_index_base_PKT2_PKiS9_S4_PS5_PiSB_,comdat
.Lfunc_end159:
	.size	_ZN9rocsparseL40csr2gebsr_block_per_row_multipass_kernelILj128ELj16ELj32E21rocsparse_complex_numIfEEEv20rocsparse_direction_iiiiii21rocsparse_index_base_PKT2_PKiS9_S4_PS5_PiSB_, .Lfunc_end159-_ZN9rocsparseL40csr2gebsr_block_per_row_multipass_kernelILj128ELj16ELj32E21rocsparse_complex_numIfEEEv20rocsparse_direction_iiiiii21rocsparse_index_base_PKT2_PKiS9_S4_PS5_PiSB_
                                        ; -- End function
	.section	.AMDGPU.csdata,"",@progbits
; Kernel info:
; codeLenInByte = 1768
; NumSgprs: 60
; NumVgprs: 36
; NumAgprs: 0
; TotalNumVgprs: 36
; ScratchSize: 0
; MemoryBound: 0
; FloatMode: 240
; IeeeMode: 1
; LDSByteSize: 4100 bytes/workgroup (compile time only)
; SGPRBlocks: 7
; VGPRBlocks: 4
; NumSGPRsForWavesPerEU: 60
; NumVGPRsForWavesPerEU: 36
; AccumOffset: 36
; Occupancy: 8
; WaveLimiterHint : 0
; COMPUTE_PGM_RSRC2:SCRATCH_EN: 0
; COMPUTE_PGM_RSRC2:USER_SGPR: 2
; COMPUTE_PGM_RSRC2:TRAP_HANDLER: 0
; COMPUTE_PGM_RSRC2:TGID_X_EN: 1
; COMPUTE_PGM_RSRC2:TGID_Y_EN: 0
; COMPUTE_PGM_RSRC2:TGID_Z_EN: 0
; COMPUTE_PGM_RSRC2:TIDIG_COMP_CNT: 0
; COMPUTE_PGM_RSRC3_GFX90A:ACCUM_OFFSET: 8
; COMPUTE_PGM_RSRC3_GFX90A:TG_SPLIT: 0
	.section	.text._ZN9rocsparseL40csr2gebsr_block_per_row_multipass_kernelILj128ELj16ELj64E21rocsparse_complex_numIfEEEv20rocsparse_direction_iiiiii21rocsparse_index_base_PKT2_PKiS9_S4_PS5_PiSB_,"axG",@progbits,_ZN9rocsparseL40csr2gebsr_block_per_row_multipass_kernelILj128ELj16ELj64E21rocsparse_complex_numIfEEEv20rocsparse_direction_iiiiii21rocsparse_index_base_PKT2_PKiS9_S4_PS5_PiSB_,comdat
	.globl	_ZN9rocsparseL40csr2gebsr_block_per_row_multipass_kernelILj128ELj16ELj64E21rocsparse_complex_numIfEEEv20rocsparse_direction_iiiiii21rocsparse_index_base_PKT2_PKiS9_S4_PS5_PiSB_ ; -- Begin function _ZN9rocsparseL40csr2gebsr_block_per_row_multipass_kernelILj128ELj16ELj64E21rocsparse_complex_numIfEEEv20rocsparse_direction_iiiiii21rocsparse_index_base_PKT2_PKiS9_S4_PS5_PiSB_
	.p2align	8
	.type	_ZN9rocsparseL40csr2gebsr_block_per_row_multipass_kernelILj128ELj16ELj64E21rocsparse_complex_numIfEEEv20rocsparse_direction_iiiiii21rocsparse_index_base_PKT2_PKiS9_S4_PS5_PiSB_,@function
_ZN9rocsparseL40csr2gebsr_block_per_row_multipass_kernelILj128ELj16ELj64E21rocsparse_complex_numIfEEEv20rocsparse_direction_iiiiii21rocsparse_index_base_PKT2_PKiS9_S4_PS5_PiSB_: ; @_ZN9rocsparseL40csr2gebsr_block_per_row_multipass_kernelILj128ELj16ELj64E21rocsparse_complex_numIfEEEv20rocsparse_direction_iiiiii21rocsparse_index_base_PKT2_PKiS9_S4_PS5_PiSB_
; %bb.0:
	s_load_dwordx4 s[20:23], s[0:1], 0x10
	s_load_dwordx2 s[6:7], s[0:1], 0x0
	s_load_dwordx2 s[8:9], s[0:1], 0x28
	v_lshrrev_b32_e32 v1, 3, v0
	v_mov_b32_e32 v26, 0
	s_waitcnt lgkmcnt(0)
	s_mul_i32 s3, s2, s21
	v_add_u32_e32 v2, s3, v1
	v_cmp_gt_i32_e64 s[4:5], s7, v2
	v_cmp_gt_i32_e32 vcc, s21, v1
	s_and_b64 s[4:5], vcc, s[4:5]
	v_mov_b32_e32 v33, 0
	s_and_saveexec_b64 s[10:11], s[4:5]
	s_cbranch_execnz .LBB160_3
; %bb.1:
	s_or_b64 exec, exec, s[10:11]
	s_and_saveexec_b64 s[10:11], s[4:5]
	s_cbranch_execnz .LBB160_4
.LBB160_2:
	s_or_b64 exec, exec, s[10:11]
	s_cmp_lt_i32 s20, 1
	s_cbranch_scc0 .LBB160_5
	s_branch .LBB160_47
.LBB160_3:
	v_ashrrev_i32_e32 v3, 31, v2
	v_lshl_add_u64 v[4:5], v[2:3], 2, s[8:9]
	global_load_dword v3, v[4:5], off
	s_waitcnt vmcnt(0)
	v_subrev_u32_e32 v33, s23, v3
	s_or_b64 exec, exec, s[10:11]
	s_and_saveexec_b64 s[10:11], s[4:5]
	s_cbranch_execz .LBB160_2
.LBB160_4:
	v_ashrrev_i32_e32 v3, 31, v2
	v_lshl_add_u64 v[2:3], v[2:3], 2, s[8:9]
	global_load_dword v2, v[2:3], off offset:4
	s_waitcnt vmcnt(0)
	v_subrev_u32_e32 v26, s23, v2
	s_or_b64 exec, exec, s[10:11]
	s_cmp_lt_i32 s20, 1
	s_cbranch_scc1 .LBB160_47
.LBB160_5:
	s_load_dwordx4 s[8:11], s[0:1], 0x40
	s_load_dwordx2 s[18:19], s[0:1], 0x50
	s_load_dword s33, s[0:1], 0x38
	s_ashr_i32 s3, s2, 31
	s_lshl_b64 s[2:3], s[2:3], 2
	s_waitcnt lgkmcnt(0)
	s_add_u32 s2, s10, s2
	s_addc_u32 s3, s11, s3
	s_load_dword s4, s[2:3], 0x0
	s_load_dwordx2 s[24:25], s[0:1], 0x20
	s_load_dwordx2 s[26:27], s[0:1], 0x30
	v_mbcnt_lo_u32_b32 v2, -1, 0
	v_mbcnt_hi_u32_b32 v2, -1, v2
	s_waitcnt lgkmcnt(0)
	s_sub_i32 s28, s4, s33
	v_mul_lo_u32 v6, v1, s22
	v_and_b32_e32 v27, 7, v0
	v_lshl_or_b32 v30, v2, 2, 28
	s_cmp_eq_u32 s6, 0
	v_lshlrev_b32_e32 v2, 3, v1
	v_mov_b32_e32 v3, 0
	v_ashrrev_i32_e32 v7, 31, v6
	s_cselect_b64 s[0:1], -1, 0
	s_ashr_i32 s64, s22, 31
	v_lshl_add_u64 v[4:5], s[8:9], 0, v[2:3]
	v_lshl_add_u64 v[6:7], v[6:7], 3, s[8:9]
	v_lshlrev_b32_e32 v2, 3, v27
	s_mul_hi_u32 s2, s22, s21
	s_mul_i32 s3, s64, s21
	s_mul_i32 s66, s22, s21
	v_lshl_add_u64 v[6:7], v[6:7], 0, v[2:3]
	v_mul_lo_u32 v2, v27, s21
	s_lshl_b32 s29, s21, 3
	s_abs_i32 s21, s22
	v_cvt_f32_u32_e32 v18, s21
	v_lshlrev_b32_e32 v28, 6, v1
	s_add_i32 s65, s2, s3
	v_lshlrev_b32_e32 v31, 2, v0
	v_cmp_gt_u32_e64 s[2:3], 64, v0
	v_cmp_gt_u32_e64 s[4:5], 32, v0
	;; [unrolled: 1-line block ×6, first 2 shown]
	v_cmp_eq_u32_e64 s[14:15], 0, v0
	v_or_b32_e32 v0, v28, v27
	v_lshlrev_b32_e32 v32, 3, v0
	v_cmp_gt_u32_e64 s[16:17], s22, v27
	v_or_b32_e32 v0, 8, v27
	v_rcp_iflag_f32_e32 v18, v18
	s_and_b64 s[30:31], vcc, s[16:17]
	v_cmp_gt_u32_e64 s[16:17], s22, v0
	v_or_b32_e32 v8, 16, v27
	s_and_b64 s[34:35], vcc, s[16:17]
	v_cmp_gt_u32_e64 s[16:17], s22, v8
	v_or_b32_e32 v10, 24, v27
	;; [unrolled: 3-line block ×4, first 2 shown]
	v_mul_f32_e32 v18, 0x4f7ffffe, v18
	v_add_u32_e32 v0, s29, v2
	s_and_b64 s[40:41], vcc, s[16:17]
	v_cmp_gt_u32_e64 s[16:17], s22, v14
	v_or_b32_e32 v16, 48, v27
	v_cvt_u32_f32_e32 v20, v18
	v_add_u32_e32 v8, s29, v0
	s_and_b64 s[42:43], vcc, s[16:17]
	v_cmp_gt_u32_e64 s[16:17], s22, v16
	v_or_b32_e32 v19, 56, v27
	v_add_u32_e32 v10, s29, v8
	s_and_b64 s[44:45], vcc, s[16:17]
	v_cmp_gt_u32_e64 s[16:17], s22, v19
	v_add_u32_e32 v12, s29, v10
	s_and_b64 s[46:47], vcc, s[16:17]
	s_sub_i32 s16, 0, s21
	s_mov_b32 s48, 0
	v_add_u32_e32 v14, s29, v12
	v_mul_lo_u32 v21, s16, v20
	v_add_u32_e32 v16, s29, v14
	v_mul_hi_u32 v21, v20, v21
	s_mov_b32 s49, s48
	v_mov_b32_e32 v29, 0
	v_mov_b32_e32 v1, v3
	;; [unrolled: 1-line block ×7, first 2 shown]
	v_add_u32_e32 v18, s29, v16
	v_mov_b32_e32 v19, v3
	v_add_u32_e32 v34, v20, v21
	v_mov_b64_e32 v[20:21], s[48:49]
	s_mov_b64 s[48:49], 0x80
	s_mov_b64 s[50:51], 0xc0
	;; [unrolled: 1-line block ×6, first 2 shown]
	v_mov_b32_e32 v35, 1
	v_mov_b32_e32 v24, 0
	s_branch .LBB160_7
.LBB160_6:                              ;   in Loop: Header=BB160_7 Depth=1
	s_or_b64 exec, exec, s[16:17]
	s_waitcnt lgkmcnt(0)
	s_barrier
	ds_read_b32 v24, v3
	s_add_i32 s28, s29, s28
	s_waitcnt lgkmcnt(0)
	s_barrier
	v_cmp_gt_i32_e32 vcc, s20, v24
	s_cbranch_vccz .LBB160_47
.LBB160_7:                              ; =>This Loop Header: Depth=1
                                        ;     Child Loop BB160_10 Depth 2
	v_add_u32_e32 v22, v33, v27
	v_cmp_lt_i32_e32 vcc, v22, v26
	v_mov_b32_e32 v36, s20
	v_mov_b32_e32 v33, v26
	ds_write_b8 v3, v29 offset:8192
	ds_write2_b64 v32, v[20:21], v[20:21] offset1:8
	ds_write2_b64 v32, v[20:21], v[20:21] offset0:16 offset1:24
	ds_write2_b64 v32, v[20:21], v[20:21] offset0:32 offset1:40
	;; [unrolled: 1-line block ×3, first 2 shown]
	s_waitcnt lgkmcnt(0)
	s_barrier
	s_and_saveexec_b64 s[60:61], vcc
	s_cbranch_execz .LBB160_15
; %bb.8:                                ;   in Loop: Header=BB160_7 Depth=1
	v_mul_lo_u32 v25, v24, s22
	s_mov_b64 s[62:63], 0
	v_mov_b32_e32 v36, s20
	v_mov_b32_e32 v33, v26
	s_branch .LBB160_10
.LBB160_9:                              ;   in Loop: Header=BB160_10 Depth=2
	s_or_b64 exec, exec, s[16:17]
	v_add_u32_e32 v22, 8, v22
	v_cmp_ge_i32_e64 s[16:17], v22, v26
	s_xor_b64 s[68:69], vcc, -1
	s_or_b64 s[16:17], s[68:69], s[16:17]
	s_and_b64 s[16:17], exec, s[16:17]
	s_or_b64 s[62:63], s[16:17], s[62:63]
	s_andn2_b64 exec, exec, s[62:63]
	s_cbranch_execz .LBB160_14
.LBB160_10:                             ;   Parent Loop BB160_7 Depth=1
                                        ; =>  This Inner Loop Header: Depth=2
	v_ashrrev_i32_e32 v23, 31, v22
	v_lshl_add_u64 v[38:39], v[22:23], 2, s[26:27]
	global_load_dword v37, v[38:39], off
	s_waitcnt vmcnt(0)
	v_subrev_u32_e32 v37, s23, v37
	v_sub_u32_e32 v39, 0, v37
	v_max_i32_e32 v39, v37, v39
	v_mul_hi_u32 v40, v39, v34
	v_mul_lo_u32 v41, v40, s21
	v_sub_u32_e32 v39, v39, v41
	v_add_u32_e32 v42, 1, v40
	v_cmp_le_u32_e32 vcc, s21, v39
	v_subrev_u32_e32 v41, s21, v39
	v_ashrrev_i32_e32 v38, 31, v37
	v_cndmask_b32_e32 v40, v40, v42, vcc
	v_cndmask_b32_e32 v39, v39, v41, vcc
	v_add_u32_e32 v41, 1, v40
	v_cmp_le_u32_e32 vcc, s21, v39
	v_xor_b32_e32 v38, s64, v38
	s_nop 0
	v_cndmask_b32_e32 v39, v40, v41, vcc
	v_xor_b32_e32 v39, v39, v38
	v_sub_u32_e32 v39, v39, v38
	v_cmp_eq_u32_e32 vcc, v39, v24
	v_cmp_ne_u32_e64 s[16:17], v39, v24
	v_mov_b32_e32 v38, v33
	s_and_saveexec_b64 s[68:69], s[16:17]
	s_xor_b64 s[16:17], exec, s[68:69]
; %bb.11:                               ;   in Loop: Header=BB160_10 Depth=2
	v_min_i32_e32 v36, v39, v36
                                        ; implicit-def: $vgpr37
                                        ; implicit-def: $vgpr38
; %bb.12:                               ;   in Loop: Header=BB160_10 Depth=2
	s_or_saveexec_b64 s[16:17], s[16:17]
	v_mov_b32_e32 v33, v22
	s_xor_b64 exec, exec, s[16:17]
	s_cbranch_execz .LBB160_9
; %bb.13:                               ;   in Loop: Header=BB160_10 Depth=2
	v_lshl_add_u64 v[40:41], v[22:23], 3, s[24:25]
	global_load_dwordx2 v[40:41], v[40:41], off
	v_sub_u32_e32 v23, v37, v25
	v_add_lshl_u32 v23, v23, v28, 3
	v_mov_b32_e32 v33, v38
	ds_write_b8 v3, v35 offset:8192
	s_waitcnt vmcnt(0)
	ds_write_b64 v23, v[40:41]
	s_branch .LBB160_9
.LBB160_14:                             ;   in Loop: Header=BB160_7 Depth=1
	s_or_b64 exec, exec, s[62:63]
.LBB160_15:                             ;   in Loop: Header=BB160_7 Depth=1
	s_or_b64 exec, exec, s[60:61]
	v_mov_b32_dpp v22, v33 row_shr:1 row_mask:0xf bank_mask:0xf
	v_min_i32_e32 v22, v22, v33
	s_waitcnt lgkmcnt(0)
	s_barrier
	v_mov_b32_dpp v23, v22 row_shr:2 row_mask:0xf bank_mask:0xf
	v_min_i32_e32 v22, v23, v22
	ds_read_u8 v23, v3 offset:8192
	s_nop 0
	v_mov_b32_dpp v25, v22 row_shr:4 row_mask:0xf bank_mask:0xe
	v_min_i32_e32 v22, v25, v22
	ds_bpermute_b32 v33, v30, v22
	s_mov_b32 s29, 0
	s_waitcnt lgkmcnt(1)
	v_cmp_eq_u32_e32 vcc, 0, v23
	s_cbranch_vccnz .LBB160_26
; %bb.16:                               ;   in Loop: Header=BB160_7 Depth=1
	s_ashr_i32 s29, s28, 31
	s_lshl_b64 s[16:17], s[28:29], 2
	s_add_u32 s16, s18, s16
	v_add_u32_e32 v22, s33, v24
	s_addc_u32 s17, s19, s17
	global_store_dword v3, v22, s[16:17]
	s_mul_hi_u32 s16, s66, s28
	s_mul_i32 s17, s66, s29
	s_add_i32 s16, s16, s17
	s_mul_i32 s17, s65, s28
	s_add_i32 s17, s16, s17
	s_mul_i32 s16, s66, s28
	s_lshl_b64 s[16:17], s[16:17], 3
	v_lshl_add_u64 v[22:23], v[4:5], 0, s[16:17]
	v_lshl_add_u64 v[24:25], v[6:7], 0, s[16:17]
	s_and_saveexec_b64 s[16:17], s[30:31]
	s_cbranch_execnz .LBB160_40
; %bb.17:                               ;   in Loop: Header=BB160_7 Depth=1
	s_or_b64 exec, exec, s[16:17]
	s_and_saveexec_b64 s[16:17], s[34:35]
	s_cbranch_execnz .LBB160_41
.LBB160_18:                             ;   in Loop: Header=BB160_7 Depth=1
	s_or_b64 exec, exec, s[16:17]
	s_and_saveexec_b64 s[16:17], s[36:37]
	s_cbranch_execnz .LBB160_42
.LBB160_19:                             ;   in Loop: Header=BB160_7 Depth=1
	s_or_b64 exec, exec, s[16:17]
	s_and_saveexec_b64 s[16:17], s[38:39]
	s_cbranch_execnz .LBB160_43
.LBB160_20:                             ;   in Loop: Header=BB160_7 Depth=1
	s_or_b64 exec, exec, s[16:17]
	s_and_saveexec_b64 s[16:17], s[40:41]
	s_cbranch_execnz .LBB160_44
.LBB160_21:                             ;   in Loop: Header=BB160_7 Depth=1
	s_or_b64 exec, exec, s[16:17]
	s_and_saveexec_b64 s[16:17], s[42:43]
	s_cbranch_execnz .LBB160_45
.LBB160_22:                             ;   in Loop: Header=BB160_7 Depth=1
	s_or_b64 exec, exec, s[16:17]
	s_and_saveexec_b64 s[16:17], s[44:45]
	s_cbranch_execnz .LBB160_46
.LBB160_23:                             ;   in Loop: Header=BB160_7 Depth=1
	s_or_b64 exec, exec, s[16:17]
	s_and_saveexec_b64 s[16:17], s[46:47]
	s_cbranch_execz .LBB160_25
.LBB160_24:                             ;   in Loop: Header=BB160_7 Depth=1
	ds_read_b64 v[38:39], v32 offset:448
	v_lshl_add_u64 v[24:25], v[24:25], 0, s[58:59]
	v_lshl_add_u64 v[22:23], v[18:19], 3, v[22:23]
	v_cndmask_b32_e64 v23, v23, v25, s[0:1]
	v_cndmask_b32_e64 v22, v22, v24, s[0:1]
	s_waitcnt lgkmcnt(0)
	global_store_dwordx2 v[22:23], v[38:39], off
.LBB160_25:                             ;   in Loop: Header=BB160_7 Depth=1
	s_or_b64 exec, exec, s[16:17]
	s_mov_b32 s29, 1
.LBB160_26:                             ;   in Loop: Header=BB160_7 Depth=1
	s_waitcnt lgkmcnt(0)
	s_barrier
	ds_write_b32 v31, v36
	s_waitcnt lgkmcnt(0)
	s_barrier
	s_and_saveexec_b64 s[16:17], s[2:3]
	s_cbranch_execz .LBB160_28
; %bb.27:                               ;   in Loop: Header=BB160_7 Depth=1
	ds_read2st64_b32 v[22:23], v31 offset1:1
	s_waitcnt lgkmcnt(0)
	v_min_i32_e32 v22, v23, v22
	ds_write_b32 v31, v22
.LBB160_28:                             ;   in Loop: Header=BB160_7 Depth=1
	s_or_b64 exec, exec, s[16:17]
	s_waitcnt lgkmcnt(0)
	s_barrier
	s_and_saveexec_b64 s[16:17], s[4:5]
	s_cbranch_execz .LBB160_30
; %bb.29:                               ;   in Loop: Header=BB160_7 Depth=1
	ds_read2_b32 v[22:23], v31 offset1:32
	s_waitcnt lgkmcnt(0)
	v_min_i32_e32 v22, v23, v22
	ds_write_b32 v31, v22
.LBB160_30:                             ;   in Loop: Header=BB160_7 Depth=1
	s_or_b64 exec, exec, s[16:17]
	s_waitcnt lgkmcnt(0)
	s_barrier
	s_and_saveexec_b64 s[16:17], s[6:7]
	s_cbranch_execz .LBB160_32
; %bb.31:                               ;   in Loop: Header=BB160_7 Depth=1
	ds_read2_b32 v[22:23], v31 offset1:16
	s_waitcnt lgkmcnt(0)
	v_min_i32_e32 v22, v23, v22
	ds_write_b32 v31, v22
.LBB160_32:                             ;   in Loop: Header=BB160_7 Depth=1
	;; [unrolled: 11-line block ×5, first 2 shown]
	s_or_b64 exec, exec, s[16:17]
	s_waitcnt lgkmcnt(0)
	s_barrier
	s_and_saveexec_b64 s[16:17], s[14:15]
	s_cbranch_execz .LBB160_6
; %bb.39:                               ;   in Loop: Header=BB160_7 Depth=1
	ds_read_b64 v[22:23], v3
	s_waitcnt lgkmcnt(0)
	v_min_i32_e32 v22, v23, v22
	ds_write_b32 v3, v22
	s_branch .LBB160_6
.LBB160_40:                             ;   in Loop: Header=BB160_7 Depth=1
	ds_read_b64 v[38:39], v32
	v_lshl_add_u64 v[40:41], v[2:3], 3, v[22:23]
	v_cndmask_b32_e64 v41, v41, v25, s[0:1]
	v_cndmask_b32_e64 v40, v40, v24, s[0:1]
	s_waitcnt lgkmcnt(0)
	global_store_dwordx2 v[40:41], v[38:39], off
	s_or_b64 exec, exec, s[16:17]
	s_and_saveexec_b64 s[16:17], s[34:35]
	s_cbranch_execz .LBB160_18
.LBB160_41:                             ;   in Loop: Header=BB160_7 Depth=1
	ds_read_b64 v[38:39], v32 offset:64
	v_lshl_add_u64 v[40:41], v[24:25], 0, 64
	v_lshl_add_u64 v[42:43], v[0:1], 3, v[22:23]
	v_cndmask_b32_e64 v41, v43, v41, s[0:1]
	v_cndmask_b32_e64 v40, v42, v40, s[0:1]
	s_waitcnt lgkmcnt(0)
	global_store_dwordx2 v[40:41], v[38:39], off
	s_or_b64 exec, exec, s[16:17]
	s_and_saveexec_b64 s[16:17], s[36:37]
	s_cbranch_execz .LBB160_19
.LBB160_42:                             ;   in Loop: Header=BB160_7 Depth=1
	ds_read_b64 v[38:39], v32 offset:128
	v_lshl_add_u64 v[40:41], v[24:25], 0, s[48:49]
	v_lshl_add_u64 v[42:43], v[8:9], 3, v[22:23]
	v_cndmask_b32_e64 v41, v43, v41, s[0:1]
	v_cndmask_b32_e64 v40, v42, v40, s[0:1]
	s_waitcnt lgkmcnt(0)
	global_store_dwordx2 v[40:41], v[38:39], off
	s_or_b64 exec, exec, s[16:17]
	s_and_saveexec_b64 s[16:17], s[38:39]
	s_cbranch_execz .LBB160_20
.LBB160_43:                             ;   in Loop: Header=BB160_7 Depth=1
	ds_read_b64 v[38:39], v32 offset:192
	v_lshl_add_u64 v[40:41], v[24:25], 0, s[50:51]
	v_lshl_add_u64 v[42:43], v[10:11], 3, v[22:23]
	v_cndmask_b32_e64 v41, v43, v41, s[0:1]
	v_cndmask_b32_e64 v40, v42, v40, s[0:1]
	s_waitcnt lgkmcnt(0)
	global_store_dwordx2 v[40:41], v[38:39], off
	s_or_b64 exec, exec, s[16:17]
	s_and_saveexec_b64 s[16:17], s[40:41]
	s_cbranch_execz .LBB160_21
.LBB160_44:                             ;   in Loop: Header=BB160_7 Depth=1
	ds_read_b64 v[38:39], v32 offset:256
	v_lshl_add_u64 v[40:41], v[24:25], 0, s[52:53]
	v_lshl_add_u64 v[42:43], v[12:13], 3, v[22:23]
	v_cndmask_b32_e64 v41, v43, v41, s[0:1]
	v_cndmask_b32_e64 v40, v42, v40, s[0:1]
	s_waitcnt lgkmcnt(0)
	global_store_dwordx2 v[40:41], v[38:39], off
	s_or_b64 exec, exec, s[16:17]
	s_and_saveexec_b64 s[16:17], s[42:43]
	s_cbranch_execz .LBB160_22
.LBB160_45:                             ;   in Loop: Header=BB160_7 Depth=1
	ds_read_b64 v[38:39], v32 offset:320
	v_lshl_add_u64 v[40:41], v[24:25], 0, s[54:55]
	v_lshl_add_u64 v[42:43], v[14:15], 3, v[22:23]
	v_cndmask_b32_e64 v41, v43, v41, s[0:1]
	v_cndmask_b32_e64 v40, v42, v40, s[0:1]
	s_waitcnt lgkmcnt(0)
	global_store_dwordx2 v[40:41], v[38:39], off
	s_or_b64 exec, exec, s[16:17]
	s_and_saveexec_b64 s[16:17], s[44:45]
	s_cbranch_execz .LBB160_23
.LBB160_46:                             ;   in Loop: Header=BB160_7 Depth=1
	ds_read_b64 v[38:39], v32 offset:384
	v_lshl_add_u64 v[40:41], v[24:25], 0, s[56:57]
	v_lshl_add_u64 v[42:43], v[16:17], 3, v[22:23]
	v_cndmask_b32_e64 v41, v43, v41, s[0:1]
	v_cndmask_b32_e64 v40, v42, v40, s[0:1]
	s_waitcnt lgkmcnt(0)
	global_store_dwordx2 v[40:41], v[38:39], off
	s_or_b64 exec, exec, s[16:17]
	s_and_saveexec_b64 s[16:17], s[46:47]
	s_cbranch_execnz .LBB160_24
	s_branch .LBB160_25
.LBB160_47:
	s_endpgm
	.section	.rodata,"a",@progbits
	.p2align	6, 0x0
	.amdhsa_kernel _ZN9rocsparseL40csr2gebsr_block_per_row_multipass_kernelILj128ELj16ELj64E21rocsparse_complex_numIfEEEv20rocsparse_direction_iiiiii21rocsparse_index_base_PKT2_PKiS9_S4_PS5_PiSB_
		.amdhsa_group_segment_fixed_size 8196
		.amdhsa_private_segment_fixed_size 0
		.amdhsa_kernarg_size 88
		.amdhsa_user_sgpr_count 2
		.amdhsa_user_sgpr_dispatch_ptr 0
		.amdhsa_user_sgpr_queue_ptr 0
		.amdhsa_user_sgpr_kernarg_segment_ptr 1
		.amdhsa_user_sgpr_dispatch_id 0
		.amdhsa_user_sgpr_kernarg_preload_length 0
		.amdhsa_user_sgpr_kernarg_preload_offset 0
		.amdhsa_user_sgpr_private_segment_size 0
		.amdhsa_uses_dynamic_stack 0
		.amdhsa_enable_private_segment 0
		.amdhsa_system_sgpr_workgroup_id_x 1
		.amdhsa_system_sgpr_workgroup_id_y 0
		.amdhsa_system_sgpr_workgroup_id_z 0
		.amdhsa_system_sgpr_workgroup_info 0
		.amdhsa_system_vgpr_workitem_id 0
		.amdhsa_next_free_vgpr 44
		.amdhsa_next_free_sgpr 70
		.amdhsa_accum_offset 44
		.amdhsa_reserve_vcc 1
		.amdhsa_float_round_mode_32 0
		.amdhsa_float_round_mode_16_64 0
		.amdhsa_float_denorm_mode_32 3
		.amdhsa_float_denorm_mode_16_64 3
		.amdhsa_dx10_clamp 1
		.amdhsa_ieee_mode 1
		.amdhsa_fp16_overflow 0
		.amdhsa_tg_split 0
		.amdhsa_exception_fp_ieee_invalid_op 0
		.amdhsa_exception_fp_denorm_src 0
		.amdhsa_exception_fp_ieee_div_zero 0
		.amdhsa_exception_fp_ieee_overflow 0
		.amdhsa_exception_fp_ieee_underflow 0
		.amdhsa_exception_fp_ieee_inexact 0
		.amdhsa_exception_int_div_zero 0
	.end_amdhsa_kernel
	.section	.text._ZN9rocsparseL40csr2gebsr_block_per_row_multipass_kernelILj128ELj16ELj64E21rocsparse_complex_numIfEEEv20rocsparse_direction_iiiiii21rocsparse_index_base_PKT2_PKiS9_S4_PS5_PiSB_,"axG",@progbits,_ZN9rocsparseL40csr2gebsr_block_per_row_multipass_kernelILj128ELj16ELj64E21rocsparse_complex_numIfEEEv20rocsparse_direction_iiiiii21rocsparse_index_base_PKT2_PKiS9_S4_PS5_PiSB_,comdat
.Lfunc_end160:
	.size	_ZN9rocsparseL40csr2gebsr_block_per_row_multipass_kernelILj128ELj16ELj64E21rocsparse_complex_numIfEEEv20rocsparse_direction_iiiiii21rocsparse_index_base_PKT2_PKiS9_S4_PS5_PiSB_, .Lfunc_end160-_ZN9rocsparseL40csr2gebsr_block_per_row_multipass_kernelILj128ELj16ELj64E21rocsparse_complex_numIfEEEv20rocsparse_direction_iiiiii21rocsparse_index_base_PKT2_PKiS9_S4_PS5_PiSB_
                                        ; -- End function
	.section	.AMDGPU.csdata,"",@progbits
; Kernel info:
; codeLenInByte = 2216
; NumSgprs: 76
; NumVgprs: 44
; NumAgprs: 0
; TotalNumVgprs: 44
; ScratchSize: 0
; MemoryBound: 0
; FloatMode: 240
; IeeeMode: 1
; LDSByteSize: 8196 bytes/workgroup (compile time only)
; SGPRBlocks: 9
; VGPRBlocks: 5
; NumSGPRsForWavesPerEU: 76
; NumVGPRsForWavesPerEU: 44
; AccumOffset: 44
; Occupancy: 4
; WaveLimiterHint : 0
; COMPUTE_PGM_RSRC2:SCRATCH_EN: 0
; COMPUTE_PGM_RSRC2:USER_SGPR: 2
; COMPUTE_PGM_RSRC2:TRAP_HANDLER: 0
; COMPUTE_PGM_RSRC2:TGID_X_EN: 1
; COMPUTE_PGM_RSRC2:TGID_Y_EN: 0
; COMPUTE_PGM_RSRC2:TGID_Z_EN: 0
; COMPUTE_PGM_RSRC2:TIDIG_COMP_CNT: 0
; COMPUTE_PGM_RSRC3_GFX90A:ACCUM_OFFSET: 10
; COMPUTE_PGM_RSRC3_GFX90A:TG_SPLIT: 0
	.section	.text._ZN9rocsparseL44csr2gebsr_wavefront_per_row_multipass_kernelILi256ELi32ELi2ELi64E21rocsparse_complex_numIfEEEv20rocsparse_direction_iiiiii21rocsparse_index_base_PKT3_PKiS9_S4_PS5_PiSB_,"axG",@progbits,_ZN9rocsparseL44csr2gebsr_wavefront_per_row_multipass_kernelILi256ELi32ELi2ELi64E21rocsparse_complex_numIfEEEv20rocsparse_direction_iiiiii21rocsparse_index_base_PKT3_PKiS9_S4_PS5_PiSB_,comdat
	.globl	_ZN9rocsparseL44csr2gebsr_wavefront_per_row_multipass_kernelILi256ELi32ELi2ELi64E21rocsparse_complex_numIfEEEv20rocsparse_direction_iiiiii21rocsparse_index_base_PKT3_PKiS9_S4_PS5_PiSB_ ; -- Begin function _ZN9rocsparseL44csr2gebsr_wavefront_per_row_multipass_kernelILi256ELi32ELi2ELi64E21rocsparse_complex_numIfEEEv20rocsparse_direction_iiiiii21rocsparse_index_base_PKT3_PKiS9_S4_PS5_PiSB_
	.p2align	8
	.type	_ZN9rocsparseL44csr2gebsr_wavefront_per_row_multipass_kernelILi256ELi32ELi2ELi64E21rocsparse_complex_numIfEEEv20rocsparse_direction_iiiiii21rocsparse_index_base_PKT3_PKiS9_S4_PS5_PiSB_,@function
_ZN9rocsparseL44csr2gebsr_wavefront_per_row_multipass_kernelILi256ELi32ELi2ELi64E21rocsparse_complex_numIfEEEv20rocsparse_direction_iiiiii21rocsparse_index_base_PKT3_PKiS9_S4_PS5_PiSB_: ; @_ZN9rocsparseL44csr2gebsr_wavefront_per_row_multipass_kernelILi256ELi32ELi2ELi64E21rocsparse_complex_numIfEEEv20rocsparse_direction_iiiiii21rocsparse_index_base_PKT3_PKiS9_S4_PS5_PiSB_
; %bb.0:
	s_load_dwordx2 s[14:15], s[0:1], 0x0
	s_load_dwordx4 s[4:7], s[0:1], 0xc
	s_load_dword s20, s[0:1], 0x1c
	s_load_dwordx2 s[8:9], s[0:1], 0x28
	v_lshrrev_b32_e32 v12, 6, v0
	v_bfe_u32 v6, v0, 1, 5
	v_lshl_or_b32 v4, s2, 2, v12
	s_waitcnt lgkmcnt(0)
	v_mad_u64_u32 v[2:3], s[2:3], v4, s6, v[6:7]
	v_cmp_gt_i32_e64 s[2:3], s15, v2
	v_cmp_gt_i32_e32 vcc, s6, v6
	s_and_b64 s[2:3], vcc, s[2:3]
	v_mov_b32_e32 v13, 0
	v_mov_b32_e32 v8, 0
	s_and_saveexec_b64 s[10:11], s[2:3]
	s_cbranch_execz .LBB161_2
; %bb.1:
	v_ashrrev_i32_e32 v3, 31, v2
	v_lshl_add_u64 v[8:9], v[2:3], 2, s[8:9]
	global_load_dword v1, v[8:9], off
	s_waitcnt vmcnt(0)
	v_subrev_u32_e32 v8, s20, v1
.LBB161_2:
	s_or_b64 exec, exec, s[10:11]
	s_and_saveexec_b64 s[10:11], s[2:3]
	s_cbranch_execz .LBB161_4
; %bb.3:
	v_ashrrev_i32_e32 v3, 31, v2
	v_lshl_add_u64 v[2:3], v[2:3], 2, s[8:9]
	global_load_dword v1, v[2:3], off offset:4
	s_waitcnt vmcnt(0)
	v_subrev_u32_e32 v13, s20, v1
.LBB161_4:
	s_or_b64 exec, exec, s[10:11]
	s_load_dword s21, s[0:1], 0x38
	v_cmp_gt_i32_e64 s[2:3], s4, v4
	v_mov_b32_e32 v2, 0
	s_and_saveexec_b64 s[8:9], s[2:3]
	s_cbranch_execz .LBB161_6
; %bb.5:
	s_load_dwordx2 s[2:3], s[0:1], 0x48
	v_ashrrev_i32_e32 v5, 31, v4
	s_waitcnt lgkmcnt(0)
	v_lshl_add_u64 v[2:3], v[4:5], 2, s[2:3]
	global_load_dword v1, v[2:3], off
	s_waitcnt vmcnt(0)
	v_subrev_u32_e32 v2, s21, v1
.LBB161_6:
	s_or_b64 exec, exec, s[8:9]
	s_cmp_lt_i32 s5, 1
	s_cbranch_scc1 .LBB161_21
; %bb.7:
	v_and_b32_e32 v4, 1, v0
	s_load_dwordx2 s[2:3], s[0:1], 0x20
	s_load_dwordx2 s[8:9], s[0:1], 0x50
	;; [unrolled: 1-line block ×4, first 2 shown]
	v_cmp_gt_u32_e64 s[0:1], s7, v4
	s_and_b64 s[12:13], vcc, s[0:1]
	s_cmp_eq_u32 s14, 0
	s_cselect_b64 vcc, -1, 0
	s_abs_i32 s4, s7
	v_cvt_f32_u32_e32 v9, s4
	v_and_b32_e32 v0, 0xc0, v0
	v_lshl_or_b32 v14, v6, 1, v0
	v_mbcnt_lo_u32_b32 v0, -1, 0
	v_rcp_iflag_f32_e32 v9, v9
	v_mbcnt_hi_u32_b32 v0, -1, v0
	v_lshlrev_b32_e32 v3, 2, v0
	v_mov_b32_e32 v5, 0
	v_or_b32_e32 v15, 4, v3
	v_or_b32_e32 v0, v14, v4
	v_or_b32_e32 v17, 0xfc, v3
	v_mul_f32_e32 v3, 0x4f7ffffe, v9
	v_lshlrev_b32_e32 v16, 3, v0
	v_mul_lo_u32 v0, v4, s6
	v_mov_b32_e32 v1, v5
	v_lshlrev_b32_e32 v10, 3, v6
	v_mul_lo_u32 v6, v6, s7
	v_cvt_u32_f32_e32 v3, v3
	s_waitcnt lgkmcnt(0)
	v_lshl_add_u64 v[0:1], v[0:1], 3, s[16:17]
	v_mov_b32_e32 v11, v5
	v_ashrrev_i32_e32 v7, 31, v6
	s_ashr_i32 s22, s7, 31
	v_lshl_add_u64 v[0:1], v[0:1], 0, v[10:11]
	v_lshl_add_u64 v[6:7], v[6:7], 3, s[16:17]
	v_lshlrev_b32_e32 v10, 3, v4
	s_mul_hi_u32 s0, s7, s6
	s_mul_i32 s1, s22, s6
	v_lshl_add_u64 v[6:7], v[6:7], 0, v[10:11]
	s_add_i32 s23, s0, s1
	s_sub_i32 s0, 0, s4
	v_cndmask_b32_e32 v0, v0, v6, vcc
	v_mul_lo_u32 v6, s0, v3
	v_mul_hi_u32 v6, v3, v6
	s_mul_i32 s6, s7, s6
	v_cndmask_b32_e32 v1, v1, v7, vcc
	v_add_u32_e32 v18, v3, v6
	s_mov_b64 s[14:15], 0
	v_mov_b32_e32 v6, v5
	v_mov_b32_e32 v7, v5
	;; [unrolled: 1-line block ×4, first 2 shown]
	s_branch .LBB161_10
.LBB161_8:                              ;   in Loop: Header=BB161_10 Depth=1
	s_or_b64 exec, exec, s[16:17]
	v_mov_b32_e32 v9, 1
.LBB161_9:                              ;   in Loop: Header=BB161_10 Depth=1
	s_or_b64 exec, exec, s[0:1]
	v_mov_b32_dpp v3, v20 row_shr:1 row_mask:0xf bank_mask:0xf
	v_min_i32_e32 v3, v3, v20
	v_add_u32_e32 v2, v9, v2
	s_waitcnt lgkmcnt(0)
	v_mov_b32_dpp v10, v3 row_shr:2 row_mask:0xf bank_mask:0xf
	v_min_i32_e32 v3, v10, v3
	s_nop 1
	v_mov_b32_dpp v10, v3 row_shr:4 row_mask:0xf bank_mask:0xe
	v_min_i32_e32 v3, v10, v3
	s_nop 1
	;; [unrolled: 3-line block ×3, first 2 shown]
	v_mov_b32_dpp v10, v3 row_bcast:15 row_mask:0xa bank_mask:0xf
	v_min_i32_e32 v3, v10, v3
	s_nop 1
	v_mov_b32_dpp v10, v3 row_bcast:31 row_mask:0xc bank_mask:0xf
	v_min_i32_e32 v3, v10, v3
	ds_bpermute_b32 v3, v17, v3
	s_waitcnt lgkmcnt(0)
	v_cmp_le_i32_e32 vcc, s5, v3
	s_or_b64 s[14:15], vcc, s[14:15]
	s_andn2_b64 exec, exec, s[14:15]
	s_cbranch_execz .LBB161_21
.LBB161_10:                             ; =>This Loop Header: Depth=1
                                        ;     Child Loop BB161_13 Depth 2
	v_add_u32_e32 v21, v8, v4
	v_cmp_lt_i32_e32 vcc, v21, v13
	v_mov_b32_e32 v20, s5
	v_mov_b32_e32 v23, v13
	ds_write_b8 v12, v5 offset:2048
	ds_write_b64 v16, v[6:7]
	s_waitcnt lgkmcnt(0)
	s_and_saveexec_b64 s[16:17], vcc
	s_cbranch_execz .LBB161_18
; %bb.11:                               ;   in Loop: Header=BB161_10 Depth=1
	v_ashrrev_i32_e32 v9, 31, v8
	v_lshl_add_u64 v[10:11], v[4:5], 0, v[8:9]
	v_mul_lo_u32 v22, v3, s7
	v_lshl_add_u64 v[8:9], v[10:11], 2, s[10:11]
	v_lshl_add_u64 v[10:11], v[10:11], 3, s[2:3]
	s_mov_b64 s[18:19], 0
	v_mov_b32_e32 v20, s5
	v_mov_b32_e32 v23, v13
	s_branch .LBB161_13
.LBB161_12:                             ;   in Loop: Header=BB161_13 Depth=2
	s_or_b64 exec, exec, s[0:1]
	v_add_u32_e32 v21, 2, v21
	v_cmp_ge_i32_e64 s[0:1], v21, v13
	s_xor_b64 s[24:25], vcc, -1
	s_or_b64 s[0:1], s[24:25], s[0:1]
	s_and_b64 s[0:1], exec, s[0:1]
	v_lshl_add_u64 v[8:9], v[8:9], 0, 8
	s_or_b64 s[18:19], s[0:1], s[18:19]
	v_lshl_add_u64 v[10:11], v[10:11], 0, 16
	s_andn2_b64 exec, exec, s[18:19]
	s_cbranch_execz .LBB161_17
.LBB161_13:                             ;   Parent Loop BB161_10 Depth=1
                                        ; =>  This Inner Loop Header: Depth=2
	global_load_dword v24, v[8:9], off
	s_waitcnt vmcnt(0)
	v_subrev_u32_e32 v24, s20, v24
	v_sub_u32_e32 v26, 0, v24
	v_max_i32_e32 v26, v24, v26
	v_mul_hi_u32 v27, v26, v18
	v_mul_lo_u32 v28, v27, s4
	v_sub_u32_e32 v26, v26, v28
	v_add_u32_e32 v29, 1, v27
	v_cmp_le_u32_e32 vcc, s4, v26
	v_subrev_u32_e32 v28, s4, v26
	v_ashrrev_i32_e32 v25, 31, v24
	v_cndmask_b32_e32 v27, v27, v29, vcc
	v_cndmask_b32_e32 v26, v26, v28, vcc
	v_add_u32_e32 v28, 1, v27
	v_cmp_le_u32_e32 vcc, s4, v26
	v_xor_b32_e32 v25, s22, v25
	s_nop 0
	v_cndmask_b32_e32 v26, v27, v28, vcc
	v_xor_b32_e32 v26, v26, v25
	v_sub_u32_e32 v26, v26, v25
	v_cmp_eq_u32_e32 vcc, v26, v3
	v_cmp_ne_u32_e64 s[0:1], v26, v3
	v_mov_b32_e32 v25, v23
	s_and_saveexec_b64 s[24:25], s[0:1]
	s_xor_b64 s[0:1], exec, s[24:25]
; %bb.14:                               ;   in Loop: Header=BB161_13 Depth=2
	v_min_i32_e32 v20, v26, v20
                                        ; implicit-def: $vgpr24
                                        ; implicit-def: $vgpr25
; %bb.15:                               ;   in Loop: Header=BB161_13 Depth=2
	s_or_saveexec_b64 s[0:1], s[0:1]
	v_mov_b32_e32 v23, v21
	s_xor_b64 exec, exec, s[0:1]
	s_cbranch_execz .LBB161_12
; %bb.16:                               ;   in Loop: Header=BB161_13 Depth=2
	global_load_dwordx2 v[26:27], v[10:11], off
	v_sub_u32_e32 v23, v24, v22
	v_add_lshl_u32 v23, v14, v23, 3
	ds_write_b8 v12, v19 offset:2048
	s_waitcnt vmcnt(0)
	ds_write_b64 v23, v[26:27]
	v_mov_b32_e32 v23, v25
	s_branch .LBB161_12
.LBB161_17:                             ;   in Loop: Header=BB161_10 Depth=1
	s_or_b64 exec, exec, s[18:19]
.LBB161_18:                             ;   in Loop: Header=BB161_10 Depth=1
	s_or_b64 exec, exec, s[16:17]
	s_waitcnt lgkmcnt(0)
	ds_read_u8 v9, v12 offset:2048
	v_mov_b32_dpp v8, v23 row_shr:1 row_mask:0xf bank_mask:0xf
	v_min_i32_e32 v8, v8, v23
	ds_bpermute_b32 v8, v15, v8
	s_waitcnt lgkmcnt(1)
	v_and_b32_e32 v9, 1, v9
	v_cmp_eq_u32_e32 vcc, 1, v9
	v_mov_b32_e32 v9, 0
	s_and_saveexec_b64 s[0:1], vcc
	s_cbranch_execz .LBB161_9
; %bb.19:                               ;   in Loop: Header=BB161_10 Depth=1
	v_add_u32_e32 v9, s21, v3
	v_ashrrev_i32_e32 v3, 31, v2
	v_lshl_add_u64 v[10:11], v[2:3], 2, s[8:9]
	global_store_dword v[10:11], v9, off
	s_and_saveexec_b64 s[16:17], s[12:13]
	s_cbranch_execz .LBB161_8
; %bb.20:                               ;   in Loop: Header=BB161_10 Depth=1
	ds_read_b64 v[10:11], v16
	v_mul_lo_u32 v9, s23, v2
	v_mul_lo_u32 v3, s6, v3
	v_mad_u64_u32 v[22:23], s[18:19], s6, v2, 0
	v_add3_u32 v23, v23, v3, v9
	v_lshl_add_u64 v[22:23], v[22:23], 3, v[0:1]
	s_waitcnt lgkmcnt(0)
	global_store_dwordx2 v[22:23], v[10:11], off
	s_branch .LBB161_8
.LBB161_21:
	s_endpgm
	.section	.rodata,"a",@progbits
	.p2align	6, 0x0
	.amdhsa_kernel _ZN9rocsparseL44csr2gebsr_wavefront_per_row_multipass_kernelILi256ELi32ELi2ELi64E21rocsparse_complex_numIfEEEv20rocsparse_direction_iiiiii21rocsparse_index_base_PKT3_PKiS9_S4_PS5_PiSB_
		.amdhsa_group_segment_fixed_size 2052
		.amdhsa_private_segment_fixed_size 0
		.amdhsa_kernarg_size 88
		.amdhsa_user_sgpr_count 2
		.amdhsa_user_sgpr_dispatch_ptr 0
		.amdhsa_user_sgpr_queue_ptr 0
		.amdhsa_user_sgpr_kernarg_segment_ptr 1
		.amdhsa_user_sgpr_dispatch_id 0
		.amdhsa_user_sgpr_kernarg_preload_length 0
		.amdhsa_user_sgpr_kernarg_preload_offset 0
		.amdhsa_user_sgpr_private_segment_size 0
		.amdhsa_uses_dynamic_stack 0
		.amdhsa_enable_private_segment 0
		.amdhsa_system_sgpr_workgroup_id_x 1
		.amdhsa_system_sgpr_workgroup_id_y 0
		.amdhsa_system_sgpr_workgroup_id_z 0
		.amdhsa_system_sgpr_workgroup_info 0
		.amdhsa_system_vgpr_workitem_id 0
		.amdhsa_next_free_vgpr 30
		.amdhsa_next_free_sgpr 26
		.amdhsa_accum_offset 32
		.amdhsa_reserve_vcc 1
		.amdhsa_float_round_mode_32 0
		.amdhsa_float_round_mode_16_64 0
		.amdhsa_float_denorm_mode_32 3
		.amdhsa_float_denorm_mode_16_64 3
		.amdhsa_dx10_clamp 1
		.amdhsa_ieee_mode 1
		.amdhsa_fp16_overflow 0
		.amdhsa_tg_split 0
		.amdhsa_exception_fp_ieee_invalid_op 0
		.amdhsa_exception_fp_denorm_src 0
		.amdhsa_exception_fp_ieee_div_zero 0
		.amdhsa_exception_fp_ieee_overflow 0
		.amdhsa_exception_fp_ieee_underflow 0
		.amdhsa_exception_fp_ieee_inexact 0
		.amdhsa_exception_int_div_zero 0
	.end_amdhsa_kernel
	.section	.text._ZN9rocsparseL44csr2gebsr_wavefront_per_row_multipass_kernelILi256ELi32ELi2ELi64E21rocsparse_complex_numIfEEEv20rocsparse_direction_iiiiii21rocsparse_index_base_PKT3_PKiS9_S4_PS5_PiSB_,"axG",@progbits,_ZN9rocsparseL44csr2gebsr_wavefront_per_row_multipass_kernelILi256ELi32ELi2ELi64E21rocsparse_complex_numIfEEEv20rocsparse_direction_iiiiii21rocsparse_index_base_PKT3_PKiS9_S4_PS5_PiSB_,comdat
.Lfunc_end161:
	.size	_ZN9rocsparseL44csr2gebsr_wavefront_per_row_multipass_kernelILi256ELi32ELi2ELi64E21rocsparse_complex_numIfEEEv20rocsparse_direction_iiiiii21rocsparse_index_base_PKT3_PKiS9_S4_PS5_PiSB_, .Lfunc_end161-_ZN9rocsparseL44csr2gebsr_wavefront_per_row_multipass_kernelILi256ELi32ELi2ELi64E21rocsparse_complex_numIfEEEv20rocsparse_direction_iiiiii21rocsparse_index_base_PKT3_PKiS9_S4_PS5_PiSB_
                                        ; -- End function
	.section	.AMDGPU.csdata,"",@progbits
; Kernel info:
; codeLenInByte = 1176
; NumSgprs: 32
; NumVgprs: 30
; NumAgprs: 0
; TotalNumVgprs: 30
; ScratchSize: 0
; MemoryBound: 0
; FloatMode: 240
; IeeeMode: 1
; LDSByteSize: 2052 bytes/workgroup (compile time only)
; SGPRBlocks: 3
; VGPRBlocks: 3
; NumSGPRsForWavesPerEU: 32
; NumVGPRsForWavesPerEU: 30
; AccumOffset: 32
; Occupancy: 8
; WaveLimiterHint : 0
; COMPUTE_PGM_RSRC2:SCRATCH_EN: 0
; COMPUTE_PGM_RSRC2:USER_SGPR: 2
; COMPUTE_PGM_RSRC2:TRAP_HANDLER: 0
; COMPUTE_PGM_RSRC2:TGID_X_EN: 1
; COMPUTE_PGM_RSRC2:TGID_Y_EN: 0
; COMPUTE_PGM_RSRC2:TGID_Z_EN: 0
; COMPUTE_PGM_RSRC2:TIDIG_COMP_CNT: 0
; COMPUTE_PGM_RSRC3_GFX90A:ACCUM_OFFSET: 7
; COMPUTE_PGM_RSRC3_GFX90A:TG_SPLIT: 0
	.section	.text._ZN9rocsparseL44csr2gebsr_wavefront_per_row_multipass_kernelILi256ELi32ELi2ELi32E21rocsparse_complex_numIfEEEv20rocsparse_direction_iiiiii21rocsparse_index_base_PKT3_PKiS9_S4_PS5_PiSB_,"axG",@progbits,_ZN9rocsparseL44csr2gebsr_wavefront_per_row_multipass_kernelILi256ELi32ELi2ELi32E21rocsparse_complex_numIfEEEv20rocsparse_direction_iiiiii21rocsparse_index_base_PKT3_PKiS9_S4_PS5_PiSB_,comdat
	.globl	_ZN9rocsparseL44csr2gebsr_wavefront_per_row_multipass_kernelILi256ELi32ELi2ELi32E21rocsparse_complex_numIfEEEv20rocsparse_direction_iiiiii21rocsparse_index_base_PKT3_PKiS9_S4_PS5_PiSB_ ; -- Begin function _ZN9rocsparseL44csr2gebsr_wavefront_per_row_multipass_kernelILi256ELi32ELi2ELi32E21rocsparse_complex_numIfEEEv20rocsparse_direction_iiiiii21rocsparse_index_base_PKT3_PKiS9_S4_PS5_PiSB_
	.p2align	8
	.type	_ZN9rocsparseL44csr2gebsr_wavefront_per_row_multipass_kernelILi256ELi32ELi2ELi32E21rocsparse_complex_numIfEEEv20rocsparse_direction_iiiiii21rocsparse_index_base_PKT3_PKiS9_S4_PS5_PiSB_,@function
_ZN9rocsparseL44csr2gebsr_wavefront_per_row_multipass_kernelILi256ELi32ELi2ELi32E21rocsparse_complex_numIfEEEv20rocsparse_direction_iiiiii21rocsparse_index_base_PKT3_PKiS9_S4_PS5_PiSB_: ; @_ZN9rocsparseL44csr2gebsr_wavefront_per_row_multipass_kernelILi256ELi32ELi2ELi32E21rocsparse_complex_numIfEEEv20rocsparse_direction_iiiiii21rocsparse_index_base_PKT3_PKiS9_S4_PS5_PiSB_
; %bb.0:
	s_load_dwordx2 s[14:15], s[0:1], 0x0
	s_load_dwordx4 s[4:7], s[0:1], 0xc
	s_load_dword s26, s[0:1], 0x1c
	s_load_dwordx2 s[8:9], s[0:1], 0x28
	v_lshrrev_b32_e32 v16, 5, v0
	v_and_b32_e32 v4, 31, v0
	v_lshl_or_b32 v2, s2, 3, v16
	s_waitcnt lgkmcnt(0)
	v_mad_u64_u32 v[8:9], s[2:3], v2, s6, v[4:5]
	v_cmp_gt_i32_e32 vcc, s15, v8
	v_cmp_gt_i32_e64 s[2:3], s6, v4
	s_and_b64 s[10:11], s[2:3], vcc
	v_mov_b32_e32 v17, 0
	v_mov_b32_e32 v6, 0
	s_and_saveexec_b64 s[12:13], s[10:11]
	s_cbranch_execz .LBB162_2
; %bb.1:
	v_ashrrev_i32_e32 v9, 31, v8
	v_lshl_add_u64 v[6:7], v[8:9], 2, s[8:9]
	global_load_dword v1, v[6:7], off
	s_waitcnt vmcnt(0)
	v_subrev_u32_e32 v6, s26, v1
.LBB162_2:
	s_or_b64 exec, exec, s[12:13]
	s_and_saveexec_b64 s[12:13], s[10:11]
	s_cbranch_execz .LBB162_4
; %bb.3:
	v_ashrrev_i32_e32 v9, 31, v8
	v_lshl_add_u64 v[8:9], v[8:9], 2, s[8:9]
	global_load_dword v1, v[8:9], off offset:4
	s_waitcnt vmcnt(0)
	v_subrev_u32_e32 v17, s26, v1
.LBB162_4:
	s_or_b64 exec, exec, s[12:13]
	s_load_dword s27, s[0:1], 0x38
	v_cmp_gt_i32_e32 vcc, s4, v2
	v_mov_b32_e32 v8, 0
	s_and_saveexec_b64 s[8:9], vcc
	s_cbranch_execz .LBB162_6
; %bb.5:
	s_load_dwordx2 s[10:11], s[0:1], 0x48
	v_ashrrev_i32_e32 v3, 31, v2
	s_waitcnt lgkmcnt(0)
	v_lshl_add_u64 v[2:3], v[2:3], 2, s[10:11]
	global_load_dword v1, v[2:3], off
	s_waitcnt vmcnt(0)
	v_subrev_u32_e32 v8, s27, v1
.LBB162_6:
	s_or_b64 exec, exec, s[8:9]
	s_cmp_lt_i32 s5, 1
	s_cbranch_scc1 .LBB162_23
; %bb.7:
	s_cmp_eq_u32 s14, 0
	s_cselect_b64 vcc, -1, 0
	s_ashr_i32 s4, s7, 31
	s_load_dwordx2 s[8:9], s[0:1], 0x20
	s_load_dwordx2 s[10:11], s[0:1], 0x50
	;; [unrolled: 1-line block ×4, first 2 shown]
	s_mul_hi_u32 s0, s7, s6
	s_mul_i32 s1, s4, s6
	s_add_i32 s28, s0, s1
	s_cmp_lg_u32 s7, 0
	s_cselect_b64 s[0:1], -1, 0
	s_and_b64 s[16:17], s[2:3], s[0:1]
	v_mbcnt_lo_u32_b32 v1, -1, 0
	s_cmp_gt_u32 s7, 1
	v_mbcnt_hi_u32_b32 v1, -1, v1
	s_cselect_b64 s[0:1], -1, 0
	s_abs_i32 s29, s7
	v_lshlrev_b32_e32 v18, 2, v1
	v_cvt_f32_u32_e32 v1, s29
	v_mov_b32_e32 v2, 0
	v_lshlrev_b32_e32 v10, 3, v4
	v_mul_lo_u32 v4, v4, s7
	v_rcp_iflag_f32_e32 v1, v1
	v_mov_b32_e32 v11, v2
	v_ashrrev_i32_e32 v5, 31, v4
	s_waitcnt lgkmcnt(0)
	v_lshl_add_u64 v[10:11], s[18:19], 0, v[10:11]
	v_mul_f32_e32 v1, 0x4f7ffffe, v1
	v_cvt_u32_f32_e32 v1, v1
	v_lshl_add_u64 v[12:13], v[4:5], 3, s[18:19]
	s_and_b64 s[18:19], s[2:3], s[0:1]
	s_sub_i32 s0, 0, s29
	v_lshlrev_b32_e32 v20, 4, v0
	v_mul_lo_u32 v0, s0, v1
	v_mul_hi_u32 v0, v1, v0
	s_mov_b32 s15, 0
	s_mov_b32 s14, s6
	s_mul_i32 s6, s7, s6
	v_or_b32_e32 v19, 0x7c, v18
	v_add_u32_e32 v21, v1, v0
	s_mov_b64 s[20:21], 0
	v_mov_b32_e32 v3, v2
	v_mov_b32_e32 v4, v2
	;; [unrolled: 1-line block ×5, first 2 shown]
	s_branch .LBB162_10
.LBB162_8:                              ;   in Loop: Header=BB162_10 Depth=1
	s_or_b64 exec, exec, s[0:1]
	v_mov_b32_e32 v0, 1
.LBB162_9:                              ;   in Loop: Header=BB162_10 Depth=1
	s_or_b64 exec, exec, s[2:3]
	v_mov_b32_dpp v1, v7 row_shr:1 row_mask:0xf bank_mask:0xf
	v_min_i32_e32 v1, v1, v7
	v_add_u32_e32 v8, v0, v8
	s_waitcnt lgkmcnt(0)
	v_mov_b32_dpp v7, v1 row_shr:2 row_mask:0xf bank_mask:0xf
	v_min_i32_e32 v1, v7, v1
	s_nop 1
	v_mov_b32_dpp v7, v1 row_shr:4 row_mask:0xf bank_mask:0xe
	v_min_i32_e32 v1, v7, v1
	s_nop 1
	;; [unrolled: 3-line block ×3, first 2 shown]
	v_mov_b32_dpp v7, v1 row_bcast:15 row_mask:0xa bank_mask:0xf
	v_min_i32_e32 v1, v7, v1
	ds_bpermute_b32 v9, v19, v1
	s_waitcnt lgkmcnt(0)
	v_cmp_le_i32_e64 s[0:1], s5, v9
	s_or_b64 s[20:21], s[0:1], s[20:21]
	s_andn2_b64 exec, exec, s[20:21]
	s_cbranch_execz .LBB162_23
.LBB162_10:                             ; =>This Loop Header: Depth=1
                                        ;     Child Loop BB162_13 Depth 2
	v_cmp_lt_i32_e64 s[0:1], v6, v17
	v_mov_b32_e32 v7, s5
	v_mov_b32_e32 v24, v17
	ds_write_b8 v16, v2 offset:4096
	ds_write_b128 v20, v[2:5]
	s_waitcnt lgkmcnt(0)
	s_and_saveexec_b64 s[22:23], s[0:1]
	s_cbranch_execz .LBB162_18
; %bb.11:                               ;   in Loop: Header=BB162_10 Depth=1
	v_ashrrev_i32_e32 v7, 31, v6
	v_mul_lo_u32 v23, v9, s7
	v_lshl_add_u64 v[0:1], v[6:7], 2, s[12:13]
	v_lshl_add_u64 v[14:15], v[6:7], 3, s[8:9]
	s_mov_b64 s[24:25], 0
	v_mov_b32_e32 v7, s5
	v_mov_b32_e32 v24, v17
	s_branch .LBB162_13
.LBB162_12:                             ;   in Loop: Header=BB162_13 Depth=2
	s_or_b64 exec, exec, s[2:3]
	v_add_u32_e32 v6, 1, v6
	v_cmp_ge_i32_e64 s[2:3], v6, v17
	s_xor_b64 s[0:1], s[0:1], -1
	s_or_b64 s[0:1], s[0:1], s[2:3]
	s_and_b64 s[0:1], exec, s[0:1]
	v_lshl_add_u64 v[0:1], v[0:1], 0, 4
	s_or_b64 s[24:25], s[0:1], s[24:25]
	v_lshl_add_u64 v[14:15], v[14:15], 0, 8
	s_andn2_b64 exec, exec, s[24:25]
	s_cbranch_execz .LBB162_17
.LBB162_13:                             ;   Parent Loop BB162_10 Depth=1
                                        ; =>  This Inner Loop Header: Depth=2
	global_load_dword v25, v[0:1], off
	s_waitcnt vmcnt(0)
	v_subrev_u32_e32 v25, s26, v25
	v_sub_u32_e32 v27, 0, v25
	v_max_i32_e32 v27, v25, v27
	v_mul_hi_u32 v28, v27, v21
	v_mul_lo_u32 v29, v28, s29
	v_sub_u32_e32 v27, v27, v29
	v_add_u32_e32 v30, 1, v28
	v_cmp_le_u32_e64 s[0:1], s29, v27
	v_subrev_u32_e32 v29, s29, v27
	v_ashrrev_i32_e32 v26, 31, v25
	v_cndmask_b32_e64 v28, v28, v30, s[0:1]
	v_cndmask_b32_e64 v27, v27, v29, s[0:1]
	v_add_u32_e32 v29, 1, v28
	v_cmp_le_u32_e64 s[0:1], s29, v27
	v_xor_b32_e32 v26, s4, v26
	s_nop 0
	v_cndmask_b32_e64 v27, v28, v29, s[0:1]
	v_xor_b32_e32 v27, v27, v26
	v_sub_u32_e32 v27, v27, v26
	v_cmp_eq_u32_e64 s[0:1], v27, v9
	v_cmp_ne_u32_e64 s[2:3], v27, v9
	v_mov_b32_e32 v26, v24
	s_and_saveexec_b64 s[30:31], s[2:3]
	s_xor_b64 s[2:3], exec, s[30:31]
; %bb.14:                               ;   in Loop: Header=BB162_13 Depth=2
	v_min_i32_e32 v7, v27, v7
                                        ; implicit-def: $vgpr25
                                        ; implicit-def: $vgpr26
; %bb.15:                               ;   in Loop: Header=BB162_13 Depth=2
	s_or_saveexec_b64 s[2:3], s[2:3]
	v_mov_b32_e32 v24, v6
	s_xor_b64 exec, exec, s[2:3]
	s_cbranch_execz .LBB162_12
; %bb.16:                               ;   in Loop: Header=BB162_13 Depth=2
	global_load_dwordx2 v[28:29], v[14:15], off
	v_sub_u32_e32 v24, v25, v23
	v_lshl_add_u32 v24, v24, 3, v20
	ds_write_b8 v16, v22 offset:4096
	s_waitcnt vmcnt(0)
	ds_write_b64 v24, v[28:29]
	v_mov_b32_e32 v24, v26
	s_branch .LBB162_12
.LBB162_17:                             ;   in Loop: Header=BB162_10 Depth=1
	s_or_b64 exec, exec, s[24:25]
.LBB162_18:                             ;   in Loop: Header=BB162_10 Depth=1
	s_or_b64 exec, exec, s[22:23]
	s_waitcnt lgkmcnt(0)
	ds_read_u8 v0, v16 offset:4096
	ds_bpermute_b32 v6, v18, v24
	s_waitcnt lgkmcnt(1)
	v_and_b32_e32 v0, 1, v0
	v_cmp_eq_u32_e64 s[0:1], 1, v0
	v_mov_b32_e32 v0, 0
	s_and_saveexec_b64 s[2:3], s[0:1]
	s_cbranch_execz .LBB162_9
; %bb.19:                               ;   in Loop: Header=BB162_10 Depth=1
	v_add_u32_e32 v14, s27, v9
	v_ashrrev_i32_e32 v9, 31, v8
	v_lshl_add_u64 v[0:1], v[8:9], 2, s[10:11]
	global_store_dword v[0:1], v14, off
	v_mul_lo_u32 v14, s28, v8
	v_mul_lo_u32 v9, s6, v9
	v_mad_u64_u32 v[0:1], s[0:1], s6, v8, 0
	v_add3_u32 v1, v1, v9, v14
	v_lshlrev_b64 v[14:15], 3, v[0:1]
	v_lshl_add_u64 v[0:1], v[10:11], 0, v[14:15]
	v_lshl_add_u64 v[14:15], v[12:13], 0, v[14:15]
	s_and_saveexec_b64 s[0:1], s[16:17]
	s_cbranch_execz .LBB162_21
; %bb.20:                               ;   in Loop: Header=BB162_10 Depth=1
	ds_read_b64 v[24:25], v20
	v_cndmask_b32_e32 v27, v1, v15, vcc
	v_cndmask_b32_e32 v26, v0, v14, vcc
	s_waitcnt lgkmcnt(0)
	global_store_dwordx2 v[26:27], v[24:25], off
.LBB162_21:                             ;   in Loop: Header=BB162_10 Depth=1
	s_or_b64 exec, exec, s[0:1]
	s_and_saveexec_b64 s[0:1], s[18:19]
	s_cbranch_execz .LBB162_8
; %bb.22:                               ;   in Loop: Header=BB162_10 Depth=1
	ds_read_b64 v[24:25], v20 offset:8
	v_lshl_add_u64 v[14:15], v[14:15], 0, 8
	v_lshl_add_u64 v[0:1], s[14:15], 3, v[0:1]
	v_cndmask_b32_e32 v1, v1, v15, vcc
	v_cndmask_b32_e32 v0, v0, v14, vcc
	s_waitcnt lgkmcnt(0)
	global_store_dwordx2 v[0:1], v[24:25], off
	s_branch .LBB162_8
.LBB162_23:
	s_endpgm
	.section	.rodata,"a",@progbits
	.p2align	6, 0x0
	.amdhsa_kernel _ZN9rocsparseL44csr2gebsr_wavefront_per_row_multipass_kernelILi256ELi32ELi2ELi32E21rocsparse_complex_numIfEEEv20rocsparse_direction_iiiiii21rocsparse_index_base_PKT3_PKiS9_S4_PS5_PiSB_
		.amdhsa_group_segment_fixed_size 4104
		.amdhsa_private_segment_fixed_size 0
		.amdhsa_kernarg_size 88
		.amdhsa_user_sgpr_count 2
		.amdhsa_user_sgpr_dispatch_ptr 0
		.amdhsa_user_sgpr_queue_ptr 0
		.amdhsa_user_sgpr_kernarg_segment_ptr 1
		.amdhsa_user_sgpr_dispatch_id 0
		.amdhsa_user_sgpr_kernarg_preload_length 0
		.amdhsa_user_sgpr_kernarg_preload_offset 0
		.amdhsa_user_sgpr_private_segment_size 0
		.amdhsa_uses_dynamic_stack 0
		.amdhsa_enable_private_segment 0
		.amdhsa_system_sgpr_workgroup_id_x 1
		.amdhsa_system_sgpr_workgroup_id_y 0
		.amdhsa_system_sgpr_workgroup_id_z 0
		.amdhsa_system_sgpr_workgroup_info 0
		.amdhsa_system_vgpr_workitem_id 0
		.amdhsa_next_free_vgpr 31
		.amdhsa_next_free_sgpr 32
		.amdhsa_accum_offset 32
		.amdhsa_reserve_vcc 1
		.amdhsa_float_round_mode_32 0
		.amdhsa_float_round_mode_16_64 0
		.amdhsa_float_denorm_mode_32 3
		.amdhsa_float_denorm_mode_16_64 3
		.amdhsa_dx10_clamp 1
		.amdhsa_ieee_mode 1
		.amdhsa_fp16_overflow 0
		.amdhsa_tg_split 0
		.amdhsa_exception_fp_ieee_invalid_op 0
		.amdhsa_exception_fp_denorm_src 0
		.amdhsa_exception_fp_ieee_div_zero 0
		.amdhsa_exception_fp_ieee_overflow 0
		.amdhsa_exception_fp_ieee_underflow 0
		.amdhsa_exception_fp_ieee_inexact 0
		.amdhsa_exception_int_div_zero 0
	.end_amdhsa_kernel
	.section	.text._ZN9rocsparseL44csr2gebsr_wavefront_per_row_multipass_kernelILi256ELi32ELi2ELi32E21rocsparse_complex_numIfEEEv20rocsparse_direction_iiiiii21rocsparse_index_base_PKT3_PKiS9_S4_PS5_PiSB_,"axG",@progbits,_ZN9rocsparseL44csr2gebsr_wavefront_per_row_multipass_kernelILi256ELi32ELi2ELi32E21rocsparse_complex_numIfEEEv20rocsparse_direction_iiiiii21rocsparse_index_base_PKT3_PKiS9_S4_PS5_PiSB_,comdat
.Lfunc_end162:
	.size	_ZN9rocsparseL44csr2gebsr_wavefront_per_row_multipass_kernelILi256ELi32ELi2ELi32E21rocsparse_complex_numIfEEEv20rocsparse_direction_iiiiii21rocsparse_index_base_PKT3_PKiS9_S4_PS5_PiSB_, .Lfunc_end162-_ZN9rocsparseL44csr2gebsr_wavefront_per_row_multipass_kernelILi256ELi32ELi2ELi32E21rocsparse_complex_numIfEEEv20rocsparse_direction_iiiiii21rocsparse_index_base_PKT3_PKiS9_S4_PS5_PiSB_
                                        ; -- End function
	.section	.AMDGPU.csdata,"",@progbits
; Kernel info:
; codeLenInByte = 1200
; NumSgprs: 38
; NumVgprs: 31
; NumAgprs: 0
; TotalNumVgprs: 31
; ScratchSize: 0
; MemoryBound: 0
; FloatMode: 240
; IeeeMode: 1
; LDSByteSize: 4104 bytes/workgroup (compile time only)
; SGPRBlocks: 4
; VGPRBlocks: 3
; NumSGPRsForWavesPerEU: 38
; NumVGPRsForWavesPerEU: 31
; AccumOffset: 32
; Occupancy: 8
; WaveLimiterHint : 0
; COMPUTE_PGM_RSRC2:SCRATCH_EN: 0
; COMPUTE_PGM_RSRC2:USER_SGPR: 2
; COMPUTE_PGM_RSRC2:TRAP_HANDLER: 0
; COMPUTE_PGM_RSRC2:TGID_X_EN: 1
; COMPUTE_PGM_RSRC2:TGID_Y_EN: 0
; COMPUTE_PGM_RSRC2:TGID_Z_EN: 0
; COMPUTE_PGM_RSRC2:TIDIG_COMP_CNT: 0
; COMPUTE_PGM_RSRC3_GFX90A:ACCUM_OFFSET: 7
; COMPUTE_PGM_RSRC3_GFX90A:TG_SPLIT: 0
	.section	.text._ZN9rocsparseL44csr2gebsr_wavefront_per_row_multipass_kernelILi256ELi32ELi4ELi64E21rocsparse_complex_numIfEEEv20rocsparse_direction_iiiiii21rocsparse_index_base_PKT3_PKiS9_S4_PS5_PiSB_,"axG",@progbits,_ZN9rocsparseL44csr2gebsr_wavefront_per_row_multipass_kernelILi256ELi32ELi4ELi64E21rocsparse_complex_numIfEEEv20rocsparse_direction_iiiiii21rocsparse_index_base_PKT3_PKiS9_S4_PS5_PiSB_,comdat
	.globl	_ZN9rocsparseL44csr2gebsr_wavefront_per_row_multipass_kernelILi256ELi32ELi4ELi64E21rocsparse_complex_numIfEEEv20rocsparse_direction_iiiiii21rocsparse_index_base_PKT3_PKiS9_S4_PS5_PiSB_ ; -- Begin function _ZN9rocsparseL44csr2gebsr_wavefront_per_row_multipass_kernelILi256ELi32ELi4ELi64E21rocsparse_complex_numIfEEEv20rocsparse_direction_iiiiii21rocsparse_index_base_PKT3_PKiS9_S4_PS5_PiSB_
	.p2align	8
	.type	_ZN9rocsparseL44csr2gebsr_wavefront_per_row_multipass_kernelILi256ELi32ELi4ELi64E21rocsparse_complex_numIfEEEv20rocsparse_direction_iiiiii21rocsparse_index_base_PKT3_PKiS9_S4_PS5_PiSB_,@function
_ZN9rocsparseL44csr2gebsr_wavefront_per_row_multipass_kernelILi256ELi32ELi4ELi64E21rocsparse_complex_numIfEEEv20rocsparse_direction_iiiiii21rocsparse_index_base_PKT3_PKiS9_S4_PS5_PiSB_: ; @_ZN9rocsparseL44csr2gebsr_wavefront_per_row_multipass_kernelILi256ELi32ELi4ELi64E21rocsparse_complex_numIfEEEv20rocsparse_direction_iiiiii21rocsparse_index_base_PKT3_PKiS9_S4_PS5_PiSB_
; %bb.0:
	s_load_dwordx2 s[4:5], s[0:1], 0x0
	s_load_dwordx4 s[8:11], s[0:1], 0xc
	s_load_dword s24, s[0:1], 0x1c
	s_load_dwordx2 s[6:7], s[0:1], 0x28
	v_lshrrev_b32_e32 v18, 6, v0
	v_bfe_u32 v6, v0, 1, 5
	v_lshl_or_b32 v4, s2, 2, v18
	s_waitcnt lgkmcnt(0)
	v_mad_u64_u32 v[2:3], s[2:3], v4, s10, v[6:7]
	v_cmp_gt_i32_e32 vcc, s5, v2
	v_cmp_gt_i32_e64 s[2:3], s10, v6
	s_and_b64 s[12:13], s[2:3], vcc
	v_mov_b32_e32 v19, 0
	v_mov_b32_e32 v16, 0
	s_and_saveexec_b64 s[14:15], s[12:13]
	s_cbranch_execz .LBB163_2
; %bb.1:
	v_ashrrev_i32_e32 v3, 31, v2
	v_lshl_add_u64 v[8:9], v[2:3], 2, s[6:7]
	global_load_dword v1, v[8:9], off
	s_waitcnt vmcnt(0)
	v_subrev_u32_e32 v16, s24, v1
.LBB163_2:
	s_or_b64 exec, exec, s[14:15]
	s_and_saveexec_b64 s[14:15], s[12:13]
	s_cbranch_execz .LBB163_4
; %bb.3:
	v_ashrrev_i32_e32 v3, 31, v2
	v_lshl_add_u64 v[2:3], v[2:3], 2, s[6:7]
	global_load_dword v1, v[2:3], off offset:4
	s_waitcnt vmcnt(0)
	v_subrev_u32_e32 v19, s24, v1
.LBB163_4:
	s_or_b64 exec, exec, s[14:15]
	s_load_dword s25, s[0:1], 0x38
	v_cmp_gt_i32_e32 vcc, s8, v4
	v_mov_b32_e32 v2, 0
	s_and_saveexec_b64 s[6:7], vcc
	s_cbranch_execz .LBB163_6
; %bb.5:
	s_load_dwordx2 s[12:13], s[0:1], 0x48
	v_ashrrev_i32_e32 v5, 31, v4
	s_waitcnt lgkmcnt(0)
	v_lshl_add_u64 v[2:3], v[4:5], 2, s[12:13]
	global_load_dword v1, v[2:3], off
	s_waitcnt vmcnt(0)
	v_subrev_u32_e32 v2, s25, v1
.LBB163_6:
	s_or_b64 exec, exec, s[6:7]
	s_cmp_lt_i32 s9, 1
	s_cbranch_scc1 .LBB163_25
; %bb.7:
	v_and_b32_e32 v20, 1, v0
	v_lshlrev_b32_e32 v0, 7, v18
	v_lshl_or_b32 v21, v6, 2, v0
	v_mbcnt_lo_u32_b32 v0, -1, 0
	v_mbcnt_hi_u32_b32 v0, -1, v0
	s_cmp_eq_u32 s4, 0
	v_lshlrev_b32_e32 v3, 2, v0
	s_cselect_b64 vcc, -1, 0
	s_abs_i32 s28, s11
	v_or_b32_e32 v22, 4, v3
	v_or_b32_e32 v23, 0xfc, v3
	v_cvt_f32_u32_e32 v3, s28
	s_load_dwordx2 s[6:7], s[0:1], 0x20
	s_load_dwordx2 s[12:13], s[0:1], 0x50
	;; [unrolled: 1-line block ×4, first 2 shown]
	s_ashr_i32 s8, s11, 31
	s_mul_hi_u32 s0, s11, s10
	v_rcp_iflag_f32_e32 v3, v3
	s_mul_i32 s1, s8, s10
	v_lshlrev_b32_e32 v0, 3, v6
	v_mul_lo_u32 v6, v6, s11
	v_mul_f32_e32 v3, 0x4f7ffffe, v3
	v_cvt_u32_f32_e32 v3, v3
	v_mov_b32_e32 v1, 0
	s_add_i32 s26, s0, s1
	v_ashrrev_i32_e32 v7, 31, v6
	v_cmp_gt_u32_e64 s[0:1], s11, v20
	v_or_b32_e32 v8, v21, v20
	s_waitcnt lgkmcnt(0)
	v_lshl_add_u64 v[4:5], s[16:17], 0, v[0:1]
	v_lshl_add_u64 v[6:7], v[6:7], 3, s[16:17]
	s_and_b64 s[16:17], s[0:1], s[2:3]
	s_sub_i32 s0, 0, s28
	v_lshlrev_b32_e32 v0, 3, v20
	v_lshlrev_b32_e32 v24, 3, v8
	v_or_b32_e32 v8, 2, v20
	v_mul_lo_u32 v10, s0, v3
	v_lshl_add_u64 v[6:7], v[6:7], 0, v[0:1]
	v_mul_lo_u32 v0, v20, s10
	v_cmp_gt_u32_e64 s[4:5], s11, v8
	v_mul_hi_u32 v10, v3, v10
	s_mul_i32 s27, s11, s10
	v_lshl_add_u32 v8, s10, 1, v0
	v_mov_b32_e32 v9, v1
	s_and_b64 s[4:5], s[2:3], s[4:5]
	v_add_u32_e32 v25, v3, v10
	v_or_b32_e32 v26, -2, v20
	s_mov_b64 s[18:19], 0
	v_mov_b32_e32 v10, v1
	v_mov_b32_e32 v11, v1
	;; [unrolled: 1-line block ×4, first 2 shown]
	s_branch .LBB163_10
.LBB163_8:                              ;   in Loop: Header=BB163_10 Depth=1
	s_or_b64 exec, exec, s[0:1]
	v_mov_b32_e32 v12, 1
.LBB163_9:                              ;   in Loop: Header=BB163_10 Depth=1
	s_or_b64 exec, exec, s[2:3]
	v_mov_b32_dpp v3, v28 row_shr:1 row_mask:0xf bank_mask:0xf
	v_min_i32_e32 v3, v3, v28
	v_add_u32_e32 v2, v12, v2
	s_waitcnt lgkmcnt(0)
	v_mov_b32_dpp v13, v3 row_shr:2 row_mask:0xf bank_mask:0xf
	v_min_i32_e32 v3, v13, v3
	s_nop 1
	v_mov_b32_dpp v13, v3 row_shr:4 row_mask:0xf bank_mask:0xe
	v_min_i32_e32 v3, v13, v3
	s_nop 1
	;; [unrolled: 3-line block ×3, first 2 shown]
	v_mov_b32_dpp v13, v3 row_bcast:15 row_mask:0xa bank_mask:0xf
	v_min_i32_e32 v3, v13, v3
	s_nop 1
	v_mov_b32_dpp v13, v3 row_bcast:31 row_mask:0xc bank_mask:0xf
	v_min_i32_e32 v3, v13, v3
	ds_bpermute_b32 v3, v23, v3
	s_waitcnt lgkmcnt(0)
	v_cmp_le_i32_e64 s[0:1], s9, v3
	s_or_b64 s[18:19], s[0:1], s[18:19]
	s_andn2_b64 exec, exec, s[18:19]
	s_cbranch_execz .LBB163_25
.LBB163_10:                             ; =>This Loop Header: Depth=1
                                        ;     Child Loop BB163_11 Depth 2
                                        ;     Child Loop BB163_15 Depth 2
	s_mov_b64 s[2:3], 0
	v_mov_b32_e32 v12, v24
	v_mov_b32_e32 v13, v26
	ds_write_b8 v18, v1 offset:4096
.LBB163_11:                             ;   Parent Loop BB163_10 Depth=1
                                        ; =>  This Inner Loop Header: Depth=2
	v_add_co_u32_e64 v13, s[0:1], 2, v13
	s_xor_b64 s[0:1], s[0:1], -1
	s_and_b64 s[0:1], exec, s[0:1]
	ds_write_b64 v12, v[10:11]
	s_or_b64 s[2:3], s[0:1], s[2:3]
	v_add_u32_e32 v12, 16, v12
	s_andn2_b64 exec, exec, s[2:3]
	s_cbranch_execnz .LBB163_11
; %bb.12:                               ;   in Loop: Header=BB163_10 Depth=1
	s_or_b64 exec, exec, s[2:3]
	v_add_u32_e32 v12, v16, v20
	v_cmp_lt_i32_e64 s[0:1], v12, v19
	v_mov_b32_e32 v28, s9
	v_mov_b32_e32 v13, v19
	s_waitcnt lgkmcnt(0)
	s_and_saveexec_b64 s[20:21], s[0:1]
	s_cbranch_execz .LBB163_20
; %bb.13:                               ;   in Loop: Header=BB163_10 Depth=1
	v_ashrrev_i32_e32 v13, 31, v12
	v_mul_lo_u32 v29, v3, s11
	v_lshl_add_u64 v[14:15], v[12:13], 2, s[14:15]
	v_lshl_add_u64 v[16:17], v[12:13], 3, s[6:7]
	s_mov_b64 s[22:23], 0
	v_mov_b32_e32 v28, s9
	v_mov_b32_e32 v13, v19
	s_branch .LBB163_15
.LBB163_14:                             ;   in Loop: Header=BB163_15 Depth=2
	s_or_b64 exec, exec, s[2:3]
	v_add_u32_e32 v12, 2, v12
	v_cmp_ge_i32_e64 s[2:3], v12, v19
	s_xor_b64 s[0:1], s[0:1], -1
	s_or_b64 s[0:1], s[0:1], s[2:3]
	s_and_b64 s[0:1], exec, s[0:1]
	v_lshl_add_u64 v[14:15], v[14:15], 0, 8
	s_or_b64 s[22:23], s[0:1], s[22:23]
	v_lshl_add_u64 v[16:17], v[16:17], 0, 16
	s_andn2_b64 exec, exec, s[22:23]
	s_cbranch_execz .LBB163_19
.LBB163_15:                             ;   Parent Loop BB163_10 Depth=1
                                        ; =>  This Inner Loop Header: Depth=2
	global_load_dword v30, v[14:15], off
	s_waitcnt vmcnt(0)
	v_subrev_u32_e32 v30, s24, v30
	v_sub_u32_e32 v32, 0, v30
	v_max_i32_e32 v32, v30, v32
	v_mul_hi_u32 v33, v32, v25
	v_mul_lo_u32 v34, v33, s28
	v_sub_u32_e32 v32, v32, v34
	v_add_u32_e32 v35, 1, v33
	v_cmp_le_u32_e64 s[0:1], s28, v32
	v_subrev_u32_e32 v34, s28, v32
	v_ashrrev_i32_e32 v31, 31, v30
	v_cndmask_b32_e64 v33, v33, v35, s[0:1]
	v_cndmask_b32_e64 v32, v32, v34, s[0:1]
	v_add_u32_e32 v34, 1, v33
	v_cmp_le_u32_e64 s[0:1], s28, v32
	v_xor_b32_e32 v31, s8, v31
	s_nop 0
	v_cndmask_b32_e64 v32, v33, v34, s[0:1]
	v_xor_b32_e32 v32, v32, v31
	v_sub_u32_e32 v32, v32, v31
	v_cmp_eq_u32_e64 s[0:1], v32, v3
	v_cmp_ne_u32_e64 s[2:3], v32, v3
	v_mov_b32_e32 v31, v13
	s_and_saveexec_b64 s[30:31], s[2:3]
	s_xor_b64 s[2:3], exec, s[30:31]
; %bb.16:                               ;   in Loop: Header=BB163_15 Depth=2
	v_min_i32_e32 v28, v32, v28
                                        ; implicit-def: $vgpr30
                                        ; implicit-def: $vgpr31
; %bb.17:                               ;   in Loop: Header=BB163_15 Depth=2
	s_or_saveexec_b64 s[2:3], s[2:3]
	v_mov_b32_e32 v13, v12
	s_xor_b64 exec, exec, s[2:3]
	s_cbranch_execz .LBB163_14
; %bb.18:                               ;   in Loop: Header=BB163_15 Depth=2
	global_load_dwordx2 v[32:33], v[16:17], off
	v_sub_u32_e32 v13, v30, v29
	v_add_lshl_u32 v13, v21, v13, 3
	ds_write_b8 v18, v27 offset:4096
	s_waitcnt vmcnt(0)
	ds_write_b64 v13, v[32:33]
	v_mov_b32_e32 v13, v31
	s_branch .LBB163_14
.LBB163_19:                             ;   in Loop: Header=BB163_10 Depth=1
	s_or_b64 exec, exec, s[22:23]
.LBB163_20:                             ;   in Loop: Header=BB163_10 Depth=1
	s_or_b64 exec, exec, s[20:21]
	s_waitcnt lgkmcnt(0)
	ds_read_u8 v12, v18 offset:4096
	v_mov_b32_dpp v14, v13 row_shr:1 row_mask:0xf bank_mask:0xf
	v_min_i32_e32 v13, v14, v13
	ds_bpermute_b32 v16, v22, v13
	s_waitcnt lgkmcnt(1)
	v_and_b32_e32 v12, 1, v12
	v_cmp_eq_u32_e64 s[0:1], 1, v12
	v_mov_b32_e32 v12, 0
	s_and_saveexec_b64 s[2:3], s[0:1]
	s_cbranch_execz .LBB163_9
; %bb.21:                               ;   in Loop: Header=BB163_10 Depth=1
	v_add_u32_e32 v14, s25, v3
	v_ashrrev_i32_e32 v3, 31, v2
	v_lshl_add_u64 v[12:13], v[2:3], 2, s[12:13]
	global_store_dword v[12:13], v14, off
	v_mul_lo_u32 v14, s26, v2
	v_mul_lo_u32 v3, s27, v3
	v_mad_u64_u32 v[12:13], s[0:1], s27, v2, 0
	v_add3_u32 v13, v13, v3, v14
	v_lshlrev_b64 v[14:15], 3, v[12:13]
	v_lshl_add_u64 v[12:13], v[4:5], 0, v[14:15]
	v_lshl_add_u64 v[14:15], v[6:7], 0, v[14:15]
	s_and_saveexec_b64 s[0:1], s[16:17]
	s_cbranch_execz .LBB163_23
; %bb.22:                               ;   in Loop: Header=BB163_10 Depth=1
	ds_read_b64 v[30:31], v24
	v_lshl_add_u64 v[32:33], v[0:1], 3, v[12:13]
	v_cndmask_b32_e32 v33, v33, v15, vcc
	v_cndmask_b32_e32 v32, v32, v14, vcc
	s_waitcnt lgkmcnt(0)
	global_store_dwordx2 v[32:33], v[30:31], off
.LBB163_23:                             ;   in Loop: Header=BB163_10 Depth=1
	s_or_b64 exec, exec, s[0:1]
	s_and_saveexec_b64 s[0:1], s[4:5]
	s_cbranch_execz .LBB163_8
; %bb.24:                               ;   in Loop: Header=BB163_10 Depth=1
	ds_read_b64 v[30:31], v24 offset:16
	v_lshl_add_u64 v[14:15], v[14:15], 0, 16
	v_lshl_add_u64 v[12:13], v[8:9], 3, v[12:13]
	v_cndmask_b32_e32 v13, v13, v15, vcc
	v_cndmask_b32_e32 v12, v12, v14, vcc
	s_waitcnt lgkmcnt(0)
	global_store_dwordx2 v[12:13], v[30:31], off
	s_branch .LBB163_8
.LBB163_25:
	s_endpgm
	.section	.rodata,"a",@progbits
	.p2align	6, 0x0
	.amdhsa_kernel _ZN9rocsparseL44csr2gebsr_wavefront_per_row_multipass_kernelILi256ELi32ELi4ELi64E21rocsparse_complex_numIfEEEv20rocsparse_direction_iiiiii21rocsparse_index_base_PKT3_PKiS9_S4_PS5_PiSB_
		.amdhsa_group_segment_fixed_size 4100
		.amdhsa_private_segment_fixed_size 0
		.amdhsa_kernarg_size 88
		.amdhsa_user_sgpr_count 2
		.amdhsa_user_sgpr_dispatch_ptr 0
		.amdhsa_user_sgpr_queue_ptr 0
		.amdhsa_user_sgpr_kernarg_segment_ptr 1
		.amdhsa_user_sgpr_dispatch_id 0
		.amdhsa_user_sgpr_kernarg_preload_length 0
		.amdhsa_user_sgpr_kernarg_preload_offset 0
		.amdhsa_user_sgpr_private_segment_size 0
		.amdhsa_uses_dynamic_stack 0
		.amdhsa_enable_private_segment 0
		.amdhsa_system_sgpr_workgroup_id_x 1
		.amdhsa_system_sgpr_workgroup_id_y 0
		.amdhsa_system_sgpr_workgroup_id_z 0
		.amdhsa_system_sgpr_workgroup_info 0
		.amdhsa_system_vgpr_workitem_id 0
		.amdhsa_next_free_vgpr 36
		.amdhsa_next_free_sgpr 32
		.amdhsa_accum_offset 36
		.amdhsa_reserve_vcc 1
		.amdhsa_float_round_mode_32 0
		.amdhsa_float_round_mode_16_64 0
		.amdhsa_float_denorm_mode_32 3
		.amdhsa_float_denorm_mode_16_64 3
		.amdhsa_dx10_clamp 1
		.amdhsa_ieee_mode 1
		.amdhsa_fp16_overflow 0
		.amdhsa_tg_split 0
		.amdhsa_exception_fp_ieee_invalid_op 0
		.amdhsa_exception_fp_denorm_src 0
		.amdhsa_exception_fp_ieee_div_zero 0
		.amdhsa_exception_fp_ieee_overflow 0
		.amdhsa_exception_fp_ieee_underflow 0
		.amdhsa_exception_fp_ieee_inexact 0
		.amdhsa_exception_int_div_zero 0
	.end_amdhsa_kernel
	.section	.text._ZN9rocsparseL44csr2gebsr_wavefront_per_row_multipass_kernelILi256ELi32ELi4ELi64E21rocsparse_complex_numIfEEEv20rocsparse_direction_iiiiii21rocsparse_index_base_PKT3_PKiS9_S4_PS5_PiSB_,"axG",@progbits,_ZN9rocsparseL44csr2gebsr_wavefront_per_row_multipass_kernelILi256ELi32ELi4ELi64E21rocsparse_complex_numIfEEEv20rocsparse_direction_iiiiii21rocsparse_index_base_PKT3_PKiS9_S4_PS5_PiSB_,comdat
.Lfunc_end163:
	.size	_ZN9rocsparseL44csr2gebsr_wavefront_per_row_multipass_kernelILi256ELi32ELi4ELi64E21rocsparse_complex_numIfEEEv20rocsparse_direction_iiiiii21rocsparse_index_base_PKT3_PKiS9_S4_PS5_PiSB_, .Lfunc_end163-_ZN9rocsparseL44csr2gebsr_wavefront_per_row_multipass_kernelILi256ELi32ELi4ELi64E21rocsparse_complex_numIfEEEv20rocsparse_direction_iiiiii21rocsparse_index_base_PKT3_PKiS9_S4_PS5_PiSB_
                                        ; -- End function
	.section	.AMDGPU.csdata,"",@progbits
; Kernel info:
; codeLenInByte = 1340
; NumSgprs: 38
; NumVgprs: 36
; NumAgprs: 0
; TotalNumVgprs: 36
; ScratchSize: 0
; MemoryBound: 0
; FloatMode: 240
; IeeeMode: 1
; LDSByteSize: 4100 bytes/workgroup (compile time only)
; SGPRBlocks: 4
; VGPRBlocks: 4
; NumSGPRsForWavesPerEU: 38
; NumVGPRsForWavesPerEU: 36
; AccumOffset: 36
; Occupancy: 8
; WaveLimiterHint : 0
; COMPUTE_PGM_RSRC2:SCRATCH_EN: 0
; COMPUTE_PGM_RSRC2:USER_SGPR: 2
; COMPUTE_PGM_RSRC2:TRAP_HANDLER: 0
; COMPUTE_PGM_RSRC2:TGID_X_EN: 1
; COMPUTE_PGM_RSRC2:TGID_Y_EN: 0
; COMPUTE_PGM_RSRC2:TGID_Z_EN: 0
; COMPUTE_PGM_RSRC2:TIDIG_COMP_CNT: 0
; COMPUTE_PGM_RSRC3_GFX90A:ACCUM_OFFSET: 8
; COMPUTE_PGM_RSRC3_GFX90A:TG_SPLIT: 0
	.section	.text._ZN9rocsparseL44csr2gebsr_wavefront_per_row_multipass_kernelILi256ELi32ELi4ELi32E21rocsparse_complex_numIfEEEv20rocsparse_direction_iiiiii21rocsparse_index_base_PKT3_PKiS9_S4_PS5_PiSB_,"axG",@progbits,_ZN9rocsparseL44csr2gebsr_wavefront_per_row_multipass_kernelILi256ELi32ELi4ELi32E21rocsparse_complex_numIfEEEv20rocsparse_direction_iiiiii21rocsparse_index_base_PKT3_PKiS9_S4_PS5_PiSB_,comdat
	.globl	_ZN9rocsparseL44csr2gebsr_wavefront_per_row_multipass_kernelILi256ELi32ELi4ELi32E21rocsparse_complex_numIfEEEv20rocsparse_direction_iiiiii21rocsparse_index_base_PKT3_PKiS9_S4_PS5_PiSB_ ; -- Begin function _ZN9rocsparseL44csr2gebsr_wavefront_per_row_multipass_kernelILi256ELi32ELi4ELi32E21rocsparse_complex_numIfEEEv20rocsparse_direction_iiiiii21rocsparse_index_base_PKT3_PKiS9_S4_PS5_PiSB_
	.p2align	8
	.type	_ZN9rocsparseL44csr2gebsr_wavefront_per_row_multipass_kernelILi256ELi32ELi4ELi32E21rocsparse_complex_numIfEEEv20rocsparse_direction_iiiiii21rocsparse_index_base_PKT3_PKiS9_S4_PS5_PiSB_,@function
_ZN9rocsparseL44csr2gebsr_wavefront_per_row_multipass_kernelILi256ELi32ELi4ELi32E21rocsparse_complex_numIfEEEv20rocsparse_direction_iiiiii21rocsparse_index_base_PKT3_PKiS9_S4_PS5_PiSB_: ; @_ZN9rocsparseL44csr2gebsr_wavefront_per_row_multipass_kernelILi256ELi32ELi4ELi32E21rocsparse_complex_numIfEEEv20rocsparse_direction_iiiiii21rocsparse_index_base_PKT3_PKiS9_S4_PS5_PiSB_
; %bb.0:
	s_load_dwordx2 s[14:15], s[0:1], 0x0
	s_load_dwordx4 s[4:7], s[0:1], 0xc
	s_load_dword s33, s[0:1], 0x1c
	s_load_dwordx2 s[8:9], s[0:1], 0x28
	v_lshrrev_b32_e32 v18, 5, v0
	v_and_b32_e32 v2, 31, v0
	v_lshl_or_b32 v8, s2, 3, v18
	s_waitcnt lgkmcnt(0)
	v_mad_u64_u32 v[6:7], s[2:3], v8, s6, v[2:3]
	v_cmp_gt_i32_e32 vcc, s15, v6
	v_cmp_gt_i32_e64 s[2:3], s6, v2
	s_and_b64 s[10:11], s[2:3], vcc
	v_mov_b32_e32 v19, 0
	v_mov_b32_e32 v4, 0
	s_and_saveexec_b64 s[12:13], s[10:11]
	s_cbranch_execz .LBB164_2
; %bb.1:
	v_ashrrev_i32_e32 v7, 31, v6
	v_lshl_add_u64 v[4:5], v[6:7], 2, s[8:9]
	global_load_dword v1, v[4:5], off
	s_waitcnt vmcnt(0)
	v_subrev_u32_e32 v4, s33, v1
.LBB164_2:
	s_or_b64 exec, exec, s[12:13]
	s_and_saveexec_b64 s[12:13], s[10:11]
	s_cbranch_execz .LBB164_4
; %bb.3:
	v_ashrrev_i32_e32 v7, 31, v6
	v_lshl_add_u64 v[6:7], v[6:7], 2, s[8:9]
	global_load_dword v1, v[6:7], off offset:4
	s_waitcnt vmcnt(0)
	v_subrev_u32_e32 v19, s33, v1
.LBB164_4:
	s_or_b64 exec, exec, s[12:13]
	s_load_dword s36, s[0:1], 0x38
	v_cmp_gt_i32_e32 vcc, s4, v8
	v_mov_b32_e32 v6, 0
	s_and_saveexec_b64 s[8:9], vcc
	s_cbranch_execz .LBB164_6
; %bb.5:
	s_load_dwordx2 s[10:11], s[0:1], 0x48
	v_ashrrev_i32_e32 v9, 31, v8
	s_waitcnt lgkmcnt(0)
	v_lshl_add_u64 v[6:7], v[8:9], 2, s[10:11]
	global_load_dword v1, v[6:7], off
	s_waitcnt vmcnt(0)
	v_subrev_u32_e32 v6, s36, v1
.LBB164_6:
	s_or_b64 exec, exec, s[8:9]
	s_cmp_lt_i32 s5, 1
	s_cbranch_scc1 .LBB164_27
; %bb.7:
	s_cmp_eq_u32 s14, 0
	s_cselect_b64 vcc, -1, 0
	s_ashr_i32 s4, s7, 31
	s_load_dwordx2 s[8:9], s[0:1], 0x20
	s_load_dwordx2 s[10:11], s[0:1], 0x50
	s_load_dwordx2 s[24:25], s[0:1], 0x40
	s_load_dwordx2 s[12:13], s[0:1], 0x30
	s_mul_hi_u32 s0, s7, s6
	s_mul_i32 s1, s4, s6
	s_add_i32 s37, s0, s1
	s_cmp_lg_u32 s7, 0
	s_cselect_b64 s[0:1], -1, 0
	s_and_b64 s[16:17], s[2:3], s[0:1]
	s_cmp_gt_u32 s7, 1
	s_cselect_b64 s[0:1], -1, 0
	s_and_b64 s[18:19], s[2:3], s[0:1]
	s_cmp_gt_u32 s7, 2
	s_cselect_b64 s[0:1], -1, 0
	s_and_b64 s[20:21], s[2:3], s[0:1]
	s_lshl_b32 s22, s6, 1
	v_mbcnt_lo_u32_b32 v1, -1, 0
	s_cmp_gt_u32 s7, 3
	v_mbcnt_hi_u32_b32 v1, -1, v1
	s_cselect_b64 s[0:1], -1, 0
	s_abs_i32 s39, s7
	v_lshlrev_b32_e32 v20, 2, v1
	v_cvt_f32_u32_e32 v1, s39
	v_lshlrev_b32_e32 v21, 5, v0
	v_lshlrev_b32_e32 v8, 3, v2
	v_mul_lo_u32 v2, v2, s7
	v_rcp_iflag_f32_e32 v1, v1
	v_mov_b32_e32 v9, 0
	v_ashrrev_i32_e32 v3, 31, v2
	s_waitcnt lgkmcnt(0)
	v_lshl_add_u64 v[10:11], s[24:25], 0, v[8:9]
	v_mul_f32_e32 v0, 0x4f7ffffe, v1
	v_cvt_u32_f32_e32 v0, v0
	v_lshl_add_u64 v[12:13], v[2:3], 3, s[24:25]
	s_and_b64 s[24:25], s[2:3], s[0:1]
	s_sub_i32 s0, 0, s39
	s_mov_b32 s15, 0
	v_mul_lo_u32 v1, s0, v0
	v_mul_hi_u32 v1, v0, v1
	s_mov_b32 s0, s15
	s_mov_b32 s1, s15
	v_add_u32_e32 v22, v0, v1
	s_mov_b32 s2, s15
	s_mov_b32 s3, s15
	v_mov_b64_e32 v[0:1], s[0:1]
	s_mov_b32 s14, s6
	s_mul_i32 s38, s7, s6
	v_or_b32_e32 v8, 0x7c, v20
	s_mov_b32 s23, s15
	s_mul_i32 s26, s6, 3
	s_mov_b32 s27, s15
	s_mov_b64 s[28:29], 0
	v_mov_b64_e32 v[2:3], s[2:3]
	v_mov_b32_e32 v23, 1
	v_mov_b32_e32 v7, 0
	s_branch .LBB164_10
.LBB164_8:                              ;   in Loop: Header=BB164_10 Depth=1
	s_or_b64 exec, exec, s[0:1]
	v_mov_b32_e32 v14, 1
.LBB164_9:                              ;   in Loop: Header=BB164_10 Depth=1
	s_or_b64 exec, exec, s[2:3]
	v_mov_b32_dpp v7, v5 row_shr:1 row_mask:0xf bank_mask:0xf
	v_min_i32_e32 v5, v7, v5
	v_add_u32_e32 v6, v14, v6
	s_waitcnt lgkmcnt(0)
	v_mov_b32_dpp v7, v5 row_shr:2 row_mask:0xf bank_mask:0xf
	v_min_i32_e32 v5, v7, v5
	s_nop 1
	v_mov_b32_dpp v7, v5 row_shr:4 row_mask:0xf bank_mask:0xe
	v_min_i32_e32 v5, v7, v5
	s_nop 1
	;; [unrolled: 3-line block ×3, first 2 shown]
	v_mov_b32_dpp v7, v5 row_bcast:15 row_mask:0xa bank_mask:0xf
	v_min_i32_e32 v5, v7, v5
	ds_bpermute_b32 v7, v8, v5
	s_waitcnt lgkmcnt(0)
	v_cmp_le_i32_e64 s[0:1], s5, v7
	s_or_b64 s[28:29], s[0:1], s[28:29]
	s_andn2_b64 exec, exec, s[28:29]
	s_cbranch_execz .LBB164_27
.LBB164_10:                             ; =>This Loop Header: Depth=1
                                        ;     Child Loop BB164_13 Depth 2
	v_cmp_lt_i32_e64 s[0:1], v4, v19
	v_mov_b32_e32 v5, s5
	v_mov_b32_e32 v25, v19
	ds_write_b8 v18, v9 offset:8192
	ds_write_b128 v21, v[0:3]
	ds_write_b128 v21, v[0:3] offset:16
	s_waitcnt lgkmcnt(0)
	s_and_saveexec_b64 s[30:31], s[0:1]
	s_cbranch_execz .LBB164_18
; %bb.11:                               ;   in Loop: Header=BB164_10 Depth=1
	v_ashrrev_i32_e32 v5, 31, v4
	v_mul_lo_u32 v24, v7, s7
	v_lshl_add_u64 v[14:15], v[4:5], 2, s[12:13]
	v_lshl_add_u64 v[16:17], v[4:5], 3, s[8:9]
	s_mov_b64 s[34:35], 0
	v_mov_b32_e32 v5, s5
	v_mov_b32_e32 v25, v19
	s_branch .LBB164_13
.LBB164_12:                             ;   in Loop: Header=BB164_13 Depth=2
	s_or_b64 exec, exec, s[2:3]
	v_add_u32_e32 v4, 1, v4
	v_cmp_ge_i32_e64 s[2:3], v4, v19
	s_xor_b64 s[0:1], s[0:1], -1
	s_or_b64 s[0:1], s[0:1], s[2:3]
	s_and_b64 s[0:1], exec, s[0:1]
	v_lshl_add_u64 v[14:15], v[14:15], 0, 4
	s_or_b64 s[34:35], s[0:1], s[34:35]
	v_lshl_add_u64 v[16:17], v[16:17], 0, 8
	s_andn2_b64 exec, exec, s[34:35]
	s_cbranch_execz .LBB164_17
.LBB164_13:                             ;   Parent Loop BB164_10 Depth=1
                                        ; =>  This Inner Loop Header: Depth=2
	global_load_dword v26, v[14:15], off
	s_waitcnt vmcnt(0)
	v_subrev_u32_e32 v26, s33, v26
	v_sub_u32_e32 v28, 0, v26
	v_max_i32_e32 v28, v26, v28
	v_mul_hi_u32 v29, v28, v22
	v_mul_lo_u32 v30, v29, s39
	v_sub_u32_e32 v28, v28, v30
	v_add_u32_e32 v31, 1, v29
	v_cmp_le_u32_e64 s[0:1], s39, v28
	v_subrev_u32_e32 v30, s39, v28
	v_ashrrev_i32_e32 v27, 31, v26
	v_cndmask_b32_e64 v29, v29, v31, s[0:1]
	v_cndmask_b32_e64 v28, v28, v30, s[0:1]
	v_add_u32_e32 v30, 1, v29
	v_cmp_le_u32_e64 s[0:1], s39, v28
	v_xor_b32_e32 v27, s4, v27
	s_nop 0
	v_cndmask_b32_e64 v28, v29, v30, s[0:1]
	v_xor_b32_e32 v28, v28, v27
	v_sub_u32_e32 v28, v28, v27
	v_cmp_eq_u32_e64 s[0:1], v28, v7
	v_cmp_ne_u32_e64 s[2:3], v28, v7
	v_mov_b32_e32 v27, v25
	s_and_saveexec_b64 s[40:41], s[2:3]
	s_xor_b64 s[2:3], exec, s[40:41]
; %bb.14:                               ;   in Loop: Header=BB164_13 Depth=2
	v_min_i32_e32 v5, v28, v5
                                        ; implicit-def: $vgpr26
                                        ; implicit-def: $vgpr27
; %bb.15:                               ;   in Loop: Header=BB164_13 Depth=2
	s_or_saveexec_b64 s[2:3], s[2:3]
	v_mov_b32_e32 v25, v4
	s_xor_b64 exec, exec, s[2:3]
	s_cbranch_execz .LBB164_12
; %bb.16:                               ;   in Loop: Header=BB164_13 Depth=2
	global_load_dwordx2 v[28:29], v[16:17], off
	v_sub_u32_e32 v25, v26, v24
	v_lshl_add_u32 v25, v25, 3, v21
	ds_write_b8 v18, v23 offset:8192
	s_waitcnt vmcnt(0)
	ds_write_b64 v25, v[28:29]
	v_mov_b32_e32 v25, v27
	s_branch .LBB164_12
.LBB164_17:                             ;   in Loop: Header=BB164_10 Depth=1
	s_or_b64 exec, exec, s[34:35]
.LBB164_18:                             ;   in Loop: Header=BB164_10 Depth=1
	s_or_b64 exec, exec, s[30:31]
	s_waitcnt lgkmcnt(0)
	ds_read_u8 v14, v18 offset:8192
	ds_bpermute_b32 v4, v20, v25
	s_waitcnt lgkmcnt(1)
	v_and_b32_e32 v14, 1, v14
	v_cmp_eq_u32_e64 s[0:1], 1, v14
	v_mov_b32_e32 v14, 0
	s_and_saveexec_b64 s[2:3], s[0:1]
	s_cbranch_execz .LBB164_9
; %bb.19:                               ;   in Loop: Header=BB164_10 Depth=1
	v_add_u32_e32 v16, s36, v7
	v_ashrrev_i32_e32 v7, 31, v6
	v_lshl_add_u64 v[14:15], v[6:7], 2, s[10:11]
	global_store_dword v[14:15], v16, off
	v_mul_lo_u32 v16, s37, v6
	v_mul_lo_u32 v7, s38, v7
	v_mad_u64_u32 v[14:15], s[0:1], s38, v6, 0
	v_add3_u32 v15, v15, v7, v16
	v_lshlrev_b64 v[16:17], 3, v[14:15]
	v_lshl_add_u64 v[14:15], v[10:11], 0, v[16:17]
	v_lshl_add_u64 v[16:17], v[12:13], 0, v[16:17]
	s_and_saveexec_b64 s[0:1], s[16:17]
	s_cbranch_execnz .LBB164_23
; %bb.20:                               ;   in Loop: Header=BB164_10 Depth=1
	s_or_b64 exec, exec, s[0:1]
	s_and_saveexec_b64 s[0:1], s[18:19]
	s_cbranch_execnz .LBB164_24
.LBB164_21:                             ;   in Loop: Header=BB164_10 Depth=1
	s_or_b64 exec, exec, s[0:1]
	s_and_saveexec_b64 s[0:1], s[20:21]
	s_cbranch_execnz .LBB164_25
.LBB164_22:                             ;   in Loop: Header=BB164_10 Depth=1
	s_or_b64 exec, exec, s[0:1]
	s_and_saveexec_b64 s[0:1], s[24:25]
	s_cbranch_execz .LBB164_8
	s_branch .LBB164_26
.LBB164_23:                             ;   in Loop: Header=BB164_10 Depth=1
	ds_read_b64 v[24:25], v21
	v_cndmask_b32_e32 v27, v15, v17, vcc
	v_cndmask_b32_e32 v26, v14, v16, vcc
	s_waitcnt lgkmcnt(0)
	global_store_dwordx2 v[26:27], v[24:25], off
	s_or_b64 exec, exec, s[0:1]
	s_and_saveexec_b64 s[0:1], s[18:19]
	s_cbranch_execz .LBB164_21
.LBB164_24:                             ;   in Loop: Header=BB164_10 Depth=1
	ds_read_b64 v[24:25], v21 offset:8
	v_lshl_add_u64 v[26:27], v[16:17], 0, 8
	v_lshl_add_u64 v[28:29], s[14:15], 3, v[14:15]
	v_cndmask_b32_e32 v27, v29, v27, vcc
	v_cndmask_b32_e32 v26, v28, v26, vcc
	s_waitcnt lgkmcnt(0)
	global_store_dwordx2 v[26:27], v[24:25], off
	s_or_b64 exec, exec, s[0:1]
	s_and_saveexec_b64 s[0:1], s[20:21]
	s_cbranch_execz .LBB164_22
.LBB164_25:                             ;   in Loop: Header=BB164_10 Depth=1
	ds_read_b64 v[24:25], v21 offset:16
	v_lshl_add_u64 v[26:27], v[16:17], 0, 16
	v_lshl_add_u64 v[28:29], s[22:23], 3, v[14:15]
	v_cndmask_b32_e32 v27, v29, v27, vcc
	v_cndmask_b32_e32 v26, v28, v26, vcc
	s_waitcnt lgkmcnt(0)
	global_store_dwordx2 v[26:27], v[24:25], off
	s_or_b64 exec, exec, s[0:1]
	s_and_saveexec_b64 s[0:1], s[24:25]
	s_cbranch_execz .LBB164_8
.LBB164_26:                             ;   in Loop: Header=BB164_10 Depth=1
	ds_read_b64 v[24:25], v21 offset:24
	v_lshl_add_u64 v[16:17], v[16:17], 0, 24
	v_lshl_add_u64 v[14:15], s[26:27], 3, v[14:15]
	v_cndmask_b32_e32 v15, v15, v17, vcc
	v_cndmask_b32_e32 v14, v14, v16, vcc
	s_waitcnt lgkmcnt(0)
	global_store_dwordx2 v[14:15], v[24:25], off
	s_branch .LBB164_8
.LBB164_27:
	s_endpgm
	.section	.rodata,"a",@progbits
	.p2align	6, 0x0
	.amdhsa_kernel _ZN9rocsparseL44csr2gebsr_wavefront_per_row_multipass_kernelILi256ELi32ELi4ELi32E21rocsparse_complex_numIfEEEv20rocsparse_direction_iiiiii21rocsparse_index_base_PKT3_PKiS9_S4_PS5_PiSB_
		.amdhsa_group_segment_fixed_size 8200
		.amdhsa_private_segment_fixed_size 0
		.amdhsa_kernarg_size 88
		.amdhsa_user_sgpr_count 2
		.amdhsa_user_sgpr_dispatch_ptr 0
		.amdhsa_user_sgpr_queue_ptr 0
		.amdhsa_user_sgpr_kernarg_segment_ptr 1
		.amdhsa_user_sgpr_dispatch_id 0
		.amdhsa_user_sgpr_kernarg_preload_length 0
		.amdhsa_user_sgpr_kernarg_preload_offset 0
		.amdhsa_user_sgpr_private_segment_size 0
		.amdhsa_uses_dynamic_stack 0
		.amdhsa_enable_private_segment 0
		.amdhsa_system_sgpr_workgroup_id_x 1
		.amdhsa_system_sgpr_workgroup_id_y 0
		.amdhsa_system_sgpr_workgroup_id_z 0
		.amdhsa_system_sgpr_workgroup_info 0
		.amdhsa_system_vgpr_workitem_id 0
		.amdhsa_next_free_vgpr 32
		.amdhsa_next_free_sgpr 42
		.amdhsa_accum_offset 32
		.amdhsa_reserve_vcc 1
		.amdhsa_float_round_mode_32 0
		.amdhsa_float_round_mode_16_64 0
		.amdhsa_float_denorm_mode_32 3
		.amdhsa_float_denorm_mode_16_64 3
		.amdhsa_dx10_clamp 1
		.amdhsa_ieee_mode 1
		.amdhsa_fp16_overflow 0
		.amdhsa_tg_split 0
		.amdhsa_exception_fp_ieee_invalid_op 0
		.amdhsa_exception_fp_denorm_src 0
		.amdhsa_exception_fp_ieee_div_zero 0
		.amdhsa_exception_fp_ieee_overflow 0
		.amdhsa_exception_fp_ieee_underflow 0
		.amdhsa_exception_fp_ieee_inexact 0
		.amdhsa_exception_int_div_zero 0
	.end_amdhsa_kernel
	.section	.text._ZN9rocsparseL44csr2gebsr_wavefront_per_row_multipass_kernelILi256ELi32ELi4ELi32E21rocsparse_complex_numIfEEEv20rocsparse_direction_iiiiii21rocsparse_index_base_PKT3_PKiS9_S4_PS5_PiSB_,"axG",@progbits,_ZN9rocsparseL44csr2gebsr_wavefront_per_row_multipass_kernelILi256ELi32ELi4ELi32E21rocsparse_complex_numIfEEEv20rocsparse_direction_iiiiii21rocsparse_index_base_PKT3_PKiS9_S4_PS5_PiSB_,comdat
.Lfunc_end164:
	.size	_ZN9rocsparseL44csr2gebsr_wavefront_per_row_multipass_kernelILi256ELi32ELi4ELi32E21rocsparse_complex_numIfEEEv20rocsparse_direction_iiiiii21rocsparse_index_base_PKT3_PKiS9_S4_PS5_PiSB_, .Lfunc_end164-_ZN9rocsparseL44csr2gebsr_wavefront_per_row_multipass_kernelILi256ELi32ELi4ELi32E21rocsparse_complex_numIfEEEv20rocsparse_direction_iiiiii21rocsparse_index_base_PKT3_PKiS9_S4_PS5_PiSB_
                                        ; -- End function
	.section	.AMDGPU.csdata,"",@progbits
; Kernel info:
; codeLenInByte = 1408
; NumSgprs: 48
; NumVgprs: 32
; NumAgprs: 0
; TotalNumVgprs: 32
; ScratchSize: 0
; MemoryBound: 0
; FloatMode: 240
; IeeeMode: 1
; LDSByteSize: 8200 bytes/workgroup (compile time only)
; SGPRBlocks: 5
; VGPRBlocks: 3
; NumSGPRsForWavesPerEU: 48
; NumVGPRsForWavesPerEU: 32
; AccumOffset: 32
; Occupancy: 7
; WaveLimiterHint : 0
; COMPUTE_PGM_RSRC2:SCRATCH_EN: 0
; COMPUTE_PGM_RSRC2:USER_SGPR: 2
; COMPUTE_PGM_RSRC2:TRAP_HANDLER: 0
; COMPUTE_PGM_RSRC2:TGID_X_EN: 1
; COMPUTE_PGM_RSRC2:TGID_Y_EN: 0
; COMPUTE_PGM_RSRC2:TGID_Z_EN: 0
; COMPUTE_PGM_RSRC2:TIDIG_COMP_CNT: 0
; COMPUTE_PGM_RSRC3_GFX90A:ACCUM_OFFSET: 7
; COMPUTE_PGM_RSRC3_GFX90A:TG_SPLIT: 0
	.section	.text._ZN9rocsparseL44csr2gebsr_wavefront_per_row_multipass_kernelILi256ELi32ELi8ELi64E21rocsparse_complex_numIfEEEv20rocsparse_direction_iiiiii21rocsparse_index_base_PKT3_PKiS9_S4_PS5_PiSB_,"axG",@progbits,_ZN9rocsparseL44csr2gebsr_wavefront_per_row_multipass_kernelILi256ELi32ELi8ELi64E21rocsparse_complex_numIfEEEv20rocsparse_direction_iiiiii21rocsparse_index_base_PKT3_PKiS9_S4_PS5_PiSB_,comdat
	.globl	_ZN9rocsparseL44csr2gebsr_wavefront_per_row_multipass_kernelILi256ELi32ELi8ELi64E21rocsparse_complex_numIfEEEv20rocsparse_direction_iiiiii21rocsparse_index_base_PKT3_PKiS9_S4_PS5_PiSB_ ; -- Begin function _ZN9rocsparseL44csr2gebsr_wavefront_per_row_multipass_kernelILi256ELi32ELi8ELi64E21rocsparse_complex_numIfEEEv20rocsparse_direction_iiiiii21rocsparse_index_base_PKT3_PKiS9_S4_PS5_PiSB_
	.p2align	8
	.type	_ZN9rocsparseL44csr2gebsr_wavefront_per_row_multipass_kernelILi256ELi32ELi8ELi64E21rocsparse_complex_numIfEEEv20rocsparse_direction_iiiiii21rocsparse_index_base_PKT3_PKiS9_S4_PS5_PiSB_,@function
_ZN9rocsparseL44csr2gebsr_wavefront_per_row_multipass_kernelILi256ELi32ELi8ELi64E21rocsparse_complex_numIfEEEv20rocsparse_direction_iiiiii21rocsparse_index_base_PKT3_PKiS9_S4_PS5_PiSB_: ; @_ZN9rocsparseL44csr2gebsr_wavefront_per_row_multipass_kernelILi256ELi32ELi8ELi64E21rocsparse_complex_numIfEEEv20rocsparse_direction_iiiiii21rocsparse_index_base_PKT3_PKiS9_S4_PS5_PiSB_
; %bb.0:
	s_load_dwordx2 s[4:5], s[0:1], 0x0
	s_load_dwordx4 s[12:15], s[0:1], 0xc
	s_load_dword s28, s[0:1], 0x1c
	s_load_dwordx2 s[6:7], s[0:1], 0x28
	v_lshrrev_b32_e32 v22, 6, v0
	v_bfe_u32 v6, v0, 1, 5
	v_lshl_or_b32 v4, s2, 2, v22
	s_waitcnt lgkmcnt(0)
	v_mad_u64_u32 v[2:3], s[2:3], v4, s14, v[6:7]
	v_cmp_gt_i32_e32 vcc, s5, v2
	v_cmp_gt_i32_e64 s[2:3], s14, v6
	s_and_b64 s[8:9], s[2:3], vcc
	v_mov_b32_e32 v23, 0
	v_mov_b32_e32 v20, 0
	s_and_saveexec_b64 s[10:11], s[8:9]
	s_cbranch_execz .LBB165_2
; %bb.1:
	v_ashrrev_i32_e32 v3, 31, v2
	v_lshl_add_u64 v[8:9], v[2:3], 2, s[6:7]
	global_load_dword v1, v[8:9], off
	s_waitcnt vmcnt(0)
	v_subrev_u32_e32 v20, s28, v1
.LBB165_2:
	s_or_b64 exec, exec, s[10:11]
	s_and_saveexec_b64 s[10:11], s[8:9]
	s_cbranch_execz .LBB165_4
; %bb.3:
	v_ashrrev_i32_e32 v3, 31, v2
	v_lshl_add_u64 v[2:3], v[2:3], 2, s[6:7]
	global_load_dword v1, v[2:3], off offset:4
	s_waitcnt vmcnt(0)
	v_subrev_u32_e32 v23, s28, v1
.LBB165_4:
	s_or_b64 exec, exec, s[10:11]
	s_load_dword s29, s[0:1], 0x38
	v_cmp_gt_i32_e32 vcc, s12, v4
	v_mov_b32_e32 v2, 0
	s_and_saveexec_b64 s[6:7], vcc
	s_cbranch_execz .LBB165_6
; %bb.5:
	s_load_dwordx2 s[8:9], s[0:1], 0x48
	v_ashrrev_i32_e32 v5, 31, v4
	s_waitcnt lgkmcnt(0)
	v_lshl_add_u64 v[2:3], v[4:5], 2, s[8:9]
	global_load_dword v1, v[2:3], off
	s_waitcnt vmcnt(0)
	v_subrev_u32_e32 v2, s29, v1
.LBB165_6:
	s_or_b64 exec, exec, s[6:7]
	s_cmp_lt_i32 s13, 1
	s_cbranch_scc1 .LBB165_29
; %bb.7:
	s_load_dwordx2 s[10:11], s[0:1], 0x20
	s_load_dwordx2 s[16:17], s[0:1], 0x50
	;; [unrolled: 1-line block ×4, first 2 shown]
	v_mbcnt_lo_u32_b32 v3, -1, 0
	v_and_b32_e32 v24, 1, v0
	v_lshlrev_b32_e32 v0, 3, v6
	v_mbcnt_hi_u32_b32 v3, -1, v3
	v_mul_lo_u32 v6, v6, s15
	v_mov_b32_e32 v1, 0
	v_lshlrev_b32_e32 v3, 2, v3
	s_cmp_eq_u32 s4, 0
	v_ashrrev_i32_e32 v7, 31, v6
	v_lshl_or_b32 v25, v22, 8, v0
	v_or_b32_e32 v26, 4, v3
	s_cselect_b64 vcc, -1, 0
	s_ashr_i32 s12, s15, 31
	s_waitcnt lgkmcnt(0)
	v_lshl_add_u64 v[4:5], s[6:7], 0, v[0:1]
	v_lshl_add_u64 v[6:7], v[6:7], 3, s[6:7]
	v_lshlrev_b32_e32 v0, 3, v24
	v_or_b32_e32 v27, 0xfc, v3
	v_or_b32_e32 v3, 2, v24
	s_mul_hi_u32 s0, s15, s14
	s_mul_i32 s1, s12, s14
	s_mul_i32 s31, s15, s14
	v_lshl_add_u64 v[6:7], v[6:7], 0, v[0:1]
	v_mul_lo_u32 v0, v24, s14
	v_cmp_gt_u32_e64 s[4:5], s15, v3
	s_lshl_b32 s20, s14, 1
	v_or_b32_e32 v3, 4, v24
	s_abs_i32 s14, s15
	v_cmp_gt_u32_e64 s[6:7], s15, v3
	v_cvt_f32_u32_e32 v3, s14
	v_or_b32_e32 v8, v25, v24
	v_lshlrev_b32_e32 v28, 3, v8
	v_add_u32_e32 v8, s20, v0
	v_rcp_iflag_f32_e32 v3, v3
	s_add_i32 s30, s0, s1
	v_cmp_gt_u32_e64 s[0:1], s15, v24
	v_add_u32_e32 v10, s20, v8
	v_mul_f32_e32 v3, 0x4f7ffffe, v3
	v_cvt_u32_f32_e32 v3, v3
	v_or_b32_e32 v12, 6, v24
	v_cmp_gt_u32_e64 s[8:9], s15, v12
	v_add_u32_e32 v12, s20, v10
	s_and_b64 s[20:21], s[0:1], s[2:3]
	s_sub_i32 s0, 0, s14
	v_mul_lo_u32 v14, s0, v3
	v_mul_hi_u32 v14, v3, v14
	v_mov_b32_e32 v9, v1
	v_mov_b32_e32 v11, v1
	;; [unrolled: 1-line block ×3, first 2 shown]
	s_and_b64 s[4:5], s[2:3], s[4:5]
	s_and_b64 s[6:7], s[2:3], s[6:7]
	s_and_b64 s[8:9], s[2:3], s[8:9]
	v_add_u32_e32 v29, v3, v14
	v_or_b32_e32 v30, -2, v24
	s_mov_b64 s[22:23], 0
	v_mov_b32_e32 v14, v1
	v_mov_b32_e32 v15, v1
	;; [unrolled: 1-line block ×4, first 2 shown]
	s_branch .LBB165_10
.LBB165_8:                              ;   in Loop: Header=BB165_10 Depth=1
	s_or_b64 exec, exec, s[0:1]
	v_mov_b32_e32 v16, 1
.LBB165_9:                              ;   in Loop: Header=BB165_10 Depth=1
	s_or_b64 exec, exec, s[2:3]
	v_mov_b32_dpp v3, v32 row_shr:1 row_mask:0xf bank_mask:0xf
	v_min_i32_e32 v3, v3, v32
	v_add_u32_e32 v2, v16, v2
	s_waitcnt lgkmcnt(0)
	v_mov_b32_dpp v17, v3 row_shr:2 row_mask:0xf bank_mask:0xf
	v_min_i32_e32 v3, v17, v3
	s_nop 1
	v_mov_b32_dpp v17, v3 row_shr:4 row_mask:0xf bank_mask:0xe
	v_min_i32_e32 v3, v17, v3
	s_nop 1
	v_mov_b32_dpp v17, v3 row_shr:8 row_mask:0xf bank_mask:0xc
	v_min_i32_e32 v3, v17, v3
	s_nop 1
	v_mov_b32_dpp v17, v3 row_bcast:15 row_mask:0xa bank_mask:0xf
	v_min_i32_e32 v3, v17, v3
	s_nop 1
	v_mov_b32_dpp v17, v3 row_bcast:31 row_mask:0xc bank_mask:0xf
	v_min_i32_e32 v3, v17, v3
	ds_bpermute_b32 v3, v27, v3
	s_waitcnt lgkmcnt(0)
	v_cmp_le_i32_e64 s[0:1], s13, v3
	s_or_b64 s[22:23], s[0:1], s[22:23]
	s_andn2_b64 exec, exec, s[22:23]
	s_cbranch_execz .LBB165_29
.LBB165_10:                             ; =>This Loop Header: Depth=1
                                        ;     Child Loop BB165_11 Depth 2
                                        ;     Child Loop BB165_15 Depth 2
	s_mov_b64 s[2:3], 0
	v_mov_b32_e32 v16, v28
	v_mov_b32_e32 v17, v30
	ds_write_b8 v22, v1 offset:8192
.LBB165_11:                             ;   Parent Loop BB165_10 Depth=1
                                        ; =>  This Inner Loop Header: Depth=2
	v_add_u32_e32 v17, 2, v17
	v_cmp_lt_u32_e64 s[0:1], 5, v17
	ds_write_b64 v16, v[14:15]
	s_or_b64 s[2:3], s[0:1], s[2:3]
	v_add_u32_e32 v16, 16, v16
	s_andn2_b64 exec, exec, s[2:3]
	s_cbranch_execnz .LBB165_11
; %bb.12:                               ;   in Loop: Header=BB165_10 Depth=1
	s_or_b64 exec, exec, s[2:3]
	v_add_u32_e32 v16, v20, v24
	v_cmp_lt_i32_e64 s[0:1], v16, v23
	v_mov_b32_e32 v32, s13
	v_mov_b32_e32 v17, v23
	s_waitcnt lgkmcnt(0)
	s_and_saveexec_b64 s[24:25], s[0:1]
	s_cbranch_execz .LBB165_20
; %bb.13:                               ;   in Loop: Header=BB165_10 Depth=1
	v_ashrrev_i32_e32 v17, 31, v16
	v_mul_lo_u32 v33, v3, s15
	v_lshl_add_u64 v[18:19], v[16:17], 2, s[18:19]
	v_lshl_add_u64 v[20:21], v[16:17], 3, s[10:11]
	s_mov_b64 s[26:27], 0
	v_mov_b32_e32 v32, s13
	v_mov_b32_e32 v17, v23
	s_branch .LBB165_15
.LBB165_14:                             ;   in Loop: Header=BB165_15 Depth=2
	s_or_b64 exec, exec, s[2:3]
	v_add_u32_e32 v16, 2, v16
	v_cmp_ge_i32_e64 s[2:3], v16, v23
	s_xor_b64 s[0:1], s[0:1], -1
	s_or_b64 s[0:1], s[0:1], s[2:3]
	s_and_b64 s[0:1], exec, s[0:1]
	v_lshl_add_u64 v[18:19], v[18:19], 0, 8
	s_or_b64 s[26:27], s[0:1], s[26:27]
	v_lshl_add_u64 v[20:21], v[20:21], 0, 16
	s_andn2_b64 exec, exec, s[26:27]
	s_cbranch_execz .LBB165_19
.LBB165_15:                             ;   Parent Loop BB165_10 Depth=1
                                        ; =>  This Inner Loop Header: Depth=2
	global_load_dword v34, v[18:19], off
	s_waitcnt vmcnt(0)
	v_subrev_u32_e32 v34, s28, v34
	v_sub_u32_e32 v36, 0, v34
	v_max_i32_e32 v36, v34, v36
	v_mul_hi_u32 v37, v36, v29
	v_mul_lo_u32 v38, v37, s14
	v_sub_u32_e32 v36, v36, v38
	v_add_u32_e32 v39, 1, v37
	v_cmp_le_u32_e64 s[0:1], s14, v36
	v_subrev_u32_e32 v38, s14, v36
	v_ashrrev_i32_e32 v35, 31, v34
	v_cndmask_b32_e64 v37, v37, v39, s[0:1]
	v_cndmask_b32_e64 v36, v36, v38, s[0:1]
	v_add_u32_e32 v38, 1, v37
	v_cmp_le_u32_e64 s[0:1], s14, v36
	v_xor_b32_e32 v35, s12, v35
	s_nop 0
	v_cndmask_b32_e64 v36, v37, v38, s[0:1]
	v_xor_b32_e32 v36, v36, v35
	v_sub_u32_e32 v36, v36, v35
	v_cmp_eq_u32_e64 s[0:1], v36, v3
	v_cmp_ne_u32_e64 s[2:3], v36, v3
	v_mov_b32_e32 v35, v17
	s_and_saveexec_b64 s[34:35], s[2:3]
	s_xor_b64 s[2:3], exec, s[34:35]
; %bb.16:                               ;   in Loop: Header=BB165_15 Depth=2
	v_min_i32_e32 v32, v36, v32
                                        ; implicit-def: $vgpr34
                                        ; implicit-def: $vgpr35
; %bb.17:                               ;   in Loop: Header=BB165_15 Depth=2
	s_or_saveexec_b64 s[2:3], s[2:3]
	v_mov_b32_e32 v17, v16
	s_xor_b64 exec, exec, s[2:3]
	s_cbranch_execz .LBB165_14
; %bb.18:                               ;   in Loop: Header=BB165_15 Depth=2
	global_load_dwordx2 v[36:37], v[20:21], off
	v_sub_u32_e32 v17, v34, v33
	v_add_lshl_u32 v17, v25, v17, 3
	ds_write_b8 v22, v31 offset:8192
	s_waitcnt vmcnt(0)
	ds_write_b64 v17, v[36:37]
	v_mov_b32_e32 v17, v35
	s_branch .LBB165_14
.LBB165_19:                             ;   in Loop: Header=BB165_10 Depth=1
	s_or_b64 exec, exec, s[26:27]
.LBB165_20:                             ;   in Loop: Header=BB165_10 Depth=1
	s_or_b64 exec, exec, s[24:25]
	s_waitcnt lgkmcnt(0)
	ds_read_u8 v16, v22 offset:8192
	v_mov_b32_dpp v18, v17 row_shr:1 row_mask:0xf bank_mask:0xf
	v_min_i32_e32 v17, v18, v17
	ds_bpermute_b32 v20, v26, v17
	s_waitcnt lgkmcnt(1)
	v_and_b32_e32 v16, 1, v16
	v_cmp_eq_u32_e64 s[0:1], 1, v16
	v_mov_b32_e32 v16, 0
	s_and_saveexec_b64 s[2:3], s[0:1]
	s_cbranch_execz .LBB165_9
; %bb.21:                               ;   in Loop: Header=BB165_10 Depth=1
	v_add_u32_e32 v18, s29, v3
	v_ashrrev_i32_e32 v3, 31, v2
	v_lshl_add_u64 v[16:17], v[2:3], 2, s[16:17]
	global_store_dword v[16:17], v18, off
	v_mul_lo_u32 v18, s30, v2
	v_mul_lo_u32 v3, s31, v3
	v_mad_u64_u32 v[16:17], s[0:1], s31, v2, 0
	v_add3_u32 v17, v17, v3, v18
	v_lshlrev_b64 v[18:19], 3, v[16:17]
	v_lshl_add_u64 v[16:17], v[4:5], 0, v[18:19]
	v_lshl_add_u64 v[18:19], v[6:7], 0, v[18:19]
	s_and_saveexec_b64 s[0:1], s[20:21]
	s_cbranch_execnz .LBB165_25
; %bb.22:                               ;   in Loop: Header=BB165_10 Depth=1
	s_or_b64 exec, exec, s[0:1]
	s_and_saveexec_b64 s[0:1], s[4:5]
	s_cbranch_execnz .LBB165_26
.LBB165_23:                             ;   in Loop: Header=BB165_10 Depth=1
	s_or_b64 exec, exec, s[0:1]
	s_and_saveexec_b64 s[0:1], s[6:7]
	s_cbranch_execnz .LBB165_27
.LBB165_24:                             ;   in Loop: Header=BB165_10 Depth=1
	s_or_b64 exec, exec, s[0:1]
	s_and_saveexec_b64 s[0:1], s[8:9]
	s_cbranch_execz .LBB165_8
	s_branch .LBB165_28
.LBB165_25:                             ;   in Loop: Header=BB165_10 Depth=1
	ds_read_b64 v[34:35], v28
	v_lshl_add_u64 v[36:37], v[0:1], 3, v[16:17]
	v_cndmask_b32_e32 v37, v37, v19, vcc
	v_cndmask_b32_e32 v36, v36, v18, vcc
	s_waitcnt lgkmcnt(0)
	global_store_dwordx2 v[36:37], v[34:35], off
	s_or_b64 exec, exec, s[0:1]
	s_and_saveexec_b64 s[0:1], s[4:5]
	s_cbranch_execz .LBB165_23
.LBB165_26:                             ;   in Loop: Header=BB165_10 Depth=1
	ds_read_b64 v[34:35], v28 offset:16
	v_lshl_add_u64 v[36:37], v[18:19], 0, 16
	v_lshl_add_u64 v[38:39], v[8:9], 3, v[16:17]
	v_cndmask_b32_e32 v37, v39, v37, vcc
	v_cndmask_b32_e32 v36, v38, v36, vcc
	s_waitcnt lgkmcnt(0)
	global_store_dwordx2 v[36:37], v[34:35], off
	s_or_b64 exec, exec, s[0:1]
	s_and_saveexec_b64 s[0:1], s[6:7]
	s_cbranch_execz .LBB165_24
.LBB165_27:                             ;   in Loop: Header=BB165_10 Depth=1
	ds_read_b64 v[34:35], v28 offset:32
	v_lshl_add_u64 v[36:37], v[18:19], 0, 32
	v_lshl_add_u64 v[38:39], v[10:11], 3, v[16:17]
	v_cndmask_b32_e32 v37, v39, v37, vcc
	v_cndmask_b32_e32 v36, v38, v36, vcc
	s_waitcnt lgkmcnt(0)
	global_store_dwordx2 v[36:37], v[34:35], off
	s_or_b64 exec, exec, s[0:1]
	s_and_saveexec_b64 s[0:1], s[8:9]
	s_cbranch_execz .LBB165_8
.LBB165_28:                             ;   in Loop: Header=BB165_10 Depth=1
	ds_read_b64 v[34:35], v28 offset:48
	v_lshl_add_u64 v[18:19], v[18:19], 0, 48
	v_lshl_add_u64 v[16:17], v[12:13], 3, v[16:17]
	v_cndmask_b32_e32 v17, v17, v19, vcc
	v_cndmask_b32_e32 v16, v16, v18, vcc
	s_waitcnt lgkmcnt(0)
	global_store_dwordx2 v[16:17], v[34:35], off
	s_branch .LBB165_8
.LBB165_29:
	s_endpgm
	.section	.rodata,"a",@progbits
	.p2align	6, 0x0
	.amdhsa_kernel _ZN9rocsparseL44csr2gebsr_wavefront_per_row_multipass_kernelILi256ELi32ELi8ELi64E21rocsparse_complex_numIfEEEv20rocsparse_direction_iiiiii21rocsparse_index_base_PKT3_PKiS9_S4_PS5_PiSB_
		.amdhsa_group_segment_fixed_size 8196
		.amdhsa_private_segment_fixed_size 0
		.amdhsa_kernarg_size 88
		.amdhsa_user_sgpr_count 2
		.amdhsa_user_sgpr_dispatch_ptr 0
		.amdhsa_user_sgpr_queue_ptr 0
		.amdhsa_user_sgpr_kernarg_segment_ptr 1
		.amdhsa_user_sgpr_dispatch_id 0
		.amdhsa_user_sgpr_kernarg_preload_length 0
		.amdhsa_user_sgpr_kernarg_preload_offset 0
		.amdhsa_user_sgpr_private_segment_size 0
		.amdhsa_uses_dynamic_stack 0
		.amdhsa_enable_private_segment 0
		.amdhsa_system_sgpr_workgroup_id_x 1
		.amdhsa_system_sgpr_workgroup_id_y 0
		.amdhsa_system_sgpr_workgroup_id_z 0
		.amdhsa_system_sgpr_workgroup_info 0
		.amdhsa_system_vgpr_workitem_id 0
		.amdhsa_next_free_vgpr 40
		.amdhsa_next_free_sgpr 36
		.amdhsa_accum_offset 40
		.amdhsa_reserve_vcc 1
		.amdhsa_float_round_mode_32 0
		.amdhsa_float_round_mode_16_64 0
		.amdhsa_float_denorm_mode_32 3
		.amdhsa_float_denorm_mode_16_64 3
		.amdhsa_dx10_clamp 1
		.amdhsa_ieee_mode 1
		.amdhsa_fp16_overflow 0
		.amdhsa_tg_split 0
		.amdhsa_exception_fp_ieee_invalid_op 0
		.amdhsa_exception_fp_denorm_src 0
		.amdhsa_exception_fp_ieee_div_zero 0
		.amdhsa_exception_fp_ieee_overflow 0
		.amdhsa_exception_fp_ieee_underflow 0
		.amdhsa_exception_fp_ieee_inexact 0
		.amdhsa_exception_int_div_zero 0
	.end_amdhsa_kernel
	.section	.text._ZN9rocsparseL44csr2gebsr_wavefront_per_row_multipass_kernelILi256ELi32ELi8ELi64E21rocsparse_complex_numIfEEEv20rocsparse_direction_iiiiii21rocsparse_index_base_PKT3_PKiS9_S4_PS5_PiSB_,"axG",@progbits,_ZN9rocsparseL44csr2gebsr_wavefront_per_row_multipass_kernelILi256ELi32ELi8ELi64E21rocsparse_complex_numIfEEEv20rocsparse_direction_iiiiii21rocsparse_index_base_PKT3_PKiS9_S4_PS5_PiSB_,comdat
.Lfunc_end165:
	.size	_ZN9rocsparseL44csr2gebsr_wavefront_per_row_multipass_kernelILi256ELi32ELi8ELi64E21rocsparse_complex_numIfEEEv20rocsparse_direction_iiiiii21rocsparse_index_base_PKT3_PKiS9_S4_PS5_PiSB_, .Lfunc_end165-_ZN9rocsparseL44csr2gebsr_wavefront_per_row_multipass_kernelILi256ELi32ELi8ELi64E21rocsparse_complex_numIfEEEv20rocsparse_direction_iiiiii21rocsparse_index_base_PKT3_PKiS9_S4_PS5_PiSB_
                                        ; -- End function
	.section	.AMDGPU.csdata,"",@progbits
; Kernel info:
; codeLenInByte = 1532
; NumSgprs: 42
; NumVgprs: 40
; NumAgprs: 0
; TotalNumVgprs: 40
; ScratchSize: 0
; MemoryBound: 0
; FloatMode: 240
; IeeeMode: 1
; LDSByteSize: 8196 bytes/workgroup (compile time only)
; SGPRBlocks: 5
; VGPRBlocks: 4
; NumSGPRsForWavesPerEU: 42
; NumVGPRsForWavesPerEU: 40
; AccumOffset: 40
; Occupancy: 7
; WaveLimiterHint : 0
; COMPUTE_PGM_RSRC2:SCRATCH_EN: 0
; COMPUTE_PGM_RSRC2:USER_SGPR: 2
; COMPUTE_PGM_RSRC2:TRAP_HANDLER: 0
; COMPUTE_PGM_RSRC2:TGID_X_EN: 1
; COMPUTE_PGM_RSRC2:TGID_Y_EN: 0
; COMPUTE_PGM_RSRC2:TGID_Z_EN: 0
; COMPUTE_PGM_RSRC2:TIDIG_COMP_CNT: 0
; COMPUTE_PGM_RSRC3_GFX90A:ACCUM_OFFSET: 9
; COMPUTE_PGM_RSRC3_GFX90A:TG_SPLIT: 0
	.section	.text._ZN9rocsparseL44csr2gebsr_wavefront_per_row_multipass_kernelILi256ELi32ELi8ELi32E21rocsparse_complex_numIfEEEv20rocsparse_direction_iiiiii21rocsparse_index_base_PKT3_PKiS9_S4_PS5_PiSB_,"axG",@progbits,_ZN9rocsparseL44csr2gebsr_wavefront_per_row_multipass_kernelILi256ELi32ELi8ELi32E21rocsparse_complex_numIfEEEv20rocsparse_direction_iiiiii21rocsparse_index_base_PKT3_PKiS9_S4_PS5_PiSB_,comdat
	.globl	_ZN9rocsparseL44csr2gebsr_wavefront_per_row_multipass_kernelILi256ELi32ELi8ELi32E21rocsparse_complex_numIfEEEv20rocsparse_direction_iiiiii21rocsparse_index_base_PKT3_PKiS9_S4_PS5_PiSB_ ; -- Begin function _ZN9rocsparseL44csr2gebsr_wavefront_per_row_multipass_kernelILi256ELi32ELi8ELi32E21rocsparse_complex_numIfEEEv20rocsparse_direction_iiiiii21rocsparse_index_base_PKT3_PKiS9_S4_PS5_PiSB_
	.p2align	8
	.type	_ZN9rocsparseL44csr2gebsr_wavefront_per_row_multipass_kernelILi256ELi32ELi8ELi32E21rocsparse_complex_numIfEEEv20rocsparse_direction_iiiiii21rocsparse_index_base_PKT3_PKiS9_S4_PS5_PiSB_,@function
_ZN9rocsparseL44csr2gebsr_wavefront_per_row_multipass_kernelILi256ELi32ELi8ELi32E21rocsparse_complex_numIfEEEv20rocsparse_direction_iiiiii21rocsparse_index_base_PKT3_PKiS9_S4_PS5_PiSB_: ; @_ZN9rocsparseL44csr2gebsr_wavefront_per_row_multipass_kernelILi256ELi32ELi8ELi32E21rocsparse_complex_numIfEEEv20rocsparse_direction_iiiiii21rocsparse_index_base_PKT3_PKiS9_S4_PS5_PiSB_
; %bb.0:
	s_load_dwordx2 s[14:15], s[0:1], 0x0
	s_load_dwordx4 s[4:7], s[0:1], 0xc
	s_load_dword s33, s[0:1], 0x1c
	s_load_dwordx2 s[8:9], s[0:1], 0x28
	v_lshrrev_b32_e32 v18, 5, v0
	v_and_b32_e32 v2, 31, v0
	v_lshl_or_b32 v8, s2, 3, v18
	s_waitcnt lgkmcnt(0)
	v_mad_u64_u32 v[6:7], s[2:3], v8, s6, v[2:3]
	v_cmp_gt_i32_e32 vcc, s15, v6
	v_cmp_gt_i32_e64 s[2:3], s6, v2
	s_and_b64 s[10:11], s[2:3], vcc
	v_mov_b32_e32 v19, 0
	v_mov_b32_e32 v4, 0
	s_and_saveexec_b64 s[12:13], s[10:11]
	s_cbranch_execz .LBB166_2
; %bb.1:
	v_ashrrev_i32_e32 v7, 31, v6
	v_lshl_add_u64 v[4:5], v[6:7], 2, s[8:9]
	global_load_dword v1, v[4:5], off
	s_waitcnt vmcnt(0)
	v_subrev_u32_e32 v4, s33, v1
.LBB166_2:
	s_or_b64 exec, exec, s[12:13]
	s_and_saveexec_b64 s[12:13], s[10:11]
	s_cbranch_execz .LBB166_4
; %bb.3:
	v_ashrrev_i32_e32 v7, 31, v6
	v_lshl_add_u64 v[6:7], v[6:7], 2, s[8:9]
	global_load_dword v1, v[6:7], off offset:4
	s_waitcnt vmcnt(0)
	v_subrev_u32_e32 v19, s33, v1
.LBB166_4:
	s_or_b64 exec, exec, s[12:13]
	s_load_dword s52, s[0:1], 0x38
	v_cmp_gt_i32_e32 vcc, s4, v8
	v_mov_b32_e32 v6, 0
	s_and_saveexec_b64 s[8:9], vcc
	s_cbranch_execz .LBB166_6
; %bb.5:
	s_load_dwordx2 s[10:11], s[0:1], 0x48
	v_ashrrev_i32_e32 v9, 31, v8
	s_waitcnt lgkmcnt(0)
	v_lshl_add_u64 v[6:7], v[8:9], 2, s[10:11]
	global_load_dword v1, v[6:7], off
	s_waitcnt vmcnt(0)
	v_subrev_u32_e32 v6, s52, v1
.LBB166_6:
	s_or_b64 exec, exec, s[8:9]
	s_cmp_lt_i32 s5, 1
	s_cbranch_scc1 .LBB166_35
; %bb.7:
	s_cmp_eq_u32 s14, 0
	s_cselect_b64 vcc, -1, 0
	s_ashr_i32 s4, s7, 31
	s_load_dwordx2 s[8:9], s[0:1], 0x20
	s_load_dwordx2 s[10:11], s[0:1], 0x50
	s_load_dwordx2 s[16:17], s[0:1], 0x40
	s_load_dwordx2 s[12:13], s[0:1], 0x30
	s_mul_hi_u32 s0, s7, s6
	s_mul_i32 s1, s4, s6
	s_add_i32 s53, s0, s1
	v_lshlrev_b32_e32 v8, 3, v2
	v_mul_lo_u32 v2, v2, s7
	s_cmp_lg_u32 s7, 0
	v_mov_b32_e32 v9, 0
	v_ashrrev_i32_e32 v3, 31, v2
	s_cselect_b64 s[0:1], -1, 0
	s_waitcnt lgkmcnt(0)
	v_lshl_add_u64 v[10:11], s[16:17], 0, v[8:9]
	v_lshl_add_u64 v[12:13], v[2:3], 3, s[16:17]
	s_and_b64 s[16:17], s[2:3], s[0:1]
	s_cmp_gt_u32 s7, 1
	s_cselect_b64 s[0:1], -1, 0
	s_and_b64 s[18:19], s[2:3], s[0:1]
	s_cmp_gt_u32 s7, 2
	s_cselect_b64 s[0:1], -1, 0
	s_and_b64 s[20:21], s[2:3], s[0:1]
	s_lshl_b32 s22, s6, 1
	s_cmp_gt_u32 s7, 3
	s_cselect_b64 s[0:1], -1, 0
	s_and_b64 s[24:25], s[2:3], s[0:1]
	s_cmp_gt_u32 s7, 4
	s_cselect_b64 s[0:1], -1, 0
	s_and_b64 s[28:29], s[2:3], s[0:1]
	s_lshl_b32 s30, s6, 2
	s_cmp_gt_u32 s7, 5
	s_cselect_b64 s[0:1], -1, 0
	s_and_b64 s[34:35], s[2:3], s[0:1]
	s_cmp_gt_u32 s7, 6
	s_cselect_b64 s[0:1], -1, 0
	s_and_b64 s[36:37], s[2:3], s[0:1]
	s_cmp_gt_u32 s7, 7
	s_cselect_b64 s[0:1], -1, 0
	s_abs_i32 s55, s7
	v_lshlrev_b32_e32 v21, 6, v0
	v_cvt_f32_u32_e32 v0, s55
	v_mbcnt_lo_u32_b32 v1, -1, 0
	v_mbcnt_hi_u32_b32 v1, -1, v1
	s_and_b64 s[42:43], s[2:3], s[0:1]
	v_rcp_iflag_f32_e32 v0, v0
	s_sub_i32 s0, 0, s55
	s_mov_b32 s15, 0
	v_lshlrev_b32_e32 v20, 2, v1
	v_mul_f32_e32 v0, 0x4f7ffffe, v0
	v_cvt_u32_f32_e32 v0, v0
	s_mov_b32 s1, s15
	s_mov_b32 s2, s15
	;; [unrolled: 1-line block ×3, first 2 shown]
	v_mul_lo_u32 v1, s0, v0
	v_mul_hi_u32 v1, v0, v1
	s_mov_b32 s0, s15
	v_add_u32_e32 v22, v0, v1
	v_mov_b64_e32 v[0:1], s[0:1]
	s_mov_b32 s14, s6
	s_mul_i32 s54, s7, s6
	v_or_b32_e32 v8, 0x7c, v20
	s_mov_b32 s23, s15
	s_mul_i32 s26, s6, 3
	s_mov_b32 s27, s15
	s_mov_b32 s31, s15
	s_mul_i32 s38, s6, 5
	s_mov_b32 s39, s15
	s_mul_i32 s40, s6, 6
	s_mov_b32 s41, s15
	s_mul_i32 s44, s6, 7
	s_mov_b32 s45, s15
	s_mov_b64 s[46:47], 0
	v_mov_b64_e32 v[2:3], s[2:3]
	v_mov_b32_e32 v23, 1
	v_mov_b32_e32 v7, 0
	s_branch .LBB166_10
.LBB166_8:                              ;   in Loop: Header=BB166_10 Depth=1
	s_or_b64 exec, exec, s[0:1]
	v_mov_b32_e32 v14, 1
.LBB166_9:                              ;   in Loop: Header=BB166_10 Depth=1
	s_or_b64 exec, exec, s[2:3]
	v_mov_b32_dpp v7, v5 row_shr:1 row_mask:0xf bank_mask:0xf
	v_min_i32_e32 v5, v7, v5
	v_add_u32_e32 v6, v14, v6
	s_waitcnt lgkmcnt(0)
	v_mov_b32_dpp v7, v5 row_shr:2 row_mask:0xf bank_mask:0xf
	v_min_i32_e32 v5, v7, v5
	s_nop 1
	v_mov_b32_dpp v7, v5 row_shr:4 row_mask:0xf bank_mask:0xe
	v_min_i32_e32 v5, v7, v5
	s_nop 1
	;; [unrolled: 3-line block ×3, first 2 shown]
	v_mov_b32_dpp v7, v5 row_bcast:15 row_mask:0xa bank_mask:0xf
	v_min_i32_e32 v5, v7, v5
	ds_bpermute_b32 v7, v8, v5
	s_waitcnt lgkmcnt(0)
	v_cmp_le_i32_e64 s[0:1], s5, v7
	s_or_b64 s[46:47], s[0:1], s[46:47]
	s_andn2_b64 exec, exec, s[46:47]
	s_cbranch_execz .LBB166_35
.LBB166_10:                             ; =>This Loop Header: Depth=1
                                        ;     Child Loop BB166_13 Depth 2
	v_cmp_lt_i32_e64 s[0:1], v4, v19
	v_mov_b32_e32 v5, s5
	v_mov_b32_e32 v25, v19
	ds_write_b8 v18, v9 offset:16384
	ds_write_b128 v21, v[0:3]
	ds_write_b128 v21, v[0:3] offset:16
	ds_write_b128 v21, v[0:3] offset:32
	;; [unrolled: 1-line block ×3, first 2 shown]
	s_waitcnt lgkmcnt(0)
	s_and_saveexec_b64 s[48:49], s[0:1]
	s_cbranch_execz .LBB166_18
; %bb.11:                               ;   in Loop: Header=BB166_10 Depth=1
	v_ashrrev_i32_e32 v5, 31, v4
	v_mul_lo_u32 v24, v7, s7
	v_lshl_add_u64 v[14:15], v[4:5], 2, s[12:13]
	v_lshl_add_u64 v[16:17], v[4:5], 3, s[8:9]
	s_mov_b64 s[50:51], 0
	v_mov_b32_e32 v5, s5
	v_mov_b32_e32 v25, v19
	s_branch .LBB166_13
.LBB166_12:                             ;   in Loop: Header=BB166_13 Depth=2
	s_or_b64 exec, exec, s[2:3]
	v_add_u32_e32 v4, 1, v4
	v_cmp_ge_i32_e64 s[2:3], v4, v19
	s_xor_b64 s[0:1], s[0:1], -1
	s_or_b64 s[0:1], s[0:1], s[2:3]
	s_and_b64 s[0:1], exec, s[0:1]
	v_lshl_add_u64 v[14:15], v[14:15], 0, 4
	s_or_b64 s[50:51], s[0:1], s[50:51]
	v_lshl_add_u64 v[16:17], v[16:17], 0, 8
	s_andn2_b64 exec, exec, s[50:51]
	s_cbranch_execz .LBB166_17
.LBB166_13:                             ;   Parent Loop BB166_10 Depth=1
                                        ; =>  This Inner Loop Header: Depth=2
	global_load_dword v26, v[14:15], off
	s_waitcnt vmcnt(0)
	v_subrev_u32_e32 v26, s33, v26
	v_sub_u32_e32 v28, 0, v26
	v_max_i32_e32 v28, v26, v28
	v_mul_hi_u32 v29, v28, v22
	v_mul_lo_u32 v30, v29, s55
	v_sub_u32_e32 v28, v28, v30
	v_add_u32_e32 v31, 1, v29
	v_cmp_le_u32_e64 s[0:1], s55, v28
	v_subrev_u32_e32 v30, s55, v28
	v_ashrrev_i32_e32 v27, 31, v26
	v_cndmask_b32_e64 v29, v29, v31, s[0:1]
	v_cndmask_b32_e64 v28, v28, v30, s[0:1]
	v_add_u32_e32 v30, 1, v29
	v_cmp_le_u32_e64 s[0:1], s55, v28
	v_xor_b32_e32 v27, s4, v27
	s_nop 0
	v_cndmask_b32_e64 v28, v29, v30, s[0:1]
	v_xor_b32_e32 v28, v28, v27
	v_sub_u32_e32 v28, v28, v27
	v_cmp_eq_u32_e64 s[0:1], v28, v7
	v_cmp_ne_u32_e64 s[2:3], v28, v7
	v_mov_b32_e32 v27, v25
	s_and_saveexec_b64 s[56:57], s[2:3]
	s_xor_b64 s[2:3], exec, s[56:57]
; %bb.14:                               ;   in Loop: Header=BB166_13 Depth=2
	v_min_i32_e32 v5, v28, v5
                                        ; implicit-def: $vgpr26
                                        ; implicit-def: $vgpr27
; %bb.15:                               ;   in Loop: Header=BB166_13 Depth=2
	s_or_saveexec_b64 s[2:3], s[2:3]
	v_mov_b32_e32 v25, v4
	s_xor_b64 exec, exec, s[2:3]
	s_cbranch_execz .LBB166_12
; %bb.16:                               ;   in Loop: Header=BB166_13 Depth=2
	global_load_dwordx2 v[28:29], v[16:17], off
	v_sub_u32_e32 v25, v26, v24
	v_lshl_add_u32 v25, v25, 3, v21
	ds_write_b8 v18, v23 offset:16384
	s_waitcnt vmcnt(0)
	ds_write_b64 v25, v[28:29]
	v_mov_b32_e32 v25, v27
	s_branch .LBB166_12
.LBB166_17:                             ;   in Loop: Header=BB166_10 Depth=1
	s_or_b64 exec, exec, s[50:51]
.LBB166_18:                             ;   in Loop: Header=BB166_10 Depth=1
	s_or_b64 exec, exec, s[48:49]
	s_waitcnt lgkmcnt(0)
	ds_read_u8 v14, v18 offset:16384
	ds_bpermute_b32 v4, v20, v25
	s_waitcnt lgkmcnt(1)
	v_and_b32_e32 v14, 1, v14
	v_cmp_eq_u32_e64 s[0:1], 1, v14
	v_mov_b32_e32 v14, 0
	s_and_saveexec_b64 s[2:3], s[0:1]
	s_cbranch_execz .LBB166_9
; %bb.19:                               ;   in Loop: Header=BB166_10 Depth=1
	v_add_u32_e32 v16, s52, v7
	v_ashrrev_i32_e32 v7, 31, v6
	v_lshl_add_u64 v[14:15], v[6:7], 2, s[10:11]
	global_store_dword v[14:15], v16, off
	v_mul_lo_u32 v16, s53, v6
	v_mul_lo_u32 v7, s54, v7
	v_mad_u64_u32 v[14:15], s[0:1], s54, v6, 0
	v_add3_u32 v15, v15, v7, v16
	v_lshlrev_b64 v[16:17], 3, v[14:15]
	v_lshl_add_u64 v[14:15], v[10:11], 0, v[16:17]
	v_lshl_add_u64 v[16:17], v[12:13], 0, v[16:17]
	s_and_saveexec_b64 s[0:1], s[16:17]
	s_cbranch_execnz .LBB166_27
; %bb.20:                               ;   in Loop: Header=BB166_10 Depth=1
	s_or_b64 exec, exec, s[0:1]
	s_and_saveexec_b64 s[0:1], s[18:19]
	s_cbranch_execnz .LBB166_28
.LBB166_21:                             ;   in Loop: Header=BB166_10 Depth=1
	s_or_b64 exec, exec, s[0:1]
	s_and_saveexec_b64 s[0:1], s[20:21]
	s_cbranch_execnz .LBB166_29
.LBB166_22:                             ;   in Loop: Header=BB166_10 Depth=1
	s_or_b64 exec, exec, s[0:1]
	s_and_saveexec_b64 s[0:1], s[24:25]
	s_cbranch_execnz .LBB166_30
.LBB166_23:                             ;   in Loop: Header=BB166_10 Depth=1
	s_or_b64 exec, exec, s[0:1]
	s_and_saveexec_b64 s[0:1], s[28:29]
	s_cbranch_execnz .LBB166_31
.LBB166_24:                             ;   in Loop: Header=BB166_10 Depth=1
	s_or_b64 exec, exec, s[0:1]
	s_and_saveexec_b64 s[0:1], s[34:35]
	s_cbranch_execnz .LBB166_32
.LBB166_25:                             ;   in Loop: Header=BB166_10 Depth=1
	s_or_b64 exec, exec, s[0:1]
	s_and_saveexec_b64 s[0:1], s[36:37]
	s_cbranch_execnz .LBB166_33
.LBB166_26:                             ;   in Loop: Header=BB166_10 Depth=1
	s_or_b64 exec, exec, s[0:1]
	s_and_saveexec_b64 s[0:1], s[42:43]
	s_cbranch_execz .LBB166_8
	s_branch .LBB166_34
.LBB166_27:                             ;   in Loop: Header=BB166_10 Depth=1
	ds_read_b64 v[24:25], v21
	v_cndmask_b32_e32 v27, v15, v17, vcc
	v_cndmask_b32_e32 v26, v14, v16, vcc
	s_waitcnt lgkmcnt(0)
	global_store_dwordx2 v[26:27], v[24:25], off
	s_or_b64 exec, exec, s[0:1]
	s_and_saveexec_b64 s[0:1], s[18:19]
	s_cbranch_execz .LBB166_21
.LBB166_28:                             ;   in Loop: Header=BB166_10 Depth=1
	ds_read_b64 v[24:25], v21 offset:8
	v_lshl_add_u64 v[26:27], v[16:17], 0, 8
	v_lshl_add_u64 v[28:29], s[14:15], 3, v[14:15]
	v_cndmask_b32_e32 v27, v29, v27, vcc
	v_cndmask_b32_e32 v26, v28, v26, vcc
	s_waitcnt lgkmcnt(0)
	global_store_dwordx2 v[26:27], v[24:25], off
	s_or_b64 exec, exec, s[0:1]
	s_and_saveexec_b64 s[0:1], s[20:21]
	s_cbranch_execz .LBB166_22
.LBB166_29:                             ;   in Loop: Header=BB166_10 Depth=1
	ds_read_b64 v[24:25], v21 offset:16
	v_lshl_add_u64 v[26:27], v[16:17], 0, 16
	v_lshl_add_u64 v[28:29], s[22:23], 3, v[14:15]
	v_cndmask_b32_e32 v27, v29, v27, vcc
	v_cndmask_b32_e32 v26, v28, v26, vcc
	s_waitcnt lgkmcnt(0)
	global_store_dwordx2 v[26:27], v[24:25], off
	s_or_b64 exec, exec, s[0:1]
	s_and_saveexec_b64 s[0:1], s[24:25]
	s_cbranch_execz .LBB166_23
.LBB166_30:                             ;   in Loop: Header=BB166_10 Depth=1
	ds_read_b64 v[24:25], v21 offset:24
	v_lshl_add_u64 v[26:27], v[16:17], 0, 24
	v_lshl_add_u64 v[28:29], s[26:27], 3, v[14:15]
	v_cndmask_b32_e32 v27, v29, v27, vcc
	v_cndmask_b32_e32 v26, v28, v26, vcc
	s_waitcnt lgkmcnt(0)
	global_store_dwordx2 v[26:27], v[24:25], off
	s_or_b64 exec, exec, s[0:1]
	s_and_saveexec_b64 s[0:1], s[28:29]
	s_cbranch_execz .LBB166_24
.LBB166_31:                             ;   in Loop: Header=BB166_10 Depth=1
	ds_read_b64 v[24:25], v21 offset:32
	v_lshl_add_u64 v[26:27], v[16:17], 0, 32
	v_lshl_add_u64 v[28:29], s[30:31], 3, v[14:15]
	v_cndmask_b32_e32 v27, v29, v27, vcc
	v_cndmask_b32_e32 v26, v28, v26, vcc
	s_waitcnt lgkmcnt(0)
	global_store_dwordx2 v[26:27], v[24:25], off
	s_or_b64 exec, exec, s[0:1]
	s_and_saveexec_b64 s[0:1], s[34:35]
	s_cbranch_execz .LBB166_25
.LBB166_32:                             ;   in Loop: Header=BB166_10 Depth=1
	ds_read_b64 v[24:25], v21 offset:40
	v_lshl_add_u64 v[26:27], v[16:17], 0, 40
	v_lshl_add_u64 v[28:29], s[38:39], 3, v[14:15]
	v_cndmask_b32_e32 v27, v29, v27, vcc
	v_cndmask_b32_e32 v26, v28, v26, vcc
	s_waitcnt lgkmcnt(0)
	global_store_dwordx2 v[26:27], v[24:25], off
	s_or_b64 exec, exec, s[0:1]
	s_and_saveexec_b64 s[0:1], s[36:37]
	s_cbranch_execz .LBB166_26
.LBB166_33:                             ;   in Loop: Header=BB166_10 Depth=1
	ds_read_b64 v[24:25], v21 offset:48
	v_lshl_add_u64 v[26:27], v[16:17], 0, 48
	v_lshl_add_u64 v[28:29], s[40:41], 3, v[14:15]
	v_cndmask_b32_e32 v27, v29, v27, vcc
	v_cndmask_b32_e32 v26, v28, v26, vcc
	s_waitcnt lgkmcnt(0)
	global_store_dwordx2 v[26:27], v[24:25], off
	s_or_b64 exec, exec, s[0:1]
	s_and_saveexec_b64 s[0:1], s[42:43]
	s_cbranch_execz .LBB166_8
.LBB166_34:                             ;   in Loop: Header=BB166_10 Depth=1
	ds_read_b64 v[24:25], v21 offset:56
	v_lshl_add_u64 v[16:17], v[16:17], 0, 56
	v_lshl_add_u64 v[14:15], s[44:45], 3, v[14:15]
	v_cndmask_b32_e32 v15, v15, v17, vcc
	v_cndmask_b32_e32 v14, v14, v16, vcc
	s_waitcnt lgkmcnt(0)
	global_store_dwordx2 v[14:15], v[24:25], off
	s_branch .LBB166_8
.LBB166_35:
	s_endpgm
	.section	.rodata,"a",@progbits
	.p2align	6, 0x0
	.amdhsa_kernel _ZN9rocsparseL44csr2gebsr_wavefront_per_row_multipass_kernelILi256ELi32ELi8ELi32E21rocsparse_complex_numIfEEEv20rocsparse_direction_iiiiii21rocsparse_index_base_PKT3_PKiS9_S4_PS5_PiSB_
		.amdhsa_group_segment_fixed_size 16392
		.amdhsa_private_segment_fixed_size 0
		.amdhsa_kernarg_size 88
		.amdhsa_user_sgpr_count 2
		.amdhsa_user_sgpr_dispatch_ptr 0
		.amdhsa_user_sgpr_queue_ptr 0
		.amdhsa_user_sgpr_kernarg_segment_ptr 1
		.amdhsa_user_sgpr_dispatch_id 0
		.amdhsa_user_sgpr_kernarg_preload_length 0
		.amdhsa_user_sgpr_kernarg_preload_offset 0
		.amdhsa_user_sgpr_private_segment_size 0
		.amdhsa_uses_dynamic_stack 0
		.amdhsa_enable_private_segment 0
		.amdhsa_system_sgpr_workgroup_id_x 1
		.amdhsa_system_sgpr_workgroup_id_y 0
		.amdhsa_system_sgpr_workgroup_id_z 0
		.amdhsa_system_sgpr_workgroup_info 0
		.amdhsa_system_vgpr_workitem_id 0
		.amdhsa_next_free_vgpr 32
		.amdhsa_next_free_sgpr 58
		.amdhsa_accum_offset 32
		.amdhsa_reserve_vcc 1
		.amdhsa_float_round_mode_32 0
		.amdhsa_float_round_mode_16_64 0
		.amdhsa_float_denorm_mode_32 3
		.amdhsa_float_denorm_mode_16_64 3
		.amdhsa_dx10_clamp 1
		.amdhsa_ieee_mode 1
		.amdhsa_fp16_overflow 0
		.amdhsa_tg_split 0
		.amdhsa_exception_fp_ieee_invalid_op 0
		.amdhsa_exception_fp_denorm_src 0
		.amdhsa_exception_fp_ieee_div_zero 0
		.amdhsa_exception_fp_ieee_overflow 0
		.amdhsa_exception_fp_ieee_underflow 0
		.amdhsa_exception_fp_ieee_inexact 0
		.amdhsa_exception_int_div_zero 0
	.end_amdhsa_kernel
	.section	.text._ZN9rocsparseL44csr2gebsr_wavefront_per_row_multipass_kernelILi256ELi32ELi8ELi32E21rocsparse_complex_numIfEEEv20rocsparse_direction_iiiiii21rocsparse_index_base_PKT3_PKiS9_S4_PS5_PiSB_,"axG",@progbits,_ZN9rocsparseL44csr2gebsr_wavefront_per_row_multipass_kernelILi256ELi32ELi8ELi32E21rocsparse_complex_numIfEEEv20rocsparse_direction_iiiiii21rocsparse_index_base_PKT3_PKiS9_S4_PS5_PiSB_,comdat
.Lfunc_end166:
	.size	_ZN9rocsparseL44csr2gebsr_wavefront_per_row_multipass_kernelILi256ELi32ELi8ELi32E21rocsparse_complex_numIfEEEv20rocsparse_direction_iiiiii21rocsparse_index_base_PKT3_PKiS9_S4_PS5_PiSB_, .Lfunc_end166-_ZN9rocsparseL44csr2gebsr_wavefront_per_row_multipass_kernelILi256ELi32ELi8ELi32E21rocsparse_complex_numIfEEEv20rocsparse_direction_iiiiii21rocsparse_index_base_PKT3_PKiS9_S4_PS5_PiSB_
                                        ; -- End function
	.section	.AMDGPU.csdata,"",@progbits
; Kernel info:
; codeLenInByte = 1776
; NumSgprs: 64
; NumVgprs: 32
; NumAgprs: 0
; TotalNumVgprs: 32
; ScratchSize: 0
; MemoryBound: 0
; FloatMode: 240
; IeeeMode: 1
; LDSByteSize: 16392 bytes/workgroup (compile time only)
; SGPRBlocks: 7
; VGPRBlocks: 3
; NumSGPRsForWavesPerEU: 64
; NumVGPRsForWavesPerEU: 32
; AccumOffset: 32
; Occupancy: 3
; WaveLimiterHint : 0
; COMPUTE_PGM_RSRC2:SCRATCH_EN: 0
; COMPUTE_PGM_RSRC2:USER_SGPR: 2
; COMPUTE_PGM_RSRC2:TRAP_HANDLER: 0
; COMPUTE_PGM_RSRC2:TGID_X_EN: 1
; COMPUTE_PGM_RSRC2:TGID_Y_EN: 0
; COMPUTE_PGM_RSRC2:TGID_Z_EN: 0
; COMPUTE_PGM_RSRC2:TIDIG_COMP_CNT: 0
; COMPUTE_PGM_RSRC3_GFX90A:ACCUM_OFFSET: 7
; COMPUTE_PGM_RSRC3_GFX90A:TG_SPLIT: 0
	.section	.text._ZN9rocsparseL40csr2gebsr_block_per_row_multipass_kernelILj256ELj32ELj16E21rocsparse_complex_numIfEEEv20rocsparse_direction_iiiiii21rocsparse_index_base_PKT2_PKiS9_S4_PS5_PiSB_,"axG",@progbits,_ZN9rocsparseL40csr2gebsr_block_per_row_multipass_kernelILj256ELj32ELj16E21rocsparse_complex_numIfEEEv20rocsparse_direction_iiiiii21rocsparse_index_base_PKT2_PKiS9_S4_PS5_PiSB_,comdat
	.globl	_ZN9rocsparseL40csr2gebsr_block_per_row_multipass_kernelILj256ELj32ELj16E21rocsparse_complex_numIfEEEv20rocsparse_direction_iiiiii21rocsparse_index_base_PKT2_PKiS9_S4_PS5_PiSB_ ; -- Begin function _ZN9rocsparseL40csr2gebsr_block_per_row_multipass_kernelILj256ELj32ELj16E21rocsparse_complex_numIfEEEv20rocsparse_direction_iiiiii21rocsparse_index_base_PKT2_PKiS9_S4_PS5_PiSB_
	.p2align	8
	.type	_ZN9rocsparseL40csr2gebsr_block_per_row_multipass_kernelILj256ELj32ELj16E21rocsparse_complex_numIfEEEv20rocsparse_direction_iiiiii21rocsparse_index_base_PKT2_PKiS9_S4_PS5_PiSB_,@function
_ZN9rocsparseL40csr2gebsr_block_per_row_multipass_kernelILj256ELj32ELj16E21rocsparse_complex_numIfEEEv20rocsparse_direction_iiiiii21rocsparse_index_base_PKT2_PKiS9_S4_PS5_PiSB_: ; @_ZN9rocsparseL40csr2gebsr_block_per_row_multipass_kernelILj256ELj32ELj16E21rocsparse_complex_numIfEEEv20rocsparse_direction_iiiiii21rocsparse_index_base_PKT2_PKiS9_S4_PS5_PiSB_
; %bb.0:
	s_load_dwordx4 s[20:23], s[0:1], 0x10
	s_load_dwordx2 s[6:7], s[0:1], 0x0
	s_load_dwordx2 s[8:9], s[0:1], 0x28
	v_lshrrev_b32_e32 v1, 3, v0
	v_mov_b32_e32 v14, 0
	s_waitcnt lgkmcnt(0)
	s_mul_i32 s3, s2, s21
	v_add_u32_e32 v2, s3, v1
	v_cmp_gt_i32_e64 s[4:5], s7, v2
	v_cmp_gt_i32_e32 vcc, s21, v1
	s_and_b64 s[4:5], vcc, s[4:5]
	v_mov_b32_e32 v23, 0
	s_and_saveexec_b64 s[10:11], s[4:5]
	s_cbranch_execnz .LBB167_3
; %bb.1:
	s_or_b64 exec, exec, s[10:11]
	s_and_saveexec_b64 s[10:11], s[4:5]
	s_cbranch_execnz .LBB167_4
.LBB167_2:
	s_or_b64 exec, exec, s[10:11]
	s_cmp_lt_i32 s20, 1
	s_cbranch_scc0 .LBB167_5
	s_branch .LBB167_37
.LBB167_3:
	v_ashrrev_i32_e32 v3, 31, v2
	v_lshl_add_u64 v[4:5], v[2:3], 2, s[8:9]
	global_load_dword v3, v[4:5], off
	s_waitcnt vmcnt(0)
	v_subrev_u32_e32 v23, s23, v3
	s_or_b64 exec, exec, s[10:11]
	s_and_saveexec_b64 s[10:11], s[4:5]
	s_cbranch_execz .LBB167_2
.LBB167_4:
	v_ashrrev_i32_e32 v3, 31, v2
	v_lshl_add_u64 v[2:3], v[2:3], 2, s[8:9]
	global_load_dword v2, v[2:3], off offset:4
	s_waitcnt vmcnt(0)
	v_subrev_u32_e32 v14, s23, v2
	s_or_b64 exec, exec, s[10:11]
	s_cmp_lt_i32 s20, 1
	s_cbranch_scc1 .LBB167_37
.LBB167_5:
	s_load_dwordx4 s[8:11], s[0:1], 0x40
	s_load_dwordx2 s[24:25], s[0:1], 0x50
	s_load_dword s33, s[0:1], 0x38
	s_ashr_i32 s3, s2, 31
	s_lshl_b64 s[2:3], s[2:3], 2
	s_waitcnt lgkmcnt(0)
	s_add_u32 s2, s10, s2
	s_addc_u32 s3, s11, s3
	s_load_dword s4, s[2:3], 0x0
	s_load_dwordx2 s[26:27], s[0:1], 0x20
	s_load_dwordx2 s[28:29], s[0:1], 0x30
	v_mbcnt_lo_u32_b32 v2, -1, 0
	v_mbcnt_hi_u32_b32 v2, -1, v2
	s_waitcnt lgkmcnt(0)
	s_sub_i32 s30, s4, s33
	s_cmp_eq_u32 s6, 0
	s_cselect_b64 s[0:1], -1, 0
	s_ashr_i32 s42, s22, 31
	s_mul_hi_u32 s2, s22, s21
	s_mul_i32 s3, s42, s21
	v_mul_lo_u32 v6, v1, s22
	v_and_b32_e32 v15, 7, v0
	v_lshlrev_b32_e32 v16, 4, v1
	v_lshl_or_b32 v18, v2, 2, 28
	s_add_i32 s43, s2, s3
	v_lshlrev_b32_e32 v2, 3, v1
	v_mov_b32_e32 v3, 0
	v_ashrrev_i32_e32 v7, 31, v6
	s_movk_i32 s2, 0x80
	v_lshl_add_u64 v[4:5], s[8:9], 0, v[2:3]
	v_lshl_add_u64 v[6:7], v[6:7], 3, s[8:9]
	v_lshlrev_b32_e32 v19, 2, v0
	v_cmp_gt_u32_e64 s[2:3], s2, v0
	v_cmp_gt_u32_e64 s[4:5], 64, v0
	;; [unrolled: 1-line block ×7, first 2 shown]
	v_cmp_eq_u32_e64 s[16:17], 0, v0
	v_or_b32_e32 v0, v16, v15
	s_abs_i32 s45, s22
	v_lshlrev_b32_e32 v20, 3, v0
	v_cvt_f32_u32_e32 v0, s45
	v_cmp_gt_u32_e64 s[18:19], s22, v15
	v_or_b32_e32 v1, 8, v15
	s_and_b64 s[34:35], vcc, s[18:19]
	v_rcp_iflag_f32_e32 v0, v0
	v_cmp_gt_u32_e64 s[18:19], s22, v1
	s_and_b64 s[36:37], vcc, s[18:19]
	s_sub_i32 s18, 0, s45
	v_mul_f32_e32 v0, 0x4f7ffffe, v0
	v_cvt_u32_f32_e32 v8, v0
	s_mov_b32 s38, 0
	v_lshlrev_b32_e32 v2, 3, v15
	v_lshl_add_u64 v[6:7], v[6:7], 0, v[2:3]
	v_mul_lo_u32 v9, s18, v8
	v_mul_lo_u32 v2, v15, s21
	v_mul_hi_u32 v9, v8, v9
	s_mov_b32 s39, s38
	v_mov_b32_e32 v17, 0
	s_mul_i32 s44, s22, s21
	v_lshl_add_u32 v0, s21, 3, v2
	v_mov_b32_e32 v1, v3
	v_add_u32_e32 v21, v8, v9
	v_mov_b64_e32 v[8:9], s[38:39]
	v_mov_b32_e32 v22, 1
	v_mov_b32_e32 v12, 0
	s_branch .LBB167_7
.LBB167_6:                              ;   in Loop: Header=BB167_7 Depth=1
	s_or_b64 exec, exec, s[18:19]
	s_waitcnt lgkmcnt(0)
	s_barrier
	ds_read_b32 v12, v3
	s_add_i32 s30, s21, s30
	s_waitcnt lgkmcnt(0)
	s_barrier
	v_cmp_gt_i32_e32 vcc, s20, v12
	s_cbranch_vccz .LBB167_37
.LBB167_7:                              ; =>This Loop Header: Depth=1
                                        ;     Child Loop BB167_10 Depth 2
	v_add_u32_e32 v10, v23, v15
	v_cmp_lt_i32_e32 vcc, v10, v14
	v_mov_b32_e32 v24, s20
	v_mov_b32_e32 v23, v14
	ds_write_b8 v3, v17 offset:4096
	ds_write2_b64 v20, v[8:9], v[8:9] offset1:8
	s_waitcnt lgkmcnt(0)
	s_barrier
	s_and_saveexec_b64 s[38:39], vcc
	s_cbranch_execz .LBB167_15
; %bb.8:                                ;   in Loop: Header=BB167_7 Depth=1
	v_mul_lo_u32 v13, v12, s22
	s_mov_b64 s[40:41], 0
	v_mov_b32_e32 v24, s20
	v_mov_b32_e32 v23, v14
	s_branch .LBB167_10
.LBB167_9:                              ;   in Loop: Header=BB167_10 Depth=2
	s_or_b64 exec, exec, s[18:19]
	v_add_u32_e32 v10, 8, v10
	v_cmp_ge_i32_e64 s[18:19], v10, v14
	s_xor_b64 s[46:47], vcc, -1
	s_or_b64 s[18:19], s[46:47], s[18:19]
	s_and_b64 s[18:19], exec, s[18:19]
	s_or_b64 s[40:41], s[18:19], s[40:41]
	s_andn2_b64 exec, exec, s[40:41]
	s_cbranch_execz .LBB167_14
.LBB167_10:                             ;   Parent Loop BB167_7 Depth=1
                                        ; =>  This Inner Loop Header: Depth=2
	v_ashrrev_i32_e32 v11, 31, v10
	v_lshl_add_u64 v[26:27], v[10:11], 2, s[28:29]
	global_load_dword v25, v[26:27], off
	s_waitcnt vmcnt(0)
	v_subrev_u32_e32 v25, s23, v25
	v_sub_u32_e32 v27, 0, v25
	v_max_i32_e32 v27, v25, v27
	v_mul_hi_u32 v28, v27, v21
	v_mul_lo_u32 v29, v28, s45
	v_sub_u32_e32 v27, v27, v29
	v_add_u32_e32 v30, 1, v28
	v_cmp_le_u32_e32 vcc, s45, v27
	v_subrev_u32_e32 v29, s45, v27
	v_ashrrev_i32_e32 v26, 31, v25
	v_cndmask_b32_e32 v28, v28, v30, vcc
	v_cndmask_b32_e32 v27, v27, v29, vcc
	v_add_u32_e32 v29, 1, v28
	v_cmp_le_u32_e32 vcc, s45, v27
	v_xor_b32_e32 v26, s42, v26
	s_nop 0
	v_cndmask_b32_e32 v27, v28, v29, vcc
	v_xor_b32_e32 v27, v27, v26
	v_sub_u32_e32 v27, v27, v26
	v_cmp_eq_u32_e32 vcc, v27, v12
	v_cmp_ne_u32_e64 s[18:19], v27, v12
	v_mov_b32_e32 v26, v23
	s_and_saveexec_b64 s[46:47], s[18:19]
	s_xor_b64 s[18:19], exec, s[46:47]
; %bb.11:                               ;   in Loop: Header=BB167_10 Depth=2
	v_min_i32_e32 v24, v27, v24
                                        ; implicit-def: $vgpr25
                                        ; implicit-def: $vgpr26
; %bb.12:                               ;   in Loop: Header=BB167_10 Depth=2
	s_or_saveexec_b64 s[18:19], s[18:19]
	v_mov_b32_e32 v23, v10
	s_xor_b64 exec, exec, s[18:19]
	s_cbranch_execz .LBB167_9
; %bb.13:                               ;   in Loop: Header=BB167_10 Depth=2
	v_lshl_add_u64 v[28:29], v[10:11], 3, s[26:27]
	global_load_dwordx2 v[28:29], v[28:29], off
	v_sub_u32_e32 v11, v25, v13
	v_add_lshl_u32 v11, v11, v16, 3
	v_mov_b32_e32 v23, v26
	ds_write_b8 v3, v22 offset:4096
	s_waitcnt vmcnt(0)
	ds_write_b64 v11, v[28:29]
	s_branch .LBB167_9
.LBB167_14:                             ;   in Loop: Header=BB167_7 Depth=1
	s_or_b64 exec, exec, s[40:41]
.LBB167_15:                             ;   in Loop: Header=BB167_7 Depth=1
	s_or_b64 exec, exec, s[38:39]
	v_mov_b32_dpp v10, v23 row_shr:1 row_mask:0xf bank_mask:0xf
	v_min_i32_e32 v10, v10, v23
	s_waitcnt lgkmcnt(0)
	s_barrier
	v_mov_b32_dpp v11, v10 row_shr:2 row_mask:0xf bank_mask:0xf
	v_min_i32_e32 v10, v11, v10
	ds_read_u8 v11, v3 offset:4096
	s_nop 0
	v_mov_b32_dpp v13, v10 row_shr:4 row_mask:0xf bank_mask:0xe
	v_min_i32_e32 v10, v13, v10
	ds_bpermute_b32 v23, v18, v10
	s_mov_b32 s21, 0
	s_waitcnt lgkmcnt(1)
	v_cmp_eq_u32_e32 vcc, 0, v11
	s_cbranch_vccnz .LBB167_21
; %bb.16:                               ;   in Loop: Header=BB167_7 Depth=1
	s_ashr_i32 s31, s30, 31
	s_lshl_b64 s[18:19], s[30:31], 2
	s_add_u32 s18, s24, s18
	v_add_u32_e32 v10, s33, v12
	s_addc_u32 s19, s25, s19
	global_store_dword v3, v10, s[18:19]
	s_mul_hi_u32 s18, s44, s30
	s_mul_i32 s19, s44, s31
	s_add_i32 s18, s18, s19
	s_mul_i32 s19, s43, s30
	s_add_i32 s19, s18, s19
	s_mul_i32 s18, s44, s30
	s_lshl_b64 s[18:19], s[18:19], 3
	v_lshl_add_u64 v[10:11], v[4:5], 0, s[18:19]
	v_lshl_add_u64 v[12:13], v[6:7], 0, s[18:19]
	s_and_saveexec_b64 s[18:19], s[34:35]
	s_cbranch_execz .LBB167_18
; %bb.17:                               ;   in Loop: Header=BB167_7 Depth=1
	ds_read_b64 v[26:27], v20
	v_lshl_add_u64 v[28:29], v[2:3], 3, v[10:11]
	v_cndmask_b32_e64 v29, v29, v13, s[0:1]
	v_cndmask_b32_e64 v28, v28, v12, s[0:1]
	s_waitcnt lgkmcnt(0)
	global_store_dwordx2 v[28:29], v[26:27], off
.LBB167_18:                             ;   in Loop: Header=BB167_7 Depth=1
	s_or_b64 exec, exec, s[18:19]
	s_and_saveexec_b64 s[18:19], s[36:37]
	s_cbranch_execz .LBB167_20
; %bb.19:                               ;   in Loop: Header=BB167_7 Depth=1
	ds_read_b64 v[26:27], v20 offset:64
	v_lshl_add_u64 v[12:13], v[12:13], 0, 64
	v_lshl_add_u64 v[10:11], v[0:1], 3, v[10:11]
	v_cndmask_b32_e64 v11, v11, v13, s[0:1]
	v_cndmask_b32_e64 v10, v10, v12, s[0:1]
	s_waitcnt lgkmcnt(0)
	global_store_dwordx2 v[10:11], v[26:27], off
.LBB167_20:                             ;   in Loop: Header=BB167_7 Depth=1
	s_or_b64 exec, exec, s[18:19]
	s_mov_b32 s21, 1
.LBB167_21:                             ;   in Loop: Header=BB167_7 Depth=1
	s_waitcnt lgkmcnt(0)
	s_barrier
	ds_write_b32 v19, v24
	s_waitcnt lgkmcnt(0)
	s_barrier
	s_and_saveexec_b64 s[18:19], s[2:3]
	s_cbranch_execz .LBB167_23
; %bb.22:                               ;   in Loop: Header=BB167_7 Depth=1
	ds_read2st64_b32 v[10:11], v19 offset1:2
	s_waitcnt lgkmcnt(0)
	v_min_i32_e32 v10, v11, v10
	ds_write_b32 v19, v10
.LBB167_23:                             ;   in Loop: Header=BB167_7 Depth=1
	s_or_b64 exec, exec, s[18:19]
	s_waitcnt lgkmcnt(0)
	s_barrier
	s_and_saveexec_b64 s[18:19], s[4:5]
	s_cbranch_execz .LBB167_25
; %bb.24:                               ;   in Loop: Header=BB167_7 Depth=1
	ds_read2st64_b32 v[10:11], v19 offset1:1
	s_waitcnt lgkmcnt(0)
	v_min_i32_e32 v10, v11, v10
	ds_write_b32 v19, v10
.LBB167_25:                             ;   in Loop: Header=BB167_7 Depth=1
	s_or_b64 exec, exec, s[18:19]
	s_waitcnt lgkmcnt(0)
	s_barrier
	s_and_saveexec_b64 s[18:19], s[6:7]
	s_cbranch_execz .LBB167_27
; %bb.26:                               ;   in Loop: Header=BB167_7 Depth=1
	ds_read2_b32 v[10:11], v19 offset1:32
	s_waitcnt lgkmcnt(0)
	v_min_i32_e32 v10, v11, v10
	ds_write_b32 v19, v10
.LBB167_27:                             ;   in Loop: Header=BB167_7 Depth=1
	s_or_b64 exec, exec, s[18:19]
	s_waitcnt lgkmcnt(0)
	s_barrier
	s_and_saveexec_b64 s[18:19], s[8:9]
	s_cbranch_execz .LBB167_29
; %bb.28:                               ;   in Loop: Header=BB167_7 Depth=1
	ds_read2_b32 v[10:11], v19 offset1:16
	s_waitcnt lgkmcnt(0)
	v_min_i32_e32 v10, v11, v10
	ds_write_b32 v19, v10
.LBB167_29:                             ;   in Loop: Header=BB167_7 Depth=1
	;; [unrolled: 11-line block ×5, first 2 shown]
	s_or_b64 exec, exec, s[18:19]
	s_waitcnt lgkmcnt(0)
	s_barrier
	s_and_saveexec_b64 s[18:19], s[16:17]
	s_cbranch_execz .LBB167_6
; %bb.36:                               ;   in Loop: Header=BB167_7 Depth=1
	ds_read_b64 v[10:11], v3
	s_waitcnt lgkmcnt(0)
	v_min_i32_e32 v10, v11, v10
	ds_write_b32 v3, v10
	s_branch .LBB167_6
.LBB167_37:
	s_endpgm
	.section	.rodata,"a",@progbits
	.p2align	6, 0x0
	.amdhsa_kernel _ZN9rocsparseL40csr2gebsr_block_per_row_multipass_kernelILj256ELj32ELj16E21rocsparse_complex_numIfEEEv20rocsparse_direction_iiiiii21rocsparse_index_base_PKT2_PKiS9_S4_PS5_PiSB_
		.amdhsa_group_segment_fixed_size 4100
		.amdhsa_private_segment_fixed_size 0
		.amdhsa_kernarg_size 88
		.amdhsa_user_sgpr_count 2
		.amdhsa_user_sgpr_dispatch_ptr 0
		.amdhsa_user_sgpr_queue_ptr 0
		.amdhsa_user_sgpr_kernarg_segment_ptr 1
		.amdhsa_user_sgpr_dispatch_id 0
		.amdhsa_user_sgpr_kernarg_preload_length 0
		.amdhsa_user_sgpr_kernarg_preload_offset 0
		.amdhsa_user_sgpr_private_segment_size 0
		.amdhsa_uses_dynamic_stack 0
		.amdhsa_enable_private_segment 0
		.amdhsa_system_sgpr_workgroup_id_x 1
		.amdhsa_system_sgpr_workgroup_id_y 0
		.amdhsa_system_sgpr_workgroup_id_z 0
		.amdhsa_system_sgpr_workgroup_info 0
		.amdhsa_system_vgpr_workitem_id 0
		.amdhsa_next_free_vgpr 31
		.amdhsa_next_free_sgpr 48
		.amdhsa_accum_offset 32
		.amdhsa_reserve_vcc 1
		.amdhsa_float_round_mode_32 0
		.amdhsa_float_round_mode_16_64 0
		.amdhsa_float_denorm_mode_32 3
		.amdhsa_float_denorm_mode_16_64 3
		.amdhsa_dx10_clamp 1
		.amdhsa_ieee_mode 1
		.amdhsa_fp16_overflow 0
		.amdhsa_tg_split 0
		.amdhsa_exception_fp_ieee_invalid_op 0
		.amdhsa_exception_fp_denorm_src 0
		.amdhsa_exception_fp_ieee_div_zero 0
		.amdhsa_exception_fp_ieee_overflow 0
		.amdhsa_exception_fp_ieee_underflow 0
		.amdhsa_exception_fp_ieee_inexact 0
		.amdhsa_exception_int_div_zero 0
	.end_amdhsa_kernel
	.section	.text._ZN9rocsparseL40csr2gebsr_block_per_row_multipass_kernelILj256ELj32ELj16E21rocsparse_complex_numIfEEEv20rocsparse_direction_iiiiii21rocsparse_index_base_PKT2_PKiS9_S4_PS5_PiSB_,"axG",@progbits,_ZN9rocsparseL40csr2gebsr_block_per_row_multipass_kernelILj256ELj32ELj16E21rocsparse_complex_numIfEEEv20rocsparse_direction_iiiiii21rocsparse_index_base_PKT2_PKiS9_S4_PS5_PiSB_,comdat
.Lfunc_end167:
	.size	_ZN9rocsparseL40csr2gebsr_block_per_row_multipass_kernelILj256ELj32ELj16E21rocsparse_complex_numIfEEEv20rocsparse_direction_iiiiii21rocsparse_index_base_PKT2_PKiS9_S4_PS5_PiSB_, .Lfunc_end167-_ZN9rocsparseL40csr2gebsr_block_per_row_multipass_kernelILj256ELj32ELj16E21rocsparse_complex_numIfEEEv20rocsparse_direction_iiiiii21rocsparse_index_base_PKT2_PKiS9_S4_PS5_PiSB_
                                        ; -- End function
	.section	.AMDGPU.csdata,"",@progbits
; Kernel info:
; codeLenInByte = 1584
; NumSgprs: 54
; NumVgprs: 31
; NumAgprs: 0
; TotalNumVgprs: 31
; ScratchSize: 0
; MemoryBound: 0
; FloatMode: 240
; IeeeMode: 1
; LDSByteSize: 4100 bytes/workgroup (compile time only)
; SGPRBlocks: 6
; VGPRBlocks: 3
; NumSGPRsForWavesPerEU: 54
; NumVGPRsForWavesPerEU: 31
; AccumOffset: 32
; Occupancy: 8
; WaveLimiterHint : 0
; COMPUTE_PGM_RSRC2:SCRATCH_EN: 0
; COMPUTE_PGM_RSRC2:USER_SGPR: 2
; COMPUTE_PGM_RSRC2:TRAP_HANDLER: 0
; COMPUTE_PGM_RSRC2:TGID_X_EN: 1
; COMPUTE_PGM_RSRC2:TGID_Y_EN: 0
; COMPUTE_PGM_RSRC2:TGID_Z_EN: 0
; COMPUTE_PGM_RSRC2:TIDIG_COMP_CNT: 0
; COMPUTE_PGM_RSRC3_GFX90A:ACCUM_OFFSET: 7
; COMPUTE_PGM_RSRC3_GFX90A:TG_SPLIT: 0
	.section	.text._ZN9rocsparseL40csr2gebsr_block_per_row_multipass_kernelILj256ELj32ELj32E21rocsparse_complex_numIfEEEv20rocsparse_direction_iiiiii21rocsparse_index_base_PKT2_PKiS9_S4_PS5_PiSB_,"axG",@progbits,_ZN9rocsparseL40csr2gebsr_block_per_row_multipass_kernelILj256ELj32ELj32E21rocsparse_complex_numIfEEEv20rocsparse_direction_iiiiii21rocsparse_index_base_PKT2_PKiS9_S4_PS5_PiSB_,comdat
	.globl	_ZN9rocsparseL40csr2gebsr_block_per_row_multipass_kernelILj256ELj32ELj32E21rocsparse_complex_numIfEEEv20rocsparse_direction_iiiiii21rocsparse_index_base_PKT2_PKiS9_S4_PS5_PiSB_ ; -- Begin function _ZN9rocsparseL40csr2gebsr_block_per_row_multipass_kernelILj256ELj32ELj32E21rocsparse_complex_numIfEEEv20rocsparse_direction_iiiiii21rocsparse_index_base_PKT2_PKiS9_S4_PS5_PiSB_
	.p2align	8
	.type	_ZN9rocsparseL40csr2gebsr_block_per_row_multipass_kernelILj256ELj32ELj32E21rocsparse_complex_numIfEEEv20rocsparse_direction_iiiiii21rocsparse_index_base_PKT2_PKiS9_S4_PS5_PiSB_,@function
_ZN9rocsparseL40csr2gebsr_block_per_row_multipass_kernelILj256ELj32ELj32E21rocsparse_complex_numIfEEEv20rocsparse_direction_iiiiii21rocsparse_index_base_PKT2_PKiS9_S4_PS5_PiSB_: ; @_ZN9rocsparseL40csr2gebsr_block_per_row_multipass_kernelILj256ELj32ELj32E21rocsparse_complex_numIfEEEv20rocsparse_direction_iiiiii21rocsparse_index_base_PKT2_PKiS9_S4_PS5_PiSB_
; %bb.0:
	s_load_dwordx4 s[20:23], s[0:1], 0x10
	s_load_dwordx2 s[6:7], s[0:1], 0x0
	s_load_dwordx2 s[8:9], s[0:1], 0x28
	v_lshrrev_b32_e32 v1, 3, v0
	v_mov_b32_e32 v18, 0
	s_waitcnt lgkmcnt(0)
	s_mul_i32 s3, s2, s21
	v_add_u32_e32 v2, s3, v1
	v_cmp_gt_i32_e64 s[4:5], s7, v2
	v_cmp_gt_i32_e32 vcc, s21, v1
	s_and_b64 s[4:5], vcc, s[4:5]
	v_mov_b32_e32 v27, 0
	s_and_saveexec_b64 s[10:11], s[4:5]
	s_cbranch_execnz .LBB168_3
; %bb.1:
	s_or_b64 exec, exec, s[10:11]
	s_and_saveexec_b64 s[10:11], s[4:5]
	s_cbranch_execnz .LBB168_4
.LBB168_2:
	s_or_b64 exec, exec, s[10:11]
	s_cmp_lt_i32 s20, 1
	s_cbranch_scc0 .LBB168_5
	s_branch .LBB168_41
.LBB168_3:
	v_ashrrev_i32_e32 v3, 31, v2
	v_lshl_add_u64 v[4:5], v[2:3], 2, s[8:9]
	global_load_dword v3, v[4:5], off
	s_waitcnt vmcnt(0)
	v_subrev_u32_e32 v27, s23, v3
	s_or_b64 exec, exec, s[10:11]
	s_and_saveexec_b64 s[10:11], s[4:5]
	s_cbranch_execz .LBB168_2
.LBB168_4:
	v_ashrrev_i32_e32 v3, 31, v2
	v_lshl_add_u64 v[2:3], v[2:3], 2, s[8:9]
	global_load_dword v2, v[2:3], off offset:4
	s_waitcnt vmcnt(0)
	v_subrev_u32_e32 v18, s23, v2
	s_or_b64 exec, exec, s[10:11]
	s_cmp_lt_i32 s20, 1
	s_cbranch_scc1 .LBB168_41
.LBB168_5:
	s_load_dwordx4 s[8:11], s[0:1], 0x40
	s_load_dwordx2 s[24:25], s[0:1], 0x50
	s_load_dword s33, s[0:1], 0x38
	s_ashr_i32 s3, s2, 31
	s_lshl_b64 s[2:3], s[2:3], 2
	s_waitcnt lgkmcnt(0)
	s_add_u32 s2, s10, s2
	s_addc_u32 s3, s11, s3
	s_load_dword s4, s[2:3], 0x0
	s_load_dwordx2 s[26:27], s[0:1], 0x20
	s_load_dwordx2 s[28:29], s[0:1], 0x30
	v_mbcnt_lo_u32_b32 v2, -1, 0
	v_mbcnt_hi_u32_b32 v2, -1, v2
	s_waitcnt lgkmcnt(0)
	s_sub_i32 s30, s4, s33
	v_mul_lo_u32 v6, v1, s22
	v_and_b32_e32 v19, 7, v0
	v_lshl_or_b32 v22, v2, 2, 28
	s_cmp_eq_u32 s6, 0
	v_lshlrev_b32_e32 v2, 3, v1
	v_mov_b32_e32 v3, 0
	v_ashrrev_i32_e32 v7, 31, v6
	s_cselect_b64 s[0:1], -1, 0
	s_ashr_i32 s50, s22, 31
	v_lshl_add_u64 v[4:5], s[8:9], 0, v[2:3]
	v_lshl_add_u64 v[6:7], v[6:7], 3, s[8:9]
	v_lshlrev_b32_e32 v2, 3, v19
	s_mul_hi_u32 s2, s22, s21
	s_mul_i32 s3, s50, s21
	s_mul_i32 s52, s22, s21
	v_lshl_add_u64 v[6:7], v[6:7], 0, v[2:3]
	v_mul_lo_u32 v2, v19, s21
	s_lshl_b32 s31, s21, 3
	s_abs_i32 s21, s22
	v_cvt_f32_u32_e32 v10, s21
	v_lshlrev_b32_e32 v20, 5, v1
	s_add_i32 s51, s2, s3
	s_movk_i32 s2, 0x80
	v_rcp_iflag_f32_e32 v10, v10
	v_lshlrev_b32_e32 v23, 2, v0
	v_cmp_gt_u32_e64 s[2:3], s2, v0
	v_cmp_gt_u32_e64 s[4:5], 64, v0
	;; [unrolled: 1-line block ×7, first 2 shown]
	v_cmp_eq_u32_e64 s[16:17], 0, v0
	v_or_b32_e32 v0, v20, v19
	v_lshlrev_b32_e32 v24, 3, v0
	v_cmp_gt_u32_e64 s[18:19], s22, v19
	v_or_b32_e32 v0, 8, v19
	v_mul_f32_e32 v10, 0x4f7ffffe, v10
	s_and_b64 s[34:35], vcc, s[18:19]
	v_cmp_gt_u32_e64 s[18:19], s22, v0
	v_or_b32_e32 v8, 16, v19
	v_cvt_u32_f32_e32 v12, v10
	s_and_b64 s[36:37], vcc, s[18:19]
	v_cmp_gt_u32_e64 s[18:19], s22, v8
	v_or_b32_e32 v11, 24, v19
	s_and_b64 s[38:39], vcc, s[18:19]
	v_cmp_gt_u32_e64 s[18:19], s22, v11
	s_and_b64 s[40:41], vcc, s[18:19]
	s_sub_i32 s18, 0, s21
	s_mov_b32 s42, 0
	v_add_u32_e32 v0, s31, v2
	v_mul_lo_u32 v13, s18, v12
	v_add_u32_e32 v8, s31, v0
	v_mul_hi_u32 v13, v12, v13
	s_mov_b32 s43, s42
	v_mov_b32_e32 v21, 0
	v_mov_b32_e32 v1, v3
	;; [unrolled: 1-line block ×3, first 2 shown]
	v_add_u32_e32 v10, s31, v8
	v_mov_b32_e32 v11, v3
	v_add_u32_e32 v25, v12, v13
	v_mov_b64_e32 v[12:13], s[42:43]
	s_mov_b64 s[42:43], 0x80
	s_mov_b64 s[44:45], 0xc0
	v_mov_b32_e32 v26, 1
	v_mov_b32_e32 v16, 0
	s_branch .LBB168_7
.LBB168_6:                              ;   in Loop: Header=BB168_7 Depth=1
	s_or_b64 exec, exec, s[18:19]
	s_waitcnt lgkmcnt(0)
	s_barrier
	ds_read_b32 v16, v3
	s_add_i32 s30, s31, s30
	s_waitcnt lgkmcnt(0)
	s_barrier
	v_cmp_gt_i32_e32 vcc, s20, v16
	s_cbranch_vccz .LBB168_41
.LBB168_7:                              ; =>This Loop Header: Depth=1
                                        ;     Child Loop BB168_10 Depth 2
	v_add_u32_e32 v14, v27, v19
	v_cmp_lt_i32_e32 vcc, v14, v18
	v_mov_b32_e32 v28, s20
	v_mov_b32_e32 v27, v18
	ds_write_b8 v3, v21 offset:8192
	ds_write2_b64 v24, v[12:13], v[12:13] offset1:8
	ds_write2_b64 v24, v[12:13], v[12:13] offset0:16 offset1:24
	s_waitcnt lgkmcnt(0)
	s_barrier
	s_and_saveexec_b64 s[46:47], vcc
	s_cbranch_execz .LBB168_15
; %bb.8:                                ;   in Loop: Header=BB168_7 Depth=1
	v_mul_lo_u32 v17, v16, s22
	s_mov_b64 s[48:49], 0
	v_mov_b32_e32 v28, s20
	v_mov_b32_e32 v27, v18
	s_branch .LBB168_10
.LBB168_9:                              ;   in Loop: Header=BB168_10 Depth=2
	s_or_b64 exec, exec, s[18:19]
	v_add_u32_e32 v14, 8, v14
	v_cmp_ge_i32_e64 s[18:19], v14, v18
	s_xor_b64 s[54:55], vcc, -1
	s_or_b64 s[18:19], s[54:55], s[18:19]
	s_and_b64 s[18:19], exec, s[18:19]
	s_or_b64 s[48:49], s[18:19], s[48:49]
	s_andn2_b64 exec, exec, s[48:49]
	s_cbranch_execz .LBB168_14
.LBB168_10:                             ;   Parent Loop BB168_7 Depth=1
                                        ; =>  This Inner Loop Header: Depth=2
	v_ashrrev_i32_e32 v15, 31, v14
	v_lshl_add_u64 v[30:31], v[14:15], 2, s[28:29]
	global_load_dword v29, v[30:31], off
	s_waitcnt vmcnt(0)
	v_subrev_u32_e32 v29, s23, v29
	v_sub_u32_e32 v31, 0, v29
	v_max_i32_e32 v31, v29, v31
	v_mul_hi_u32 v32, v31, v25
	v_mul_lo_u32 v33, v32, s21
	v_sub_u32_e32 v31, v31, v33
	v_add_u32_e32 v34, 1, v32
	v_cmp_le_u32_e32 vcc, s21, v31
	v_subrev_u32_e32 v33, s21, v31
	v_ashrrev_i32_e32 v30, 31, v29
	v_cndmask_b32_e32 v32, v32, v34, vcc
	v_cndmask_b32_e32 v31, v31, v33, vcc
	v_add_u32_e32 v33, 1, v32
	v_cmp_le_u32_e32 vcc, s21, v31
	v_xor_b32_e32 v30, s50, v30
	s_nop 0
	v_cndmask_b32_e32 v31, v32, v33, vcc
	v_xor_b32_e32 v31, v31, v30
	v_sub_u32_e32 v31, v31, v30
	v_cmp_eq_u32_e32 vcc, v31, v16
	v_cmp_ne_u32_e64 s[18:19], v31, v16
	v_mov_b32_e32 v30, v27
	s_and_saveexec_b64 s[54:55], s[18:19]
	s_xor_b64 s[18:19], exec, s[54:55]
; %bb.11:                               ;   in Loop: Header=BB168_10 Depth=2
	v_min_i32_e32 v28, v31, v28
                                        ; implicit-def: $vgpr29
                                        ; implicit-def: $vgpr30
; %bb.12:                               ;   in Loop: Header=BB168_10 Depth=2
	s_or_saveexec_b64 s[18:19], s[18:19]
	v_mov_b32_e32 v27, v14
	s_xor_b64 exec, exec, s[18:19]
	s_cbranch_execz .LBB168_9
; %bb.13:                               ;   in Loop: Header=BB168_10 Depth=2
	v_lshl_add_u64 v[32:33], v[14:15], 3, s[26:27]
	global_load_dwordx2 v[32:33], v[32:33], off
	v_sub_u32_e32 v15, v29, v17
	v_add_lshl_u32 v15, v15, v20, 3
	v_mov_b32_e32 v27, v30
	ds_write_b8 v3, v26 offset:8192
	s_waitcnt vmcnt(0)
	ds_write_b64 v15, v[32:33]
	s_branch .LBB168_9
.LBB168_14:                             ;   in Loop: Header=BB168_7 Depth=1
	s_or_b64 exec, exec, s[48:49]
.LBB168_15:                             ;   in Loop: Header=BB168_7 Depth=1
	s_or_b64 exec, exec, s[46:47]
	v_mov_b32_dpp v14, v27 row_shr:1 row_mask:0xf bank_mask:0xf
	v_min_i32_e32 v14, v14, v27
	s_waitcnt lgkmcnt(0)
	s_barrier
	v_mov_b32_dpp v15, v14 row_shr:2 row_mask:0xf bank_mask:0xf
	v_min_i32_e32 v14, v15, v14
	ds_read_u8 v15, v3 offset:8192
	s_nop 0
	v_mov_b32_dpp v17, v14 row_shr:4 row_mask:0xf bank_mask:0xe
	v_min_i32_e32 v14, v17, v14
	ds_bpermute_b32 v27, v22, v14
	s_mov_b32 s31, 0
	s_waitcnt lgkmcnt(1)
	v_cmp_eq_u32_e32 vcc, 0, v15
	s_cbranch_vccnz .LBB168_22
; %bb.16:                               ;   in Loop: Header=BB168_7 Depth=1
	s_ashr_i32 s31, s30, 31
	s_lshl_b64 s[18:19], s[30:31], 2
	s_add_u32 s18, s24, s18
	v_add_u32_e32 v14, s33, v16
	s_addc_u32 s19, s25, s19
	global_store_dword v3, v14, s[18:19]
	s_mul_hi_u32 s18, s52, s30
	s_mul_i32 s19, s52, s31
	s_add_i32 s18, s18, s19
	s_mul_i32 s19, s51, s30
	s_add_i32 s19, s18, s19
	s_mul_i32 s18, s52, s30
	s_lshl_b64 s[18:19], s[18:19], 3
	v_lshl_add_u64 v[14:15], v[4:5], 0, s[18:19]
	v_lshl_add_u64 v[16:17], v[6:7], 0, s[18:19]
	s_and_saveexec_b64 s[18:19], s[34:35]
	s_cbranch_execnz .LBB168_38
; %bb.17:                               ;   in Loop: Header=BB168_7 Depth=1
	s_or_b64 exec, exec, s[18:19]
	s_and_saveexec_b64 s[18:19], s[36:37]
	s_cbranch_execnz .LBB168_39
.LBB168_18:                             ;   in Loop: Header=BB168_7 Depth=1
	s_or_b64 exec, exec, s[18:19]
	s_and_saveexec_b64 s[18:19], s[38:39]
	s_cbranch_execnz .LBB168_40
.LBB168_19:                             ;   in Loop: Header=BB168_7 Depth=1
	s_or_b64 exec, exec, s[18:19]
	s_and_saveexec_b64 s[18:19], s[40:41]
	s_cbranch_execz .LBB168_21
.LBB168_20:                             ;   in Loop: Header=BB168_7 Depth=1
	ds_read_b64 v[30:31], v24 offset:192
	v_lshl_add_u64 v[16:17], v[16:17], 0, s[44:45]
	v_lshl_add_u64 v[14:15], v[10:11], 3, v[14:15]
	v_cndmask_b32_e64 v15, v15, v17, s[0:1]
	v_cndmask_b32_e64 v14, v14, v16, s[0:1]
	s_waitcnt lgkmcnt(0)
	global_store_dwordx2 v[14:15], v[30:31], off
.LBB168_21:                             ;   in Loop: Header=BB168_7 Depth=1
	s_or_b64 exec, exec, s[18:19]
	s_mov_b32 s31, 1
.LBB168_22:                             ;   in Loop: Header=BB168_7 Depth=1
	s_waitcnt lgkmcnt(0)
	s_barrier
	ds_write_b32 v23, v28
	s_waitcnt lgkmcnt(0)
	s_barrier
	s_and_saveexec_b64 s[18:19], s[2:3]
	s_cbranch_execz .LBB168_24
; %bb.23:                               ;   in Loop: Header=BB168_7 Depth=1
	ds_read2st64_b32 v[14:15], v23 offset1:2
	s_waitcnt lgkmcnt(0)
	v_min_i32_e32 v14, v15, v14
	ds_write_b32 v23, v14
.LBB168_24:                             ;   in Loop: Header=BB168_7 Depth=1
	s_or_b64 exec, exec, s[18:19]
	s_waitcnt lgkmcnt(0)
	s_barrier
	s_and_saveexec_b64 s[18:19], s[4:5]
	s_cbranch_execz .LBB168_26
; %bb.25:                               ;   in Loop: Header=BB168_7 Depth=1
	ds_read2st64_b32 v[14:15], v23 offset1:1
	s_waitcnt lgkmcnt(0)
	v_min_i32_e32 v14, v15, v14
	ds_write_b32 v23, v14
.LBB168_26:                             ;   in Loop: Header=BB168_7 Depth=1
	s_or_b64 exec, exec, s[18:19]
	s_waitcnt lgkmcnt(0)
	s_barrier
	s_and_saveexec_b64 s[18:19], s[6:7]
	s_cbranch_execz .LBB168_28
; %bb.27:                               ;   in Loop: Header=BB168_7 Depth=1
	ds_read2_b32 v[14:15], v23 offset1:32
	s_waitcnt lgkmcnt(0)
	v_min_i32_e32 v14, v15, v14
	ds_write_b32 v23, v14
.LBB168_28:                             ;   in Loop: Header=BB168_7 Depth=1
	s_or_b64 exec, exec, s[18:19]
	s_waitcnt lgkmcnt(0)
	s_barrier
	s_and_saveexec_b64 s[18:19], s[8:9]
	s_cbranch_execz .LBB168_30
; %bb.29:                               ;   in Loop: Header=BB168_7 Depth=1
	ds_read2_b32 v[14:15], v23 offset1:16
	s_waitcnt lgkmcnt(0)
	v_min_i32_e32 v14, v15, v14
	ds_write_b32 v23, v14
.LBB168_30:                             ;   in Loop: Header=BB168_7 Depth=1
	;; [unrolled: 11-line block ×5, first 2 shown]
	s_or_b64 exec, exec, s[18:19]
	s_waitcnt lgkmcnt(0)
	s_barrier
	s_and_saveexec_b64 s[18:19], s[16:17]
	s_cbranch_execz .LBB168_6
; %bb.37:                               ;   in Loop: Header=BB168_7 Depth=1
	ds_read_b64 v[14:15], v3
	s_waitcnt lgkmcnt(0)
	v_min_i32_e32 v14, v15, v14
	ds_write_b32 v3, v14
	s_branch .LBB168_6
.LBB168_38:                             ;   in Loop: Header=BB168_7 Depth=1
	ds_read_b64 v[30:31], v24
	v_lshl_add_u64 v[32:33], v[2:3], 3, v[14:15]
	v_cndmask_b32_e64 v33, v33, v17, s[0:1]
	v_cndmask_b32_e64 v32, v32, v16, s[0:1]
	s_waitcnt lgkmcnt(0)
	global_store_dwordx2 v[32:33], v[30:31], off
	s_or_b64 exec, exec, s[18:19]
	s_and_saveexec_b64 s[18:19], s[36:37]
	s_cbranch_execz .LBB168_18
.LBB168_39:                             ;   in Loop: Header=BB168_7 Depth=1
	ds_read_b64 v[30:31], v24 offset:64
	v_lshl_add_u64 v[32:33], v[16:17], 0, 64
	v_lshl_add_u64 v[34:35], v[0:1], 3, v[14:15]
	v_cndmask_b32_e64 v33, v35, v33, s[0:1]
	v_cndmask_b32_e64 v32, v34, v32, s[0:1]
	s_waitcnt lgkmcnt(0)
	global_store_dwordx2 v[32:33], v[30:31], off
	s_or_b64 exec, exec, s[18:19]
	s_and_saveexec_b64 s[18:19], s[38:39]
	s_cbranch_execz .LBB168_19
.LBB168_40:                             ;   in Loop: Header=BB168_7 Depth=1
	ds_read_b64 v[30:31], v24 offset:128
	v_lshl_add_u64 v[32:33], v[16:17], 0, s[42:43]
	v_lshl_add_u64 v[34:35], v[8:9], 3, v[14:15]
	v_cndmask_b32_e64 v33, v35, v33, s[0:1]
	v_cndmask_b32_e64 v32, v34, v32, s[0:1]
	s_waitcnt lgkmcnt(0)
	global_store_dwordx2 v[32:33], v[30:31], off
	s_or_b64 exec, exec, s[18:19]
	s_and_saveexec_b64 s[18:19], s[40:41]
	s_cbranch_execnz .LBB168_20
	s_branch .LBB168_21
.LBB168_41:
	s_endpgm
	.section	.rodata,"a",@progbits
	.p2align	6, 0x0
	.amdhsa_kernel _ZN9rocsparseL40csr2gebsr_block_per_row_multipass_kernelILj256ELj32ELj32E21rocsparse_complex_numIfEEEv20rocsparse_direction_iiiiii21rocsparse_index_base_PKT2_PKiS9_S4_PS5_PiSB_
		.amdhsa_group_segment_fixed_size 8196
		.amdhsa_private_segment_fixed_size 0
		.amdhsa_kernarg_size 88
		.amdhsa_user_sgpr_count 2
		.amdhsa_user_sgpr_dispatch_ptr 0
		.amdhsa_user_sgpr_queue_ptr 0
		.amdhsa_user_sgpr_kernarg_segment_ptr 1
		.amdhsa_user_sgpr_dispatch_id 0
		.amdhsa_user_sgpr_kernarg_preload_length 0
		.amdhsa_user_sgpr_kernarg_preload_offset 0
		.amdhsa_user_sgpr_private_segment_size 0
		.amdhsa_uses_dynamic_stack 0
		.amdhsa_enable_private_segment 0
		.amdhsa_system_sgpr_workgroup_id_x 1
		.amdhsa_system_sgpr_workgroup_id_y 0
		.amdhsa_system_sgpr_workgroup_id_z 0
		.amdhsa_system_sgpr_workgroup_info 0
		.amdhsa_system_vgpr_workitem_id 0
		.amdhsa_next_free_vgpr 36
		.amdhsa_next_free_sgpr 56
		.amdhsa_accum_offset 36
		.amdhsa_reserve_vcc 1
		.amdhsa_float_round_mode_32 0
		.amdhsa_float_round_mode_16_64 0
		.amdhsa_float_denorm_mode_32 3
		.amdhsa_float_denorm_mode_16_64 3
		.amdhsa_dx10_clamp 1
		.amdhsa_ieee_mode 1
		.amdhsa_fp16_overflow 0
		.amdhsa_tg_split 0
		.amdhsa_exception_fp_ieee_invalid_op 0
		.amdhsa_exception_fp_denorm_src 0
		.amdhsa_exception_fp_ieee_div_zero 0
		.amdhsa_exception_fp_ieee_overflow 0
		.amdhsa_exception_fp_ieee_underflow 0
		.amdhsa_exception_fp_ieee_inexact 0
		.amdhsa_exception_int_div_zero 0
	.end_amdhsa_kernel
	.section	.text._ZN9rocsparseL40csr2gebsr_block_per_row_multipass_kernelILj256ELj32ELj32E21rocsparse_complex_numIfEEEv20rocsparse_direction_iiiiii21rocsparse_index_base_PKT2_PKiS9_S4_PS5_PiSB_,"axG",@progbits,_ZN9rocsparseL40csr2gebsr_block_per_row_multipass_kernelILj256ELj32ELj32E21rocsparse_complex_numIfEEEv20rocsparse_direction_iiiiii21rocsparse_index_base_PKT2_PKiS9_S4_PS5_PiSB_,comdat
.Lfunc_end168:
	.size	_ZN9rocsparseL40csr2gebsr_block_per_row_multipass_kernelILj256ELj32ELj32E21rocsparse_complex_numIfEEEv20rocsparse_direction_iiiiii21rocsparse_index_base_PKT2_PKiS9_S4_PS5_PiSB_, .Lfunc_end168-_ZN9rocsparseL40csr2gebsr_block_per_row_multipass_kernelILj256ELj32ELj32E21rocsparse_complex_numIfEEEv20rocsparse_direction_iiiiii21rocsparse_index_base_PKT2_PKiS9_S4_PS5_PiSB_
                                        ; -- End function
	.section	.AMDGPU.csdata,"",@progbits
; Kernel info:
; codeLenInByte = 1824
; NumSgprs: 62
; NumVgprs: 36
; NumAgprs: 0
; TotalNumVgprs: 36
; ScratchSize: 0
; MemoryBound: 0
; FloatMode: 240
; IeeeMode: 1
; LDSByteSize: 8196 bytes/workgroup (compile time only)
; SGPRBlocks: 7
; VGPRBlocks: 4
; NumSGPRsForWavesPerEU: 62
; NumVGPRsForWavesPerEU: 36
; AccumOffset: 36
; Occupancy: 7
; WaveLimiterHint : 0
; COMPUTE_PGM_RSRC2:SCRATCH_EN: 0
; COMPUTE_PGM_RSRC2:USER_SGPR: 2
; COMPUTE_PGM_RSRC2:TRAP_HANDLER: 0
; COMPUTE_PGM_RSRC2:TGID_X_EN: 1
; COMPUTE_PGM_RSRC2:TGID_Y_EN: 0
; COMPUTE_PGM_RSRC2:TGID_Z_EN: 0
; COMPUTE_PGM_RSRC2:TIDIG_COMP_CNT: 0
; COMPUTE_PGM_RSRC3_GFX90A:ACCUM_OFFSET: 8
; COMPUTE_PGM_RSRC3_GFX90A:TG_SPLIT: 0
	.section	.text._ZN9rocsparseL40csr2gebsr_block_per_row_multipass_kernelILj256ELj32ELj64E21rocsparse_complex_numIfEEEv20rocsparse_direction_iiiiii21rocsparse_index_base_PKT2_PKiS9_S4_PS5_PiSB_,"axG",@progbits,_ZN9rocsparseL40csr2gebsr_block_per_row_multipass_kernelILj256ELj32ELj64E21rocsparse_complex_numIfEEEv20rocsparse_direction_iiiiii21rocsparse_index_base_PKT2_PKiS9_S4_PS5_PiSB_,comdat
	.globl	_ZN9rocsparseL40csr2gebsr_block_per_row_multipass_kernelILj256ELj32ELj64E21rocsparse_complex_numIfEEEv20rocsparse_direction_iiiiii21rocsparse_index_base_PKT2_PKiS9_S4_PS5_PiSB_ ; -- Begin function _ZN9rocsparseL40csr2gebsr_block_per_row_multipass_kernelILj256ELj32ELj64E21rocsparse_complex_numIfEEEv20rocsparse_direction_iiiiii21rocsparse_index_base_PKT2_PKiS9_S4_PS5_PiSB_
	.p2align	8
	.type	_ZN9rocsparseL40csr2gebsr_block_per_row_multipass_kernelILj256ELj32ELj64E21rocsparse_complex_numIfEEEv20rocsparse_direction_iiiiii21rocsparse_index_base_PKT2_PKiS9_S4_PS5_PiSB_,@function
_ZN9rocsparseL40csr2gebsr_block_per_row_multipass_kernelILj256ELj32ELj64E21rocsparse_complex_numIfEEEv20rocsparse_direction_iiiiii21rocsparse_index_base_PKT2_PKiS9_S4_PS5_PiSB_: ; @_ZN9rocsparseL40csr2gebsr_block_per_row_multipass_kernelILj256ELj32ELj64E21rocsparse_complex_numIfEEEv20rocsparse_direction_iiiiii21rocsparse_index_base_PKT2_PKiS9_S4_PS5_PiSB_
; %bb.0:
	s_load_dwordx4 s[20:23], s[0:1], 0x10
	s_load_dwordx2 s[6:7], s[0:1], 0x0
	s_load_dwordx2 s[8:9], s[0:1], 0x28
	v_lshrrev_b32_e32 v1, 3, v0
	v_mov_b32_e32 v26, 0
	s_waitcnt lgkmcnt(0)
	s_mul_i32 s3, s2, s21
	v_add_u32_e32 v2, s3, v1
	v_cmp_gt_i32_e64 s[4:5], s7, v2
	v_cmp_gt_i32_e32 vcc, s21, v1
	s_and_b64 s[4:5], vcc, s[4:5]
	v_mov_b32_e32 v33, 0
	s_and_saveexec_b64 s[10:11], s[4:5]
	s_cbranch_execnz .LBB169_3
; %bb.1:
	s_or_b64 exec, exec, s[10:11]
	s_and_saveexec_b64 s[10:11], s[4:5]
	s_cbranch_execnz .LBB169_4
.LBB169_2:
	s_or_b64 exec, exec, s[10:11]
	s_cmp_lt_i32 s20, 1
	s_cbranch_scc0 .LBB169_5
	s_branch .LBB169_49
.LBB169_3:
	v_ashrrev_i32_e32 v3, 31, v2
	v_lshl_add_u64 v[4:5], v[2:3], 2, s[8:9]
	global_load_dword v3, v[4:5], off
	s_waitcnt vmcnt(0)
	v_subrev_u32_e32 v33, s23, v3
	s_or_b64 exec, exec, s[10:11]
	s_and_saveexec_b64 s[10:11], s[4:5]
	s_cbranch_execz .LBB169_2
.LBB169_4:
	v_ashrrev_i32_e32 v3, 31, v2
	v_lshl_add_u64 v[2:3], v[2:3], 2, s[8:9]
	global_load_dword v2, v[2:3], off offset:4
	s_waitcnt vmcnt(0)
	v_subrev_u32_e32 v26, s23, v2
	s_or_b64 exec, exec, s[10:11]
	s_cmp_lt_i32 s20, 1
	s_cbranch_scc1 .LBB169_49
.LBB169_5:
	s_load_dwordx4 s[8:11], s[0:1], 0x40
	s_load_dwordx2 s[24:25], s[0:1], 0x50
	s_load_dword s33, s[0:1], 0x38
	s_ashr_i32 s3, s2, 31
	s_lshl_b64 s[2:3], s[2:3], 2
	s_waitcnt lgkmcnt(0)
	s_add_u32 s2, s10, s2
	s_addc_u32 s3, s11, s3
	s_load_dword s4, s[2:3], 0x0
	s_load_dwordx2 s[26:27], s[0:1], 0x20
	s_load_dwordx2 s[28:29], s[0:1], 0x30
	v_mbcnt_lo_u32_b32 v2, -1, 0
	v_mbcnt_hi_u32_b32 v2, -1, v2
	s_waitcnt lgkmcnt(0)
	s_sub_i32 s30, s4, s33
	v_mul_lo_u32 v6, v1, s22
	v_and_b32_e32 v27, 7, v0
	v_lshl_or_b32 v30, v2, 2, 28
	s_cmp_eq_u32 s6, 0
	v_lshlrev_b32_e32 v2, 3, v1
	v_mov_b32_e32 v3, 0
	v_ashrrev_i32_e32 v7, 31, v6
	s_cselect_b64 s[0:1], -1, 0
	s_ashr_i32 s66, s22, 31
	v_lshl_add_u64 v[4:5], s[8:9], 0, v[2:3]
	v_lshl_add_u64 v[6:7], v[6:7], 3, s[8:9]
	v_lshlrev_b32_e32 v2, 3, v27
	s_mul_hi_u32 s2, s22, s21
	s_mul_i32 s3, s66, s21
	s_mul_i32 s68, s22, s21
	v_lshl_add_u64 v[6:7], v[6:7], 0, v[2:3]
	v_mul_lo_u32 v2, v27, s21
	s_lshl_b32 s31, s21, 3
	s_abs_i32 s21, s22
	v_cvt_f32_u32_e32 v18, s21
	v_lshlrev_b32_e32 v28, 6, v1
	s_add_i32 s67, s2, s3
	s_movk_i32 s2, 0x80
	v_lshlrev_b32_e32 v31, 2, v0
	v_cmp_gt_u32_e64 s[2:3], s2, v0
	v_cmp_gt_u32_e64 s[4:5], 64, v0
	;; [unrolled: 1-line block ×7, first 2 shown]
	v_cmp_eq_u32_e64 s[16:17], 0, v0
	v_or_b32_e32 v0, v28, v27
	v_lshlrev_b32_e32 v32, 3, v0
	v_cmp_gt_u32_e64 s[18:19], s22, v27
	v_or_b32_e32 v0, 8, v27
	v_rcp_iflag_f32_e32 v18, v18
	s_and_b64 s[34:35], vcc, s[18:19]
	v_cmp_gt_u32_e64 s[18:19], s22, v0
	v_or_b32_e32 v8, 16, v27
	s_and_b64 s[36:37], vcc, s[18:19]
	v_cmp_gt_u32_e64 s[18:19], s22, v8
	v_or_b32_e32 v10, 24, v27
	;; [unrolled: 3-line block ×4, first 2 shown]
	v_mul_f32_e32 v18, 0x4f7ffffe, v18
	v_add_u32_e32 v0, s31, v2
	s_and_b64 s[42:43], vcc, s[18:19]
	v_cmp_gt_u32_e64 s[18:19], s22, v14
	v_or_b32_e32 v16, 48, v27
	v_cvt_u32_f32_e32 v20, v18
	v_add_u32_e32 v8, s31, v0
	s_and_b64 s[44:45], vcc, s[18:19]
	v_cmp_gt_u32_e64 s[18:19], s22, v16
	v_or_b32_e32 v19, 56, v27
	v_add_u32_e32 v10, s31, v8
	s_and_b64 s[46:47], vcc, s[18:19]
	v_cmp_gt_u32_e64 s[18:19], s22, v19
	v_add_u32_e32 v12, s31, v10
	s_and_b64 s[48:49], vcc, s[18:19]
	s_sub_i32 s18, 0, s21
	s_mov_b32 s50, 0
	v_add_u32_e32 v14, s31, v12
	v_mul_lo_u32 v21, s18, v20
	v_add_u32_e32 v16, s31, v14
	v_mul_hi_u32 v21, v20, v21
	s_mov_b32 s51, s50
	v_mov_b32_e32 v29, 0
	v_mov_b32_e32 v1, v3
	;; [unrolled: 1-line block ×7, first 2 shown]
	v_add_u32_e32 v18, s31, v16
	v_mov_b32_e32 v19, v3
	v_add_u32_e32 v34, v20, v21
	v_mov_b64_e32 v[20:21], s[50:51]
	s_mov_b64 s[50:51], 0x80
	s_mov_b64 s[52:53], 0xc0
	;; [unrolled: 1-line block ×6, first 2 shown]
	v_mov_b32_e32 v35, 1
	v_mov_b32_e32 v24, 0
	s_branch .LBB169_7
.LBB169_6:                              ;   in Loop: Header=BB169_7 Depth=1
	s_or_b64 exec, exec, s[18:19]
	s_waitcnt lgkmcnt(0)
	s_barrier
	ds_read_b32 v24, v3
	s_add_i32 s30, s31, s30
	s_waitcnt lgkmcnt(0)
	s_barrier
	v_cmp_gt_i32_e32 vcc, s20, v24
	s_cbranch_vccz .LBB169_49
.LBB169_7:                              ; =>This Loop Header: Depth=1
                                        ;     Child Loop BB169_10 Depth 2
	v_add_u32_e32 v22, v33, v27
	v_cmp_lt_i32_e32 vcc, v22, v26
	v_mov_b32_e32 v36, s20
	v_mov_b32_e32 v33, v26
	ds_write_b8 v3, v29 offset:16384
	ds_write2_b64 v32, v[20:21], v[20:21] offset1:8
	ds_write2_b64 v32, v[20:21], v[20:21] offset0:16 offset1:24
	ds_write2_b64 v32, v[20:21], v[20:21] offset0:32 offset1:40
	;; [unrolled: 1-line block ×3, first 2 shown]
	s_waitcnt lgkmcnt(0)
	s_barrier
	s_and_saveexec_b64 s[62:63], vcc
	s_cbranch_execz .LBB169_15
; %bb.8:                                ;   in Loop: Header=BB169_7 Depth=1
	v_mul_lo_u32 v25, v24, s22
	s_mov_b64 s[64:65], 0
	v_mov_b32_e32 v36, s20
	v_mov_b32_e32 v33, v26
	s_branch .LBB169_10
.LBB169_9:                              ;   in Loop: Header=BB169_10 Depth=2
	s_or_b64 exec, exec, s[18:19]
	v_add_u32_e32 v22, 8, v22
	v_cmp_ge_i32_e64 s[18:19], v22, v26
	s_xor_b64 s[70:71], vcc, -1
	s_or_b64 s[18:19], s[70:71], s[18:19]
	s_and_b64 s[18:19], exec, s[18:19]
	s_or_b64 s[64:65], s[18:19], s[64:65]
	s_andn2_b64 exec, exec, s[64:65]
	s_cbranch_execz .LBB169_14
.LBB169_10:                             ;   Parent Loop BB169_7 Depth=1
                                        ; =>  This Inner Loop Header: Depth=2
	v_ashrrev_i32_e32 v23, 31, v22
	v_lshl_add_u64 v[38:39], v[22:23], 2, s[28:29]
	global_load_dword v37, v[38:39], off
	s_waitcnt vmcnt(0)
	v_subrev_u32_e32 v37, s23, v37
	v_sub_u32_e32 v39, 0, v37
	v_max_i32_e32 v39, v37, v39
	v_mul_hi_u32 v40, v39, v34
	v_mul_lo_u32 v41, v40, s21
	v_sub_u32_e32 v39, v39, v41
	v_add_u32_e32 v42, 1, v40
	v_cmp_le_u32_e32 vcc, s21, v39
	v_subrev_u32_e32 v41, s21, v39
	v_ashrrev_i32_e32 v38, 31, v37
	v_cndmask_b32_e32 v40, v40, v42, vcc
	v_cndmask_b32_e32 v39, v39, v41, vcc
	v_add_u32_e32 v41, 1, v40
	v_cmp_le_u32_e32 vcc, s21, v39
	v_xor_b32_e32 v38, s66, v38
	s_nop 0
	v_cndmask_b32_e32 v39, v40, v41, vcc
	v_xor_b32_e32 v39, v39, v38
	v_sub_u32_e32 v39, v39, v38
	v_cmp_eq_u32_e32 vcc, v39, v24
	v_cmp_ne_u32_e64 s[18:19], v39, v24
	v_mov_b32_e32 v38, v33
	s_and_saveexec_b64 s[70:71], s[18:19]
	s_xor_b64 s[18:19], exec, s[70:71]
; %bb.11:                               ;   in Loop: Header=BB169_10 Depth=2
	v_min_i32_e32 v36, v39, v36
                                        ; implicit-def: $vgpr37
                                        ; implicit-def: $vgpr38
; %bb.12:                               ;   in Loop: Header=BB169_10 Depth=2
	s_or_saveexec_b64 s[18:19], s[18:19]
	v_mov_b32_e32 v33, v22
	s_xor_b64 exec, exec, s[18:19]
	s_cbranch_execz .LBB169_9
; %bb.13:                               ;   in Loop: Header=BB169_10 Depth=2
	v_lshl_add_u64 v[40:41], v[22:23], 3, s[26:27]
	global_load_dwordx2 v[40:41], v[40:41], off
	v_sub_u32_e32 v23, v37, v25
	v_add_lshl_u32 v23, v23, v28, 3
	v_mov_b32_e32 v33, v38
	ds_write_b8 v3, v35 offset:16384
	s_waitcnt vmcnt(0)
	ds_write_b64 v23, v[40:41]
	s_branch .LBB169_9
.LBB169_14:                             ;   in Loop: Header=BB169_7 Depth=1
	s_or_b64 exec, exec, s[64:65]
.LBB169_15:                             ;   in Loop: Header=BB169_7 Depth=1
	s_or_b64 exec, exec, s[62:63]
	v_mov_b32_dpp v22, v33 row_shr:1 row_mask:0xf bank_mask:0xf
	v_min_i32_e32 v22, v22, v33
	s_waitcnt lgkmcnt(0)
	s_barrier
	v_mov_b32_dpp v23, v22 row_shr:2 row_mask:0xf bank_mask:0xf
	v_min_i32_e32 v22, v23, v22
	ds_read_u8 v23, v3 offset:16384
	s_nop 0
	v_mov_b32_dpp v25, v22 row_shr:4 row_mask:0xf bank_mask:0xe
	v_min_i32_e32 v22, v25, v22
	ds_bpermute_b32 v33, v30, v22
	s_mov_b32 s31, 0
	s_waitcnt lgkmcnt(1)
	v_cmp_eq_u32_e32 vcc, 0, v23
	s_cbranch_vccnz .LBB169_26
; %bb.16:                               ;   in Loop: Header=BB169_7 Depth=1
	s_ashr_i32 s31, s30, 31
	s_lshl_b64 s[18:19], s[30:31], 2
	s_add_u32 s18, s24, s18
	v_add_u32_e32 v22, s33, v24
	s_addc_u32 s19, s25, s19
	global_store_dword v3, v22, s[18:19]
	s_mul_hi_u32 s18, s68, s30
	s_mul_i32 s19, s68, s31
	s_add_i32 s18, s18, s19
	s_mul_i32 s19, s67, s30
	s_add_i32 s19, s18, s19
	s_mul_i32 s18, s68, s30
	s_lshl_b64 s[18:19], s[18:19], 3
	v_lshl_add_u64 v[22:23], v[4:5], 0, s[18:19]
	v_lshl_add_u64 v[24:25], v[6:7], 0, s[18:19]
	s_and_saveexec_b64 s[18:19], s[34:35]
	s_cbranch_execnz .LBB169_42
; %bb.17:                               ;   in Loop: Header=BB169_7 Depth=1
	s_or_b64 exec, exec, s[18:19]
	s_and_saveexec_b64 s[18:19], s[36:37]
	s_cbranch_execnz .LBB169_43
.LBB169_18:                             ;   in Loop: Header=BB169_7 Depth=1
	s_or_b64 exec, exec, s[18:19]
	s_and_saveexec_b64 s[18:19], s[38:39]
	s_cbranch_execnz .LBB169_44
.LBB169_19:                             ;   in Loop: Header=BB169_7 Depth=1
	s_or_b64 exec, exec, s[18:19]
	s_and_saveexec_b64 s[18:19], s[40:41]
	s_cbranch_execnz .LBB169_45
.LBB169_20:                             ;   in Loop: Header=BB169_7 Depth=1
	s_or_b64 exec, exec, s[18:19]
	s_and_saveexec_b64 s[18:19], s[42:43]
	s_cbranch_execnz .LBB169_46
.LBB169_21:                             ;   in Loop: Header=BB169_7 Depth=1
	s_or_b64 exec, exec, s[18:19]
	s_and_saveexec_b64 s[18:19], s[44:45]
	s_cbranch_execnz .LBB169_47
.LBB169_22:                             ;   in Loop: Header=BB169_7 Depth=1
	s_or_b64 exec, exec, s[18:19]
	s_and_saveexec_b64 s[18:19], s[46:47]
	s_cbranch_execnz .LBB169_48
.LBB169_23:                             ;   in Loop: Header=BB169_7 Depth=1
	s_or_b64 exec, exec, s[18:19]
	s_and_saveexec_b64 s[18:19], s[48:49]
	s_cbranch_execz .LBB169_25
.LBB169_24:                             ;   in Loop: Header=BB169_7 Depth=1
	ds_read_b64 v[38:39], v32 offset:448
	v_lshl_add_u64 v[24:25], v[24:25], 0, s[60:61]
	v_lshl_add_u64 v[22:23], v[18:19], 3, v[22:23]
	v_cndmask_b32_e64 v23, v23, v25, s[0:1]
	v_cndmask_b32_e64 v22, v22, v24, s[0:1]
	s_waitcnt lgkmcnt(0)
	global_store_dwordx2 v[22:23], v[38:39], off
.LBB169_25:                             ;   in Loop: Header=BB169_7 Depth=1
	s_or_b64 exec, exec, s[18:19]
	s_mov_b32 s31, 1
.LBB169_26:                             ;   in Loop: Header=BB169_7 Depth=1
	s_waitcnt lgkmcnt(0)
	s_barrier
	ds_write_b32 v31, v36
	s_waitcnt lgkmcnt(0)
	s_barrier
	s_and_saveexec_b64 s[18:19], s[2:3]
	s_cbranch_execz .LBB169_28
; %bb.27:                               ;   in Loop: Header=BB169_7 Depth=1
	ds_read2st64_b32 v[22:23], v31 offset1:2
	s_waitcnt lgkmcnt(0)
	v_min_i32_e32 v22, v23, v22
	ds_write_b32 v31, v22
.LBB169_28:                             ;   in Loop: Header=BB169_7 Depth=1
	s_or_b64 exec, exec, s[18:19]
	s_waitcnt lgkmcnt(0)
	s_barrier
	s_and_saveexec_b64 s[18:19], s[4:5]
	s_cbranch_execz .LBB169_30
; %bb.29:                               ;   in Loop: Header=BB169_7 Depth=1
	ds_read2st64_b32 v[22:23], v31 offset1:1
	s_waitcnt lgkmcnt(0)
	v_min_i32_e32 v22, v23, v22
	ds_write_b32 v31, v22
.LBB169_30:                             ;   in Loop: Header=BB169_7 Depth=1
	s_or_b64 exec, exec, s[18:19]
	s_waitcnt lgkmcnt(0)
	s_barrier
	s_and_saveexec_b64 s[18:19], s[6:7]
	s_cbranch_execz .LBB169_32
; %bb.31:                               ;   in Loop: Header=BB169_7 Depth=1
	ds_read2_b32 v[22:23], v31 offset1:32
	s_waitcnt lgkmcnt(0)
	v_min_i32_e32 v22, v23, v22
	ds_write_b32 v31, v22
.LBB169_32:                             ;   in Loop: Header=BB169_7 Depth=1
	s_or_b64 exec, exec, s[18:19]
	s_waitcnt lgkmcnt(0)
	s_barrier
	s_and_saveexec_b64 s[18:19], s[8:9]
	s_cbranch_execz .LBB169_34
; %bb.33:                               ;   in Loop: Header=BB169_7 Depth=1
	ds_read2_b32 v[22:23], v31 offset1:16
	s_waitcnt lgkmcnt(0)
	v_min_i32_e32 v22, v23, v22
	ds_write_b32 v31, v22
.LBB169_34:                             ;   in Loop: Header=BB169_7 Depth=1
	s_or_b64 exec, exec, s[18:19]
	s_waitcnt lgkmcnt(0)
	s_barrier
	s_and_saveexec_b64 s[18:19], s[10:11]
	s_cbranch_execz .LBB169_36
; %bb.35:                               ;   in Loop: Header=BB169_7 Depth=1
	ds_read2_b32 v[22:23], v31 offset1:8
	s_waitcnt lgkmcnt(0)
	v_min_i32_e32 v22, v23, v22
	ds_write_b32 v31, v22
.LBB169_36:                             ;   in Loop: Header=BB169_7 Depth=1
	s_or_b64 exec, exec, s[18:19]
	s_waitcnt lgkmcnt(0)
	s_barrier
	s_and_saveexec_b64 s[18:19], s[12:13]
	s_cbranch_execz .LBB169_38
; %bb.37:                               ;   in Loop: Header=BB169_7 Depth=1
	ds_read2_b32 v[22:23], v31 offset1:4
	s_waitcnt lgkmcnt(0)
	v_min_i32_e32 v22, v23, v22
	ds_write_b32 v31, v22
.LBB169_38:                             ;   in Loop: Header=BB169_7 Depth=1
	s_or_b64 exec, exec, s[18:19]
	s_waitcnt lgkmcnt(0)
	s_barrier
	s_and_saveexec_b64 s[18:19], s[14:15]
	s_cbranch_execz .LBB169_40
; %bb.39:                               ;   in Loop: Header=BB169_7 Depth=1
	ds_read2_b32 v[22:23], v31 offset1:2
	s_waitcnt lgkmcnt(0)
	v_min_i32_e32 v22, v23, v22
	ds_write_b32 v31, v22
.LBB169_40:                             ;   in Loop: Header=BB169_7 Depth=1
	s_or_b64 exec, exec, s[18:19]
	s_waitcnt lgkmcnt(0)
	s_barrier
	s_and_saveexec_b64 s[18:19], s[16:17]
	s_cbranch_execz .LBB169_6
; %bb.41:                               ;   in Loop: Header=BB169_7 Depth=1
	ds_read_b64 v[22:23], v3
	s_waitcnt lgkmcnt(0)
	v_min_i32_e32 v22, v23, v22
	ds_write_b32 v3, v22
	s_branch .LBB169_6
.LBB169_42:                             ;   in Loop: Header=BB169_7 Depth=1
	ds_read_b64 v[38:39], v32
	v_lshl_add_u64 v[40:41], v[2:3], 3, v[22:23]
	v_cndmask_b32_e64 v41, v41, v25, s[0:1]
	v_cndmask_b32_e64 v40, v40, v24, s[0:1]
	s_waitcnt lgkmcnt(0)
	global_store_dwordx2 v[40:41], v[38:39], off
	s_or_b64 exec, exec, s[18:19]
	s_and_saveexec_b64 s[18:19], s[36:37]
	s_cbranch_execz .LBB169_18
.LBB169_43:                             ;   in Loop: Header=BB169_7 Depth=1
	ds_read_b64 v[38:39], v32 offset:64
	v_lshl_add_u64 v[40:41], v[24:25], 0, 64
	v_lshl_add_u64 v[42:43], v[0:1], 3, v[22:23]
	v_cndmask_b32_e64 v41, v43, v41, s[0:1]
	v_cndmask_b32_e64 v40, v42, v40, s[0:1]
	s_waitcnt lgkmcnt(0)
	global_store_dwordx2 v[40:41], v[38:39], off
	s_or_b64 exec, exec, s[18:19]
	s_and_saveexec_b64 s[18:19], s[38:39]
	s_cbranch_execz .LBB169_19
.LBB169_44:                             ;   in Loop: Header=BB169_7 Depth=1
	ds_read_b64 v[38:39], v32 offset:128
	v_lshl_add_u64 v[40:41], v[24:25], 0, s[50:51]
	v_lshl_add_u64 v[42:43], v[8:9], 3, v[22:23]
	v_cndmask_b32_e64 v41, v43, v41, s[0:1]
	v_cndmask_b32_e64 v40, v42, v40, s[0:1]
	s_waitcnt lgkmcnt(0)
	global_store_dwordx2 v[40:41], v[38:39], off
	s_or_b64 exec, exec, s[18:19]
	s_and_saveexec_b64 s[18:19], s[40:41]
	s_cbranch_execz .LBB169_20
.LBB169_45:                             ;   in Loop: Header=BB169_7 Depth=1
	ds_read_b64 v[38:39], v32 offset:192
	v_lshl_add_u64 v[40:41], v[24:25], 0, s[52:53]
	v_lshl_add_u64 v[42:43], v[10:11], 3, v[22:23]
	v_cndmask_b32_e64 v41, v43, v41, s[0:1]
	v_cndmask_b32_e64 v40, v42, v40, s[0:1]
	s_waitcnt lgkmcnt(0)
	global_store_dwordx2 v[40:41], v[38:39], off
	s_or_b64 exec, exec, s[18:19]
	s_and_saveexec_b64 s[18:19], s[42:43]
	s_cbranch_execz .LBB169_21
.LBB169_46:                             ;   in Loop: Header=BB169_7 Depth=1
	ds_read_b64 v[38:39], v32 offset:256
	v_lshl_add_u64 v[40:41], v[24:25], 0, s[54:55]
	v_lshl_add_u64 v[42:43], v[12:13], 3, v[22:23]
	v_cndmask_b32_e64 v41, v43, v41, s[0:1]
	v_cndmask_b32_e64 v40, v42, v40, s[0:1]
	s_waitcnt lgkmcnt(0)
	global_store_dwordx2 v[40:41], v[38:39], off
	s_or_b64 exec, exec, s[18:19]
	s_and_saveexec_b64 s[18:19], s[44:45]
	s_cbranch_execz .LBB169_22
.LBB169_47:                             ;   in Loop: Header=BB169_7 Depth=1
	ds_read_b64 v[38:39], v32 offset:320
	v_lshl_add_u64 v[40:41], v[24:25], 0, s[56:57]
	v_lshl_add_u64 v[42:43], v[14:15], 3, v[22:23]
	v_cndmask_b32_e64 v41, v43, v41, s[0:1]
	v_cndmask_b32_e64 v40, v42, v40, s[0:1]
	s_waitcnt lgkmcnt(0)
	global_store_dwordx2 v[40:41], v[38:39], off
	s_or_b64 exec, exec, s[18:19]
	s_and_saveexec_b64 s[18:19], s[46:47]
	s_cbranch_execz .LBB169_23
.LBB169_48:                             ;   in Loop: Header=BB169_7 Depth=1
	ds_read_b64 v[38:39], v32 offset:384
	v_lshl_add_u64 v[40:41], v[24:25], 0, s[58:59]
	v_lshl_add_u64 v[42:43], v[16:17], 3, v[22:23]
	v_cndmask_b32_e64 v41, v43, v41, s[0:1]
	v_cndmask_b32_e64 v40, v42, v40, s[0:1]
	s_waitcnt lgkmcnt(0)
	global_store_dwordx2 v[40:41], v[38:39], off
	s_or_b64 exec, exec, s[18:19]
	s_and_saveexec_b64 s[18:19], s[48:49]
	s_cbranch_execnz .LBB169_24
	s_branch .LBB169_25
.LBB169_49:
	s_endpgm
	.section	.rodata,"a",@progbits
	.p2align	6, 0x0
	.amdhsa_kernel _ZN9rocsparseL40csr2gebsr_block_per_row_multipass_kernelILj256ELj32ELj64E21rocsparse_complex_numIfEEEv20rocsparse_direction_iiiiii21rocsparse_index_base_PKT2_PKiS9_S4_PS5_PiSB_
		.amdhsa_group_segment_fixed_size 16388
		.amdhsa_private_segment_fixed_size 0
		.amdhsa_kernarg_size 88
		.amdhsa_user_sgpr_count 2
		.amdhsa_user_sgpr_dispatch_ptr 0
		.amdhsa_user_sgpr_queue_ptr 0
		.amdhsa_user_sgpr_kernarg_segment_ptr 1
		.amdhsa_user_sgpr_dispatch_id 0
		.amdhsa_user_sgpr_kernarg_preload_length 0
		.amdhsa_user_sgpr_kernarg_preload_offset 0
		.amdhsa_user_sgpr_private_segment_size 0
		.amdhsa_uses_dynamic_stack 0
		.amdhsa_enable_private_segment 0
		.amdhsa_system_sgpr_workgroup_id_x 1
		.amdhsa_system_sgpr_workgroup_id_y 0
		.amdhsa_system_sgpr_workgroup_id_z 0
		.amdhsa_system_sgpr_workgroup_info 0
		.amdhsa_system_vgpr_workitem_id 0
		.amdhsa_next_free_vgpr 44
		.amdhsa_next_free_sgpr 72
		.amdhsa_accum_offset 44
		.amdhsa_reserve_vcc 1
		.amdhsa_float_round_mode_32 0
		.amdhsa_float_round_mode_16_64 0
		.amdhsa_float_denorm_mode_32 3
		.amdhsa_float_denorm_mode_16_64 3
		.amdhsa_dx10_clamp 1
		.amdhsa_ieee_mode 1
		.amdhsa_fp16_overflow 0
		.amdhsa_tg_split 0
		.amdhsa_exception_fp_ieee_invalid_op 0
		.amdhsa_exception_fp_denorm_src 0
		.amdhsa_exception_fp_ieee_div_zero 0
		.amdhsa_exception_fp_ieee_overflow 0
		.amdhsa_exception_fp_ieee_underflow 0
		.amdhsa_exception_fp_ieee_inexact 0
		.amdhsa_exception_int_div_zero 0
	.end_amdhsa_kernel
	.section	.text._ZN9rocsparseL40csr2gebsr_block_per_row_multipass_kernelILj256ELj32ELj64E21rocsparse_complex_numIfEEEv20rocsparse_direction_iiiiii21rocsparse_index_base_PKT2_PKiS9_S4_PS5_PiSB_,"axG",@progbits,_ZN9rocsparseL40csr2gebsr_block_per_row_multipass_kernelILj256ELj32ELj64E21rocsparse_complex_numIfEEEv20rocsparse_direction_iiiiii21rocsparse_index_base_PKT2_PKiS9_S4_PS5_PiSB_,comdat
.Lfunc_end169:
	.size	_ZN9rocsparseL40csr2gebsr_block_per_row_multipass_kernelILj256ELj32ELj64E21rocsparse_complex_numIfEEEv20rocsparse_direction_iiiiii21rocsparse_index_base_PKT2_PKiS9_S4_PS5_PiSB_, .Lfunc_end169-_ZN9rocsparseL40csr2gebsr_block_per_row_multipass_kernelILj256ELj32ELj64E21rocsparse_complex_numIfEEEv20rocsparse_direction_iiiiii21rocsparse_index_base_PKT2_PKiS9_S4_PS5_PiSB_
                                        ; -- End function
	.section	.AMDGPU.csdata,"",@progbits
; Kernel info:
; codeLenInByte = 2272
; NumSgprs: 78
; NumVgprs: 44
; NumAgprs: 0
; TotalNumVgprs: 44
; ScratchSize: 0
; MemoryBound: 0
; FloatMode: 240
; IeeeMode: 1
; LDSByteSize: 16388 bytes/workgroup (compile time only)
; SGPRBlocks: 9
; VGPRBlocks: 5
; NumSGPRsForWavesPerEU: 78
; NumVGPRsForWavesPerEU: 44
; AccumOffset: 44
; Occupancy: 3
; WaveLimiterHint : 0
; COMPUTE_PGM_RSRC2:SCRATCH_EN: 0
; COMPUTE_PGM_RSRC2:USER_SGPR: 2
; COMPUTE_PGM_RSRC2:TRAP_HANDLER: 0
; COMPUTE_PGM_RSRC2:TGID_X_EN: 1
; COMPUTE_PGM_RSRC2:TGID_Y_EN: 0
; COMPUTE_PGM_RSRC2:TGID_Z_EN: 0
; COMPUTE_PGM_RSRC2:TIDIG_COMP_CNT: 0
; COMPUTE_PGM_RSRC3_GFX90A:ACCUM_OFFSET: 10
; COMPUTE_PGM_RSRC3_GFX90A:TG_SPLIT: 0
	.section	.text._ZN9rocsparseL40csr2gebsr_block_per_row_multipass_kernelILj128ELj64ELj2E21rocsparse_complex_numIfEEEv20rocsparse_direction_iiiiii21rocsparse_index_base_PKT2_PKiS9_S4_PS5_PiSB_,"axG",@progbits,_ZN9rocsparseL40csr2gebsr_block_per_row_multipass_kernelILj128ELj64ELj2E21rocsparse_complex_numIfEEEv20rocsparse_direction_iiiiii21rocsparse_index_base_PKT2_PKiS9_S4_PS5_PiSB_,comdat
	.globl	_ZN9rocsparseL40csr2gebsr_block_per_row_multipass_kernelILj128ELj64ELj2E21rocsparse_complex_numIfEEEv20rocsparse_direction_iiiiii21rocsparse_index_base_PKT2_PKiS9_S4_PS5_PiSB_ ; -- Begin function _ZN9rocsparseL40csr2gebsr_block_per_row_multipass_kernelILj128ELj64ELj2E21rocsparse_complex_numIfEEEv20rocsparse_direction_iiiiii21rocsparse_index_base_PKT2_PKiS9_S4_PS5_PiSB_
	.p2align	8
	.type	_ZN9rocsparseL40csr2gebsr_block_per_row_multipass_kernelILj128ELj64ELj2E21rocsparse_complex_numIfEEEv20rocsparse_direction_iiiiii21rocsparse_index_base_PKT2_PKiS9_S4_PS5_PiSB_,@function
_ZN9rocsparseL40csr2gebsr_block_per_row_multipass_kernelILj128ELj64ELj2E21rocsparse_complex_numIfEEEv20rocsparse_direction_iiiiii21rocsparse_index_base_PKT2_PKiS9_S4_PS5_PiSB_: ; @_ZN9rocsparseL40csr2gebsr_block_per_row_multipass_kernelILj128ELj64ELj2E21rocsparse_complex_numIfEEEv20rocsparse_direction_iiiiii21rocsparse_index_base_PKT2_PKiS9_S4_PS5_PiSB_
; %bb.0:
	s_load_dwordx4 s[16:19], s[0:1], 0x10
	s_load_dwordx2 s[8:9], s[0:1], 0x0
	s_load_dwordx2 s[6:7], s[0:1], 0x28
	v_lshrrev_b32_e32 v1, 1, v0
	v_mov_b32_e32 v6, 0
	s_waitcnt lgkmcnt(0)
	s_mul_i32 s3, s2, s17
	v_add_u32_e32 v2, s3, v1
	v_cmp_gt_i32_e64 s[4:5], s9, v2
	v_cmp_gt_i32_e32 vcc, s17, v1
	s_and_b64 s[4:5], vcc, s[4:5]
	v_mov_b32_e32 v4, 0
	s_and_saveexec_b64 s[10:11], s[4:5]
	s_cbranch_execnz .LBB170_3
; %bb.1:
	s_or_b64 exec, exec, s[10:11]
	s_and_saveexec_b64 s[10:11], s[4:5]
	s_cbranch_execnz .LBB170_4
.LBB170_2:
	s_or_b64 exec, exec, s[10:11]
	s_cmp_lt_i32 s16, 1
	s_cbranch_scc0 .LBB170_5
	s_branch .LBB170_33
.LBB170_3:
	v_ashrrev_i32_e32 v3, 31, v2
	v_lshl_add_u64 v[4:5], v[2:3], 2, s[6:7]
	global_load_dword v3, v[4:5], off
	s_waitcnt vmcnt(0)
	v_subrev_u32_e32 v4, s19, v3
	s_or_b64 exec, exec, s[10:11]
	s_and_saveexec_b64 s[10:11], s[4:5]
	s_cbranch_execz .LBB170_2
.LBB170_4:
	v_ashrrev_i32_e32 v3, 31, v2
	v_lshl_add_u64 v[2:3], v[2:3], 2, s[6:7]
	global_load_dword v2, v[2:3], off offset:4
	s_waitcnt vmcnt(0)
	v_subrev_u32_e32 v6, s19, v2
	s_or_b64 exec, exec, s[10:11]
	s_cmp_lt_i32 s16, 1
	s_cbranch_scc1 .LBB170_33
.LBB170_5:
	s_load_dwordx4 s[4:7], s[0:1], 0x40
	s_load_dwordx2 s[20:21], s[0:1], 0x50
	s_load_dword s33, s[0:1], 0x38
	s_ashr_i32 s3, s2, 31
	s_lshl_b64 s[2:3], s[2:3], 2
	s_waitcnt lgkmcnt(0)
	s_add_u32 s2, s6, s2
	s_addc_u32 s3, s7, s3
	s_load_dword s6, s[2:3], 0x0
	s_load_dwordx2 s[22:23], s[0:1], 0x20
	s_load_dwordx2 s[24:25], s[0:1], 0x30
	v_and_b32_e32 v7, 1, v0
	v_mov_b32_e32 v2, 0
	v_cmp_gt_u32_e64 s[0:1], s18, v7
	s_waitcnt lgkmcnt(0)
	s_sub_i32 s26, s6, s33
	s_and_b64 s[28:29], vcc, s[0:1]
	v_mul_lo_u32 v12, v7, s17
	v_mov_b32_e32 v13, v2
	s_cmp_eq_u32 s8, 0
	v_lshl_add_u64 v[12:13], v[12:13], 3, s[4:5]
	v_lshlrev_b32_e32 v14, 3, v1
	v_mov_b32_e32 v15, v2
	v_lshl_add_u64 v[12:13], v[12:13], 0, v[14:15]
	v_mul_lo_u32 v14, v1, s18
	s_cselect_b64 vcc, -1, 0
	v_lshlrev_b32_e32 v1, 2, v0
	s_abs_i32 s38, s18
	v_sub_u32_e32 v5, 0, v1
	v_cvt_f32_u32_e32 v1, s38
	s_ashr_i32 s36, s18, 31
	v_mbcnt_lo_u32_b32 v3, -1, 0
	v_ashrrev_i32_e32 v15, 31, v14
	v_rcp_iflag_f32_e32 v1, v1
	s_mul_hi_u32 s0, s18, s17
	s_mul_i32 s1, s36, s17
	v_lshlrev_b32_e32 v8, 3, v0
	v_and_b32_e32 v9, 0x7e, v0
	v_mbcnt_hi_u32_b32 v3, -1, v3
	v_lshl_add_u64 v[14:15], v[14:15], 3, s[4:5]
	s_add_i32 s37, s0, s1
	v_cmp_gt_u32_e64 s[0:1], 64, v0
	v_cmp_gt_u32_e64 s[2:3], 32, v0
	;; [unrolled: 1-line block ×6, first 2 shown]
	v_cmp_eq_u32_e64 s[12:13], 0, v0
	v_mul_f32_e32 v0, 0x4f7ffffe, v1
	v_lshl_or_b32 v10, v3, 2, 4
	v_cvt_u32_f32_e32 v3, v0
	s_sub_i32 s14, 0, s38
	v_lshlrev_b32_e32 v16, 3, v7
	v_mov_b32_e32 v17, v2
	v_mul_lo_u32 v11, s14, v3
	v_lshl_add_u64 v[14:15], v[14:15], 0, v[16:17]
	v_mul_hi_u32 v11, v3, v11
	s_mul_i32 s17, s18, s17
	v_cndmask_b32_e32 v1, v13, v15, vcc
	v_cndmask_b32_e32 v0, v12, v14, vcc
	v_add_u32_e32 v11, v3, v11
	v_mov_b32_e32 v3, v2
	v_add_u32_e32 v12, v8, v5
	v_mov_b32_e32 v13, 1
	v_mov_b32_e32 v15, v2
	s_branch .LBB170_7
.LBB170_6:                              ;   in Loop: Header=BB170_7 Depth=1
	s_or_b64 exec, exec, s[14:15]
	s_waitcnt lgkmcnt(0)
	s_barrier
	ds_read_b32 v15, v2
	s_add_i32 s26, s27, s26
	s_waitcnt lgkmcnt(0)
	s_barrier
	v_cmp_gt_i32_e32 vcc, s16, v15
	s_cbranch_vccz .LBB170_33
.LBB170_7:                              ; =>This Loop Header: Depth=1
                                        ;     Child Loop BB170_10 Depth 2
	v_add_u32_e32 v4, v4, v7
	v_cmp_lt_i32_e32 vcc, v4, v6
	v_mov_b32_e32 v14, s16
	v_mov_b32_e32 v17, v6
	ds_write_b8 v2, v2 offset:1024
	ds_write_b64 v8, v[2:3]
	s_waitcnt lgkmcnt(0)
	s_barrier
	s_and_saveexec_b64 s[30:31], vcc
	s_cbranch_execz .LBB170_15
; %bb.8:                                ;   in Loop: Header=BB170_7 Depth=1
	v_mul_lo_u32 v16, v15, s18
	s_mov_b64 s[34:35], 0
	v_mov_b32_e32 v14, s16
	v_mov_b32_e32 v17, v6
	s_branch .LBB170_10
.LBB170_9:                              ;   in Loop: Header=BB170_10 Depth=2
	s_or_b64 exec, exec, s[14:15]
	v_add_u32_e32 v4, 2, v4
	v_cmp_ge_i32_e64 s[14:15], v4, v6
	s_xor_b64 s[40:41], vcc, -1
	s_or_b64 s[14:15], s[40:41], s[14:15]
	s_and_b64 s[14:15], exec, s[14:15]
	s_or_b64 s[34:35], s[14:15], s[34:35]
	s_andn2_b64 exec, exec, s[34:35]
	s_cbranch_execz .LBB170_14
.LBB170_10:                             ;   Parent Loop BB170_7 Depth=1
                                        ; =>  This Inner Loop Header: Depth=2
	v_ashrrev_i32_e32 v5, 31, v4
	v_lshl_add_u64 v[18:19], v[4:5], 2, s[24:25]
	global_load_dword v18, v[18:19], off
	s_waitcnt vmcnt(0)
	v_subrev_u32_e32 v18, s19, v18
	v_sub_u32_e32 v20, 0, v18
	v_max_i32_e32 v20, v18, v20
	v_mul_hi_u32 v21, v20, v11
	v_mul_lo_u32 v22, v21, s38
	v_sub_u32_e32 v20, v20, v22
	v_add_u32_e32 v23, 1, v21
	v_cmp_le_u32_e32 vcc, s38, v20
	v_subrev_u32_e32 v22, s38, v20
	v_ashrrev_i32_e32 v19, 31, v18
	v_cndmask_b32_e32 v21, v21, v23, vcc
	v_cndmask_b32_e32 v20, v20, v22, vcc
	v_add_u32_e32 v22, 1, v21
	v_cmp_le_u32_e32 vcc, s38, v20
	v_xor_b32_e32 v19, s36, v19
	s_nop 0
	v_cndmask_b32_e32 v20, v21, v22, vcc
	v_xor_b32_e32 v20, v20, v19
	v_sub_u32_e32 v20, v20, v19
	v_cmp_eq_u32_e32 vcc, v20, v15
	v_cmp_ne_u32_e64 s[14:15], v20, v15
	v_mov_b32_e32 v19, v17
	s_and_saveexec_b64 s[40:41], s[14:15]
	s_xor_b64 s[14:15], exec, s[40:41]
; %bb.11:                               ;   in Loop: Header=BB170_10 Depth=2
	v_min_i32_e32 v14, v20, v14
                                        ; implicit-def: $vgpr18
                                        ; implicit-def: $vgpr19
; %bb.12:                               ;   in Loop: Header=BB170_10 Depth=2
	s_or_saveexec_b64 s[14:15], s[14:15]
	v_mov_b32_e32 v17, v4
	s_xor_b64 exec, exec, s[14:15]
	s_cbranch_execz .LBB170_9
; %bb.13:                               ;   in Loop: Header=BB170_10 Depth=2
	v_lshl_add_u64 v[20:21], v[4:5], 3, s[22:23]
	global_load_dwordx2 v[20:21], v[20:21], off
	v_sub_u32_e32 v5, v18, v16
	v_add_lshl_u32 v5, v5, v9, 3
	v_mov_b32_e32 v17, v19
	ds_write_b8 v2, v13 offset:1024
	s_waitcnt vmcnt(0)
	ds_write_b64 v5, v[20:21]
	s_branch .LBB170_9
.LBB170_14:                             ;   in Loop: Header=BB170_7 Depth=1
	s_or_b64 exec, exec, s[34:35]
.LBB170_15:                             ;   in Loop: Header=BB170_7 Depth=1
	s_or_b64 exec, exec, s[30:31]
	s_waitcnt lgkmcnt(0)
	s_barrier
	ds_read_u8 v5, v2 offset:1024
	v_mov_b32_dpp v4, v17 row_shr:1 row_mask:0xf bank_mask:0xf
	v_min_i32_e32 v4, v4, v17
	ds_bpermute_b32 v4, v10, v4
	s_mov_b32 s27, 0
	s_waitcnt lgkmcnt(1)
	v_cmp_eq_u32_e32 vcc, 0, v5
	s_cbranch_vccnz .LBB170_19
; %bb.16:                               ;   in Loop: Header=BB170_7 Depth=1
	s_ashr_i32 s27, s26, 31
	s_lshl_b64 s[14:15], s[26:27], 2
	s_add_u32 s14, s20, s14
	v_add_u32_e32 v5, s33, v15
	s_addc_u32 s15, s21, s15
	global_store_dword v2, v5, s[14:15]
	s_and_saveexec_b64 s[14:15], s[28:29]
	s_cbranch_execz .LBB170_18
; %bb.17:                               ;   in Loop: Header=BB170_7 Depth=1
	ds_read_b64 v[16:17], v8
	s_mul_i32 s27, s17, s27
	s_mul_hi_u32 s30, s17, s26
	s_add_i32 s27, s30, s27
	s_mul_i32 s30, s37, s26
	s_add_i32 s31, s27, s30
	s_mul_i32 s30, s17, s26
	v_lshl_add_u64 v[18:19], s[30:31], 3, v[0:1]
	s_waitcnt lgkmcnt(0)
	global_store_dwordx2 v[18:19], v[16:17], off
.LBB170_18:                             ;   in Loop: Header=BB170_7 Depth=1
	s_or_b64 exec, exec, s[14:15]
	s_mov_b32 s27, 1
.LBB170_19:                             ;   in Loop: Header=BB170_7 Depth=1
	s_waitcnt lgkmcnt(0)
	s_barrier
	ds_write_b32 v12, v14
	s_waitcnt lgkmcnt(0)
	s_barrier
	s_and_saveexec_b64 s[14:15], s[0:1]
	s_cbranch_execz .LBB170_21
; %bb.20:                               ;   in Loop: Header=BB170_7 Depth=1
	ds_read2st64_b32 v[14:15], v12 offset1:1
	s_waitcnt lgkmcnt(0)
	v_min_i32_e32 v5, v15, v14
	ds_write_b32 v12, v5
.LBB170_21:                             ;   in Loop: Header=BB170_7 Depth=1
	s_or_b64 exec, exec, s[14:15]
	s_waitcnt lgkmcnt(0)
	s_barrier
	s_and_saveexec_b64 s[14:15], s[2:3]
	s_cbranch_execz .LBB170_23
; %bb.22:                               ;   in Loop: Header=BB170_7 Depth=1
	ds_read2_b32 v[14:15], v12 offset1:32
	s_waitcnt lgkmcnt(0)
	v_min_i32_e32 v5, v15, v14
	ds_write_b32 v12, v5
.LBB170_23:                             ;   in Loop: Header=BB170_7 Depth=1
	s_or_b64 exec, exec, s[14:15]
	s_waitcnt lgkmcnt(0)
	s_barrier
	s_and_saveexec_b64 s[14:15], s[4:5]
	s_cbranch_execz .LBB170_25
; %bb.24:                               ;   in Loop: Header=BB170_7 Depth=1
	ds_read2_b32 v[14:15], v12 offset1:16
	s_waitcnt lgkmcnt(0)
	v_min_i32_e32 v5, v15, v14
	ds_write_b32 v12, v5
.LBB170_25:                             ;   in Loop: Header=BB170_7 Depth=1
	s_or_b64 exec, exec, s[14:15]
	s_waitcnt lgkmcnt(0)
	s_barrier
	s_and_saveexec_b64 s[14:15], s[6:7]
	s_cbranch_execz .LBB170_27
; %bb.26:                               ;   in Loop: Header=BB170_7 Depth=1
	ds_read2_b32 v[14:15], v12 offset1:8
	s_waitcnt lgkmcnt(0)
	v_min_i32_e32 v5, v15, v14
	ds_write_b32 v12, v5
.LBB170_27:                             ;   in Loop: Header=BB170_7 Depth=1
	s_or_b64 exec, exec, s[14:15]
	s_waitcnt lgkmcnt(0)
	s_barrier
	s_and_saveexec_b64 s[14:15], s[8:9]
	s_cbranch_execz .LBB170_29
; %bb.28:                               ;   in Loop: Header=BB170_7 Depth=1
	ds_read2_b32 v[14:15], v12 offset1:4
	s_waitcnt lgkmcnt(0)
	v_min_i32_e32 v5, v15, v14
	ds_write_b32 v12, v5
.LBB170_29:                             ;   in Loop: Header=BB170_7 Depth=1
	s_or_b64 exec, exec, s[14:15]
	s_waitcnt lgkmcnt(0)
	s_barrier
	s_and_saveexec_b64 s[14:15], s[10:11]
	s_cbranch_execz .LBB170_31
; %bb.30:                               ;   in Loop: Header=BB170_7 Depth=1
	ds_read2_b32 v[14:15], v12 offset1:2
	s_waitcnt lgkmcnt(0)
	v_min_i32_e32 v5, v15, v14
	ds_write_b32 v12, v5
.LBB170_31:                             ;   in Loop: Header=BB170_7 Depth=1
	s_or_b64 exec, exec, s[14:15]
	s_waitcnt lgkmcnt(0)
	s_barrier
	s_and_saveexec_b64 s[14:15], s[12:13]
	s_cbranch_execz .LBB170_6
; %bb.32:                               ;   in Loop: Header=BB170_7 Depth=1
	ds_read_b64 v[14:15], v2
	s_waitcnt lgkmcnt(0)
	v_min_i32_e32 v5, v15, v14
	ds_write_b32 v2, v5
	s_branch .LBB170_6
.LBB170_33:
	s_endpgm
	.section	.rodata,"a",@progbits
	.p2align	6, 0x0
	.amdhsa_kernel _ZN9rocsparseL40csr2gebsr_block_per_row_multipass_kernelILj128ELj64ELj2E21rocsparse_complex_numIfEEEv20rocsparse_direction_iiiiii21rocsparse_index_base_PKT2_PKiS9_S4_PS5_PiSB_
		.amdhsa_group_segment_fixed_size 1028
		.amdhsa_private_segment_fixed_size 0
		.amdhsa_kernarg_size 88
		.amdhsa_user_sgpr_count 2
		.amdhsa_user_sgpr_dispatch_ptr 0
		.amdhsa_user_sgpr_queue_ptr 0
		.amdhsa_user_sgpr_kernarg_segment_ptr 1
		.amdhsa_user_sgpr_dispatch_id 0
		.amdhsa_user_sgpr_kernarg_preload_length 0
		.amdhsa_user_sgpr_kernarg_preload_offset 0
		.amdhsa_user_sgpr_private_segment_size 0
		.amdhsa_uses_dynamic_stack 0
		.amdhsa_enable_private_segment 0
		.amdhsa_system_sgpr_workgroup_id_x 1
		.amdhsa_system_sgpr_workgroup_id_y 0
		.amdhsa_system_sgpr_workgroup_id_z 0
		.amdhsa_system_sgpr_workgroup_info 0
		.amdhsa_system_vgpr_workitem_id 0
		.amdhsa_next_free_vgpr 24
		.amdhsa_next_free_sgpr 42
		.amdhsa_accum_offset 24
		.amdhsa_reserve_vcc 1
		.amdhsa_float_round_mode_32 0
		.amdhsa_float_round_mode_16_64 0
		.amdhsa_float_denorm_mode_32 3
		.amdhsa_float_denorm_mode_16_64 3
		.amdhsa_dx10_clamp 1
		.amdhsa_ieee_mode 1
		.amdhsa_fp16_overflow 0
		.amdhsa_tg_split 0
		.amdhsa_exception_fp_ieee_invalid_op 0
		.amdhsa_exception_fp_denorm_src 0
		.amdhsa_exception_fp_ieee_div_zero 0
		.amdhsa_exception_fp_ieee_overflow 0
		.amdhsa_exception_fp_ieee_underflow 0
		.amdhsa_exception_fp_ieee_inexact 0
		.amdhsa_exception_int_div_zero 0
	.end_amdhsa_kernel
	.section	.text._ZN9rocsparseL40csr2gebsr_block_per_row_multipass_kernelILj128ELj64ELj2E21rocsparse_complex_numIfEEEv20rocsparse_direction_iiiiii21rocsparse_index_base_PKT2_PKiS9_S4_PS5_PiSB_,"axG",@progbits,_ZN9rocsparseL40csr2gebsr_block_per_row_multipass_kernelILj128ELj64ELj2E21rocsparse_complex_numIfEEEv20rocsparse_direction_iiiiii21rocsparse_index_base_PKT2_PKiS9_S4_PS5_PiSB_,comdat
.Lfunc_end170:
	.size	_ZN9rocsparseL40csr2gebsr_block_per_row_multipass_kernelILj128ELj64ELj2E21rocsparse_complex_numIfEEEv20rocsparse_direction_iiiiii21rocsparse_index_base_PKT2_PKiS9_S4_PS5_PiSB_, .Lfunc_end170-_ZN9rocsparseL40csr2gebsr_block_per_row_multipass_kernelILj128ELj64ELj2E21rocsparse_complex_numIfEEEv20rocsparse_direction_iiiiii21rocsparse_index_base_PKT2_PKiS9_S4_PS5_PiSB_
                                        ; -- End function
	.section	.AMDGPU.csdata,"",@progbits
; Kernel info:
; codeLenInByte = 1396
; NumSgprs: 48
; NumVgprs: 24
; NumAgprs: 0
; TotalNumVgprs: 24
; ScratchSize: 0
; MemoryBound: 0
; FloatMode: 240
; IeeeMode: 1
; LDSByteSize: 1028 bytes/workgroup (compile time only)
; SGPRBlocks: 5
; VGPRBlocks: 2
; NumSGPRsForWavesPerEU: 48
; NumVGPRsForWavesPerEU: 24
; AccumOffset: 24
; Occupancy: 8
; WaveLimiterHint : 0
; COMPUTE_PGM_RSRC2:SCRATCH_EN: 0
; COMPUTE_PGM_RSRC2:USER_SGPR: 2
; COMPUTE_PGM_RSRC2:TRAP_HANDLER: 0
; COMPUTE_PGM_RSRC2:TGID_X_EN: 1
; COMPUTE_PGM_RSRC2:TGID_Y_EN: 0
; COMPUTE_PGM_RSRC2:TGID_Z_EN: 0
; COMPUTE_PGM_RSRC2:TIDIG_COMP_CNT: 0
; COMPUTE_PGM_RSRC3_GFX90A:ACCUM_OFFSET: 5
; COMPUTE_PGM_RSRC3_GFX90A:TG_SPLIT: 0
	.section	.text._ZN9rocsparseL40csr2gebsr_block_per_row_multipass_kernelILj256ELj64ELj4E21rocsparse_complex_numIfEEEv20rocsparse_direction_iiiiii21rocsparse_index_base_PKT2_PKiS9_S4_PS5_PiSB_,"axG",@progbits,_ZN9rocsparseL40csr2gebsr_block_per_row_multipass_kernelILj256ELj64ELj4E21rocsparse_complex_numIfEEEv20rocsparse_direction_iiiiii21rocsparse_index_base_PKT2_PKiS9_S4_PS5_PiSB_,comdat
	.globl	_ZN9rocsparseL40csr2gebsr_block_per_row_multipass_kernelILj256ELj64ELj4E21rocsparse_complex_numIfEEEv20rocsparse_direction_iiiiii21rocsparse_index_base_PKT2_PKiS9_S4_PS5_PiSB_ ; -- Begin function _ZN9rocsparseL40csr2gebsr_block_per_row_multipass_kernelILj256ELj64ELj4E21rocsparse_complex_numIfEEEv20rocsparse_direction_iiiiii21rocsparse_index_base_PKT2_PKiS9_S4_PS5_PiSB_
	.p2align	8
	.type	_ZN9rocsparseL40csr2gebsr_block_per_row_multipass_kernelILj256ELj64ELj4E21rocsparse_complex_numIfEEEv20rocsparse_direction_iiiiii21rocsparse_index_base_PKT2_PKiS9_S4_PS5_PiSB_,@function
_ZN9rocsparseL40csr2gebsr_block_per_row_multipass_kernelILj256ELj64ELj4E21rocsparse_complex_numIfEEEv20rocsparse_direction_iiiiii21rocsparse_index_base_PKT2_PKiS9_S4_PS5_PiSB_: ; @_ZN9rocsparseL40csr2gebsr_block_per_row_multipass_kernelILj256ELj64ELj4E21rocsparse_complex_numIfEEEv20rocsparse_direction_iiiiii21rocsparse_index_base_PKT2_PKiS9_S4_PS5_PiSB_
; %bb.0:
	s_load_dwordx4 s[20:23], s[0:1], 0x10
	s_load_dwordx2 s[8:9], s[0:1], 0x0
	s_load_dwordx2 s[6:7], s[0:1], 0x28
	v_lshrrev_b32_e32 v1, 2, v0
	v_mov_b32_e32 v6, 0
	s_waitcnt lgkmcnt(0)
	s_mul_i32 s3, s2, s21
	v_add_u32_e32 v2, s3, v1
	v_cmp_gt_i32_e64 s[4:5], s9, v2
	v_cmp_gt_i32_e32 vcc, s21, v1
	s_and_b64 s[4:5], vcc, s[4:5]
	v_mov_b32_e32 v4, 0
	s_and_saveexec_b64 s[10:11], s[4:5]
	s_cbranch_execnz .LBB171_3
; %bb.1:
	s_or_b64 exec, exec, s[10:11]
	s_and_saveexec_b64 s[10:11], s[4:5]
	s_cbranch_execnz .LBB171_4
.LBB171_2:
	s_or_b64 exec, exec, s[10:11]
	s_cmp_lt_i32 s20, 1
	s_cbranch_scc0 .LBB171_5
	s_branch .LBB171_35
.LBB171_3:
	v_ashrrev_i32_e32 v3, 31, v2
	v_lshl_add_u64 v[4:5], v[2:3], 2, s[6:7]
	global_load_dword v3, v[4:5], off
	s_waitcnt vmcnt(0)
	v_subrev_u32_e32 v4, s23, v3
	s_or_b64 exec, exec, s[10:11]
	s_and_saveexec_b64 s[10:11], s[4:5]
	s_cbranch_execz .LBB171_2
.LBB171_4:
	v_ashrrev_i32_e32 v3, 31, v2
	v_lshl_add_u64 v[2:3], v[2:3], 2, s[6:7]
	global_load_dword v2, v[2:3], off offset:4
	s_waitcnt vmcnt(0)
	v_subrev_u32_e32 v6, s23, v2
	s_or_b64 exec, exec, s[10:11]
	s_cmp_lt_i32 s20, 1
	s_cbranch_scc1 .LBB171_35
.LBB171_5:
	s_load_dwordx4 s[4:7], s[0:1], 0x40
	s_load_dwordx2 s[18:19], s[0:1], 0x50
	s_load_dword s33, s[0:1], 0x38
	s_ashr_i32 s3, s2, 31
	s_lshl_b64 s[2:3], s[2:3], 2
	s_waitcnt lgkmcnt(0)
	s_add_u32 s2, s6, s2
	s_addc_u32 s3, s7, s3
	s_load_dword s6, s[2:3], 0x0
	s_load_dwordx2 s[24:25], s[0:1], 0x20
	s_load_dwordx2 s[26:27], s[0:1], 0x30
	v_and_b32_e32 v7, 3, v0
	v_mov_b32_e32 v2, 0
	v_cmp_gt_u32_e64 s[0:1], s22, v7
	s_waitcnt lgkmcnt(0)
	s_sub_i32 s28, s6, s33
	s_and_b64 s[30:31], vcc, s[0:1]
	v_mul_lo_u32 v12, v7, s21
	v_mov_b32_e32 v13, v2
	s_cmp_eq_u32 s8, 0
	v_lshl_add_u64 v[12:13], v[12:13], 3, s[4:5]
	v_lshlrev_b32_e32 v14, 3, v1
	v_mov_b32_e32 v15, v2
	v_lshl_add_u64 v[12:13], v[12:13], 0, v[14:15]
	v_mul_lo_u32 v14, v1, s22
	s_cselect_b64 vcc, -1, 0
	v_lshlrev_b32_e32 v1, 2, v0
	s_abs_i32 s40, s22
	v_sub_u32_e32 v5, 0, v1
	v_cvt_f32_u32_e32 v1, s40
	s_ashr_i32 s38, s22, 31
	s_mul_hi_u32 s0, s22, s21
	s_mul_i32 s1, s38, s21
	v_rcp_iflag_f32_e32 v1, v1
	v_mbcnt_lo_u32_b32 v3, -1, 0
	v_ashrrev_i32_e32 v15, 31, v14
	s_add_i32 s39, s0, s1
	s_movk_i32 s0, 0x80
	v_lshlrev_b32_e32 v8, 3, v0
	v_and_b32_e32 v9, 0xfc, v0
	v_mbcnt_hi_u32_b32 v3, -1, v3
	v_lshl_add_u64 v[14:15], v[14:15], 3, s[4:5]
	v_cmp_gt_u32_e64 s[0:1], s0, v0
	v_cmp_gt_u32_e64 s[2:3], 64, v0
	;; [unrolled: 1-line block ×7, first 2 shown]
	v_cmp_eq_u32_e64 s[14:15], 0, v0
	v_mul_f32_e32 v0, 0x4f7ffffe, v1
	v_lshl_or_b32 v10, v3, 2, 12
	v_cvt_u32_f32_e32 v3, v0
	s_sub_i32 s16, 0, s40
	v_lshlrev_b32_e32 v16, 3, v7
	v_mov_b32_e32 v17, v2
	v_mul_lo_u32 v11, s16, v3
	v_lshl_add_u64 v[14:15], v[14:15], 0, v[16:17]
	v_mul_hi_u32 v11, v3, v11
	s_mul_i32 s21, s22, s21
	v_cndmask_b32_e32 v1, v13, v15, vcc
	v_cndmask_b32_e32 v0, v12, v14, vcc
	v_add_u32_e32 v11, v3, v11
	v_mov_b32_e32 v3, v2
	v_add_u32_e32 v12, v8, v5
	v_mov_b32_e32 v13, 1
	v_mov_b32_e32 v15, v2
	s_branch .LBB171_7
.LBB171_6:                              ;   in Loop: Header=BB171_7 Depth=1
	s_or_b64 exec, exec, s[16:17]
	s_waitcnt lgkmcnt(0)
	s_barrier
	ds_read_b32 v15, v2
	s_add_i32 s28, s29, s28
	s_waitcnt lgkmcnt(0)
	s_barrier
	v_cmp_gt_i32_e32 vcc, s20, v15
	s_cbranch_vccz .LBB171_35
.LBB171_7:                              ; =>This Loop Header: Depth=1
                                        ;     Child Loop BB171_10 Depth 2
	v_add_u32_e32 v4, v4, v7
	v_cmp_lt_i32_e32 vcc, v4, v6
	v_mov_b32_e32 v14, s20
	v_mov_b32_e32 v17, v6
	ds_write_b8 v2, v2 offset:2048
	ds_write_b64 v8, v[2:3]
	s_waitcnt lgkmcnt(0)
	s_barrier
	s_and_saveexec_b64 s[34:35], vcc
	s_cbranch_execz .LBB171_15
; %bb.8:                                ;   in Loop: Header=BB171_7 Depth=1
	v_mul_lo_u32 v16, v15, s22
	s_mov_b64 s[36:37], 0
	v_mov_b32_e32 v14, s20
	v_mov_b32_e32 v17, v6
	s_branch .LBB171_10
.LBB171_9:                              ;   in Loop: Header=BB171_10 Depth=2
	s_or_b64 exec, exec, s[16:17]
	v_add_u32_e32 v4, 4, v4
	v_cmp_ge_i32_e64 s[16:17], v4, v6
	s_xor_b64 s[42:43], vcc, -1
	s_or_b64 s[16:17], s[42:43], s[16:17]
	s_and_b64 s[16:17], exec, s[16:17]
	s_or_b64 s[36:37], s[16:17], s[36:37]
	s_andn2_b64 exec, exec, s[36:37]
	s_cbranch_execz .LBB171_14
.LBB171_10:                             ;   Parent Loop BB171_7 Depth=1
                                        ; =>  This Inner Loop Header: Depth=2
	v_ashrrev_i32_e32 v5, 31, v4
	v_lshl_add_u64 v[18:19], v[4:5], 2, s[26:27]
	global_load_dword v18, v[18:19], off
	s_waitcnt vmcnt(0)
	v_subrev_u32_e32 v18, s23, v18
	v_sub_u32_e32 v20, 0, v18
	v_max_i32_e32 v20, v18, v20
	v_mul_hi_u32 v21, v20, v11
	v_mul_lo_u32 v22, v21, s40
	v_sub_u32_e32 v20, v20, v22
	v_add_u32_e32 v23, 1, v21
	v_cmp_le_u32_e32 vcc, s40, v20
	v_subrev_u32_e32 v22, s40, v20
	v_ashrrev_i32_e32 v19, 31, v18
	v_cndmask_b32_e32 v21, v21, v23, vcc
	v_cndmask_b32_e32 v20, v20, v22, vcc
	v_add_u32_e32 v22, 1, v21
	v_cmp_le_u32_e32 vcc, s40, v20
	v_xor_b32_e32 v19, s38, v19
	s_nop 0
	v_cndmask_b32_e32 v20, v21, v22, vcc
	v_xor_b32_e32 v20, v20, v19
	v_sub_u32_e32 v20, v20, v19
	v_cmp_eq_u32_e32 vcc, v20, v15
	v_cmp_ne_u32_e64 s[16:17], v20, v15
	v_mov_b32_e32 v19, v17
	s_and_saveexec_b64 s[42:43], s[16:17]
	s_xor_b64 s[16:17], exec, s[42:43]
; %bb.11:                               ;   in Loop: Header=BB171_10 Depth=2
	v_min_i32_e32 v14, v20, v14
                                        ; implicit-def: $vgpr18
                                        ; implicit-def: $vgpr19
; %bb.12:                               ;   in Loop: Header=BB171_10 Depth=2
	s_or_saveexec_b64 s[16:17], s[16:17]
	v_mov_b32_e32 v17, v4
	s_xor_b64 exec, exec, s[16:17]
	s_cbranch_execz .LBB171_9
; %bb.13:                               ;   in Loop: Header=BB171_10 Depth=2
	v_lshl_add_u64 v[20:21], v[4:5], 3, s[24:25]
	global_load_dwordx2 v[20:21], v[20:21], off
	v_sub_u32_e32 v5, v18, v16
	v_add_lshl_u32 v5, v5, v9, 3
	v_mov_b32_e32 v17, v19
	ds_write_b8 v2, v13 offset:2048
	s_waitcnt vmcnt(0)
	ds_write_b64 v5, v[20:21]
	s_branch .LBB171_9
.LBB171_14:                             ;   in Loop: Header=BB171_7 Depth=1
	s_or_b64 exec, exec, s[36:37]
.LBB171_15:                             ;   in Loop: Header=BB171_7 Depth=1
	s_or_b64 exec, exec, s[34:35]
	v_mov_b32_dpp v4, v17 row_shr:1 row_mask:0xf bank_mask:0xf
	v_min_i32_e32 v4, v4, v17
	s_waitcnt lgkmcnt(0)
	s_barrier
	ds_read_u8 v5, v2 offset:2048
	v_mov_b32_dpp v16, v4 row_shr:2 row_mask:0xf bank_mask:0xf
	v_min_i32_e32 v4, v16, v4
	ds_bpermute_b32 v4, v10, v4
	s_mov_b32 s29, 0
	s_waitcnt lgkmcnt(1)
	v_cmp_eq_u32_e32 vcc, 0, v5
	s_cbranch_vccnz .LBB171_19
; %bb.16:                               ;   in Loop: Header=BB171_7 Depth=1
	s_ashr_i32 s29, s28, 31
	s_lshl_b64 s[16:17], s[28:29], 2
	s_add_u32 s16, s18, s16
	v_add_u32_e32 v5, s33, v15
	s_addc_u32 s17, s19, s17
	global_store_dword v2, v5, s[16:17]
	s_and_saveexec_b64 s[16:17], s[30:31]
	s_cbranch_execz .LBB171_18
; %bb.17:                               ;   in Loop: Header=BB171_7 Depth=1
	ds_read_b64 v[16:17], v8
	s_mul_i32 s29, s21, s29
	s_mul_hi_u32 s34, s21, s28
	s_add_i32 s29, s34, s29
	s_mul_i32 s34, s39, s28
	s_add_i32 s35, s29, s34
	s_mul_i32 s34, s21, s28
	v_lshl_add_u64 v[18:19], s[34:35], 3, v[0:1]
	s_waitcnt lgkmcnt(0)
	global_store_dwordx2 v[18:19], v[16:17], off
.LBB171_18:                             ;   in Loop: Header=BB171_7 Depth=1
	s_or_b64 exec, exec, s[16:17]
	s_mov_b32 s29, 1
.LBB171_19:                             ;   in Loop: Header=BB171_7 Depth=1
	s_waitcnt lgkmcnt(0)
	s_barrier
	ds_write_b32 v12, v14
	s_waitcnt lgkmcnt(0)
	s_barrier
	s_and_saveexec_b64 s[16:17], s[0:1]
	s_cbranch_execz .LBB171_21
; %bb.20:                               ;   in Loop: Header=BB171_7 Depth=1
	ds_read2st64_b32 v[14:15], v12 offset1:2
	s_waitcnt lgkmcnt(0)
	v_min_i32_e32 v5, v15, v14
	ds_write_b32 v12, v5
.LBB171_21:                             ;   in Loop: Header=BB171_7 Depth=1
	s_or_b64 exec, exec, s[16:17]
	s_waitcnt lgkmcnt(0)
	s_barrier
	s_and_saveexec_b64 s[16:17], s[2:3]
	s_cbranch_execz .LBB171_23
; %bb.22:                               ;   in Loop: Header=BB171_7 Depth=1
	ds_read2st64_b32 v[14:15], v12 offset1:1
	s_waitcnt lgkmcnt(0)
	v_min_i32_e32 v5, v15, v14
	ds_write_b32 v12, v5
.LBB171_23:                             ;   in Loop: Header=BB171_7 Depth=1
	s_or_b64 exec, exec, s[16:17]
	s_waitcnt lgkmcnt(0)
	s_barrier
	s_and_saveexec_b64 s[16:17], s[4:5]
	s_cbranch_execz .LBB171_25
; %bb.24:                               ;   in Loop: Header=BB171_7 Depth=1
	ds_read2_b32 v[14:15], v12 offset1:32
	s_waitcnt lgkmcnt(0)
	v_min_i32_e32 v5, v15, v14
	ds_write_b32 v12, v5
.LBB171_25:                             ;   in Loop: Header=BB171_7 Depth=1
	s_or_b64 exec, exec, s[16:17]
	s_waitcnt lgkmcnt(0)
	s_barrier
	s_and_saveexec_b64 s[16:17], s[6:7]
	s_cbranch_execz .LBB171_27
; %bb.26:                               ;   in Loop: Header=BB171_7 Depth=1
	ds_read2_b32 v[14:15], v12 offset1:16
	s_waitcnt lgkmcnt(0)
	v_min_i32_e32 v5, v15, v14
	ds_write_b32 v12, v5
.LBB171_27:                             ;   in Loop: Header=BB171_7 Depth=1
	;; [unrolled: 11-line block ×5, first 2 shown]
	s_or_b64 exec, exec, s[16:17]
	s_waitcnt lgkmcnt(0)
	s_barrier
	s_and_saveexec_b64 s[16:17], s[14:15]
	s_cbranch_execz .LBB171_6
; %bb.34:                               ;   in Loop: Header=BB171_7 Depth=1
	ds_read_b64 v[14:15], v2
	s_waitcnt lgkmcnt(0)
	v_min_i32_e32 v5, v15, v14
	ds_write_b32 v2, v5
	s_branch .LBB171_6
.LBB171_35:
	s_endpgm
	.section	.rodata,"a",@progbits
	.p2align	6, 0x0
	.amdhsa_kernel _ZN9rocsparseL40csr2gebsr_block_per_row_multipass_kernelILj256ELj64ELj4E21rocsparse_complex_numIfEEEv20rocsparse_direction_iiiiii21rocsparse_index_base_PKT2_PKiS9_S4_PS5_PiSB_
		.amdhsa_group_segment_fixed_size 2052
		.amdhsa_private_segment_fixed_size 0
		.amdhsa_kernarg_size 88
		.amdhsa_user_sgpr_count 2
		.amdhsa_user_sgpr_dispatch_ptr 0
		.amdhsa_user_sgpr_queue_ptr 0
		.amdhsa_user_sgpr_kernarg_segment_ptr 1
		.amdhsa_user_sgpr_dispatch_id 0
		.amdhsa_user_sgpr_kernarg_preload_length 0
		.amdhsa_user_sgpr_kernarg_preload_offset 0
		.amdhsa_user_sgpr_private_segment_size 0
		.amdhsa_uses_dynamic_stack 0
		.amdhsa_enable_private_segment 0
		.amdhsa_system_sgpr_workgroup_id_x 1
		.amdhsa_system_sgpr_workgroup_id_y 0
		.amdhsa_system_sgpr_workgroup_id_z 0
		.amdhsa_system_sgpr_workgroup_info 0
		.amdhsa_system_vgpr_workitem_id 0
		.amdhsa_next_free_vgpr 24
		.amdhsa_next_free_sgpr 44
		.amdhsa_accum_offset 24
		.amdhsa_reserve_vcc 1
		.amdhsa_float_round_mode_32 0
		.amdhsa_float_round_mode_16_64 0
		.amdhsa_float_denorm_mode_32 3
		.amdhsa_float_denorm_mode_16_64 3
		.amdhsa_dx10_clamp 1
		.amdhsa_ieee_mode 1
		.amdhsa_fp16_overflow 0
		.amdhsa_tg_split 0
		.amdhsa_exception_fp_ieee_invalid_op 0
		.amdhsa_exception_fp_denorm_src 0
		.amdhsa_exception_fp_ieee_div_zero 0
		.amdhsa_exception_fp_ieee_overflow 0
		.amdhsa_exception_fp_ieee_underflow 0
		.amdhsa_exception_fp_ieee_inexact 0
		.amdhsa_exception_int_div_zero 0
	.end_amdhsa_kernel
	.section	.text._ZN9rocsparseL40csr2gebsr_block_per_row_multipass_kernelILj256ELj64ELj4E21rocsparse_complex_numIfEEEv20rocsparse_direction_iiiiii21rocsparse_index_base_PKT2_PKiS9_S4_PS5_PiSB_,"axG",@progbits,_ZN9rocsparseL40csr2gebsr_block_per_row_multipass_kernelILj256ELj64ELj4E21rocsparse_complex_numIfEEEv20rocsparse_direction_iiiiii21rocsparse_index_base_PKT2_PKiS9_S4_PS5_PiSB_,comdat
.Lfunc_end171:
	.size	_ZN9rocsparseL40csr2gebsr_block_per_row_multipass_kernelILj256ELj64ELj4E21rocsparse_complex_numIfEEEv20rocsparse_direction_iiiiii21rocsparse_index_base_PKT2_PKiS9_S4_PS5_PiSB_, .Lfunc_end171-_ZN9rocsparseL40csr2gebsr_block_per_row_multipass_kernelILj256ELj64ELj4E21rocsparse_complex_numIfEEEv20rocsparse_direction_iiiiii21rocsparse_index_base_PKT2_PKiS9_S4_PS5_PiSB_
                                        ; -- End function
	.section	.AMDGPU.csdata,"",@progbits
; Kernel info:
; codeLenInByte = 1464
; NumSgprs: 50
; NumVgprs: 24
; NumAgprs: 0
; TotalNumVgprs: 24
; ScratchSize: 0
; MemoryBound: 0
; FloatMode: 240
; IeeeMode: 1
; LDSByteSize: 2052 bytes/workgroup (compile time only)
; SGPRBlocks: 6
; VGPRBlocks: 2
; NumSGPRsForWavesPerEU: 50
; NumVGPRsForWavesPerEU: 24
; AccumOffset: 24
; Occupancy: 8
; WaveLimiterHint : 0
; COMPUTE_PGM_RSRC2:SCRATCH_EN: 0
; COMPUTE_PGM_RSRC2:USER_SGPR: 2
; COMPUTE_PGM_RSRC2:TRAP_HANDLER: 0
; COMPUTE_PGM_RSRC2:TGID_X_EN: 1
; COMPUTE_PGM_RSRC2:TGID_Y_EN: 0
; COMPUTE_PGM_RSRC2:TGID_Z_EN: 0
; COMPUTE_PGM_RSRC2:TIDIG_COMP_CNT: 0
; COMPUTE_PGM_RSRC3_GFX90A:ACCUM_OFFSET: 5
; COMPUTE_PGM_RSRC3_GFX90A:TG_SPLIT: 0
	.section	.text._ZN9rocsparseL40csr2gebsr_block_per_row_multipass_kernelILj256ELj64ELj8E21rocsparse_complex_numIfEEEv20rocsparse_direction_iiiiii21rocsparse_index_base_PKT2_PKiS9_S4_PS5_PiSB_,"axG",@progbits,_ZN9rocsparseL40csr2gebsr_block_per_row_multipass_kernelILj256ELj64ELj8E21rocsparse_complex_numIfEEEv20rocsparse_direction_iiiiii21rocsparse_index_base_PKT2_PKiS9_S4_PS5_PiSB_,comdat
	.globl	_ZN9rocsparseL40csr2gebsr_block_per_row_multipass_kernelILj256ELj64ELj8E21rocsparse_complex_numIfEEEv20rocsparse_direction_iiiiii21rocsparse_index_base_PKT2_PKiS9_S4_PS5_PiSB_ ; -- Begin function _ZN9rocsparseL40csr2gebsr_block_per_row_multipass_kernelILj256ELj64ELj8E21rocsparse_complex_numIfEEEv20rocsparse_direction_iiiiii21rocsparse_index_base_PKT2_PKiS9_S4_PS5_PiSB_
	.p2align	8
	.type	_ZN9rocsparseL40csr2gebsr_block_per_row_multipass_kernelILj256ELj64ELj8E21rocsparse_complex_numIfEEEv20rocsparse_direction_iiiiii21rocsparse_index_base_PKT2_PKiS9_S4_PS5_PiSB_,@function
_ZN9rocsparseL40csr2gebsr_block_per_row_multipass_kernelILj256ELj64ELj8E21rocsparse_complex_numIfEEEv20rocsparse_direction_iiiiii21rocsparse_index_base_PKT2_PKiS9_S4_PS5_PiSB_: ; @_ZN9rocsparseL40csr2gebsr_block_per_row_multipass_kernelILj256ELj64ELj8E21rocsparse_complex_numIfEEEv20rocsparse_direction_iiiiii21rocsparse_index_base_PKT2_PKiS9_S4_PS5_PiSB_
; %bb.0:
	s_load_dwordx4 s[20:23], s[0:1], 0x10
	s_load_dwordx2 s[6:7], s[0:1], 0x0
	s_load_dwordx2 s[8:9], s[0:1], 0x28
	v_lshrrev_b32_e32 v1, 2, v0
	v_mov_b32_e32 v16, 0
	s_waitcnt lgkmcnt(0)
	s_mul_i32 s3, s2, s21
	v_add_u32_e32 v2, s3, v1
	v_cmp_gt_i32_e64 s[4:5], s7, v2
	v_cmp_gt_i32_e32 vcc, s21, v1
	s_and_b64 s[4:5], vcc, s[4:5]
	v_mov_b32_e32 v23, 0
	s_and_saveexec_b64 s[10:11], s[4:5]
	s_cbranch_execnz .LBB172_3
; %bb.1:
	s_or_b64 exec, exec, s[10:11]
	s_and_saveexec_b64 s[10:11], s[4:5]
	s_cbranch_execnz .LBB172_4
.LBB172_2:
	s_or_b64 exec, exec, s[10:11]
	s_cmp_lt_i32 s20, 1
	s_cbranch_scc0 .LBB172_5
	s_branch .LBB172_37
.LBB172_3:
	v_ashrrev_i32_e32 v3, 31, v2
	v_lshl_add_u64 v[4:5], v[2:3], 2, s[8:9]
	global_load_dword v3, v[4:5], off
	s_waitcnt vmcnt(0)
	v_subrev_u32_e32 v23, s23, v3
	s_or_b64 exec, exec, s[10:11]
	s_and_saveexec_b64 s[10:11], s[4:5]
	s_cbranch_execz .LBB172_2
.LBB172_4:
	v_ashrrev_i32_e32 v3, 31, v2
	v_lshl_add_u64 v[2:3], v[2:3], 2, s[8:9]
	global_load_dword v2, v[2:3], off offset:4
	s_waitcnt vmcnt(0)
	v_subrev_u32_e32 v16, s23, v2
	s_or_b64 exec, exec, s[10:11]
	s_cmp_lt_i32 s20, 1
	s_cbranch_scc1 .LBB172_37
.LBB172_5:
	s_load_dwordx4 s[8:11], s[0:1], 0x40
	s_load_dwordx2 s[24:25], s[0:1], 0x50
	s_load_dword s33, s[0:1], 0x38
	s_ashr_i32 s3, s2, 31
	s_lshl_b64 s[2:3], s[2:3], 2
	s_waitcnt lgkmcnt(0)
	s_add_u32 s2, s10, s2
	s_addc_u32 s3, s11, s3
	s_load_dword s4, s[2:3], 0x0
	s_load_dwordx2 s[26:27], s[0:1], 0x20
	s_load_dwordx2 s[28:29], s[0:1], 0x30
	v_mbcnt_lo_u32_b32 v3, -1, 0
	v_mbcnt_hi_u32_b32 v3, -1, v3
	s_waitcnt lgkmcnt(0)
	s_sub_i32 s30, s4, s33
	s_cmp_eq_u32 s6, 0
	s_cselect_b64 s[0:1], -1, 0
	s_ashr_i32 s42, s22, 31
	s_mul_hi_u32 s2, s22, s21
	s_mul_i32 s3, s42, s21
	v_mov_b32_e32 v5, 0
	v_mul_lo_u32 v8, v1, s22
	v_and_b32_e32 v17, 3, v0
	v_lshlrev_b32_e32 v2, 3, v1
	v_lshl_or_b32 v19, v3, 2, 12
	s_add_i32 s43, s2, s3
	v_mov_b32_e32 v3, v5
	v_ashrrev_i32_e32 v9, 31, v8
	s_movk_i32 s2, 0x80
	v_lshl_add_u64 v[6:7], s[8:9], 0, v[2:3]
	v_lshl_add_u64 v[8:9], v[8:9], 3, s[8:9]
	v_lshlrev_b32_e32 v3, 2, v0
	v_cmp_gt_u32_e64 s[2:3], s2, v0
	v_cmp_gt_u32_e64 s[4:5], 64, v0
	;; [unrolled: 1-line block ×7, first 2 shown]
	v_cmp_eq_u32_e64 s[16:17], 0, v0
	v_or_b32_e32 v0, v2, v17
	s_abs_i32 s45, s22
	v_lshlrev_b32_e32 v20, 3, v0
	v_cvt_f32_u32_e32 v0, s45
	v_cmp_gt_u32_e64 s[18:19], s22, v17
	v_or_b32_e32 v1, 4, v17
	s_and_b64 s[34:35], vcc, s[18:19]
	v_rcp_iflag_f32_e32 v0, v0
	v_cmp_gt_u32_e64 s[18:19], s22, v1
	s_and_b64 s[36:37], vcc, s[18:19]
	s_sub_i32 s18, 0, s45
	v_mul_f32_e32 v0, 0x4f7ffffe, v0
	v_cvt_u32_f32_e32 v10, v0
	s_mov_b32 s38, 0
	v_lshlrev_b32_e32 v4, 3, v17
	v_lshl_add_u64 v[8:9], v[8:9], 0, v[4:5]
	v_mul_lo_u32 v11, s18, v10
	v_mul_lo_u32 v4, v17, s21
	v_mul_hi_u32 v11, v10, v11
	s_mov_b32 s39, s38
	v_mov_b32_e32 v18, 0
	s_mul_i32 s44, s22, s21
	v_lshl_add_u32 v0, s21, 2, v4
	v_mov_b32_e32 v1, v5
	v_add_u32_e32 v21, v10, v11
	v_mov_b64_e32 v[10:11], s[38:39]
	v_mov_b32_e32 v22, 1
	v_mov_b32_e32 v14, 0
	s_branch .LBB172_7
.LBB172_6:                              ;   in Loop: Header=BB172_7 Depth=1
	s_or_b64 exec, exec, s[18:19]
	s_waitcnt lgkmcnt(0)
	s_barrier
	ds_read_b32 v14, v5
	s_add_i32 s30, s21, s30
	s_waitcnt lgkmcnt(0)
	s_barrier
	v_cmp_gt_i32_e32 vcc, s20, v14
	s_cbranch_vccz .LBB172_37
.LBB172_7:                              ; =>This Loop Header: Depth=1
                                        ;     Child Loop BB172_10 Depth 2
	v_add_u32_e32 v12, v23, v17
	v_cmp_lt_i32_e32 vcc, v12, v16
	v_mov_b32_e32 v24, s20
	v_mov_b32_e32 v23, v16
	ds_write_b8 v5, v18 offset:4096
	ds_write2_b64 v20, v[10:11], v[10:11] offset1:4
	s_waitcnt lgkmcnt(0)
	s_barrier
	s_and_saveexec_b64 s[38:39], vcc
	s_cbranch_execz .LBB172_15
; %bb.8:                                ;   in Loop: Header=BB172_7 Depth=1
	v_mul_lo_u32 v15, v14, s22
	s_mov_b64 s[40:41], 0
	v_mov_b32_e32 v24, s20
	v_mov_b32_e32 v23, v16
	s_branch .LBB172_10
.LBB172_9:                              ;   in Loop: Header=BB172_10 Depth=2
	s_or_b64 exec, exec, s[18:19]
	v_add_u32_e32 v12, 4, v12
	v_cmp_ge_i32_e64 s[18:19], v12, v16
	s_xor_b64 s[46:47], vcc, -1
	s_or_b64 s[18:19], s[46:47], s[18:19]
	s_and_b64 s[18:19], exec, s[18:19]
	s_or_b64 s[40:41], s[18:19], s[40:41]
	s_andn2_b64 exec, exec, s[40:41]
	s_cbranch_execz .LBB172_14
.LBB172_10:                             ;   Parent Loop BB172_7 Depth=1
                                        ; =>  This Inner Loop Header: Depth=2
	v_ashrrev_i32_e32 v13, 31, v12
	v_lshl_add_u64 v[26:27], v[12:13], 2, s[28:29]
	global_load_dword v25, v[26:27], off
	s_waitcnt vmcnt(0)
	v_subrev_u32_e32 v25, s23, v25
	v_sub_u32_e32 v27, 0, v25
	v_max_i32_e32 v27, v25, v27
	v_mul_hi_u32 v28, v27, v21
	v_mul_lo_u32 v29, v28, s45
	v_sub_u32_e32 v27, v27, v29
	v_add_u32_e32 v30, 1, v28
	v_cmp_le_u32_e32 vcc, s45, v27
	v_subrev_u32_e32 v29, s45, v27
	v_ashrrev_i32_e32 v26, 31, v25
	v_cndmask_b32_e32 v28, v28, v30, vcc
	v_cndmask_b32_e32 v27, v27, v29, vcc
	v_add_u32_e32 v29, 1, v28
	v_cmp_le_u32_e32 vcc, s45, v27
	v_xor_b32_e32 v26, s42, v26
	s_nop 0
	v_cndmask_b32_e32 v27, v28, v29, vcc
	v_xor_b32_e32 v27, v27, v26
	v_sub_u32_e32 v27, v27, v26
	v_cmp_eq_u32_e32 vcc, v27, v14
	v_cmp_ne_u32_e64 s[18:19], v27, v14
	v_mov_b32_e32 v26, v23
	s_and_saveexec_b64 s[46:47], s[18:19]
	s_xor_b64 s[18:19], exec, s[46:47]
; %bb.11:                               ;   in Loop: Header=BB172_10 Depth=2
	v_min_i32_e32 v24, v27, v24
                                        ; implicit-def: $vgpr25
                                        ; implicit-def: $vgpr26
; %bb.12:                               ;   in Loop: Header=BB172_10 Depth=2
	s_or_saveexec_b64 s[18:19], s[18:19]
	v_mov_b32_e32 v23, v12
	s_xor_b64 exec, exec, s[18:19]
	s_cbranch_execz .LBB172_9
; %bb.13:                               ;   in Loop: Header=BB172_10 Depth=2
	v_lshl_add_u64 v[28:29], v[12:13], 3, s[26:27]
	global_load_dwordx2 v[28:29], v[28:29], off
	v_sub_u32_e32 v13, v25, v15
	v_add_lshl_u32 v13, v13, v2, 3
	v_mov_b32_e32 v23, v26
	ds_write_b8 v5, v22 offset:4096
	s_waitcnt vmcnt(0)
	ds_write_b64 v13, v[28:29]
	s_branch .LBB172_9
.LBB172_14:                             ;   in Loop: Header=BB172_7 Depth=1
	s_or_b64 exec, exec, s[40:41]
.LBB172_15:                             ;   in Loop: Header=BB172_7 Depth=1
	s_or_b64 exec, exec, s[38:39]
	v_mov_b32_dpp v12, v23 row_shr:1 row_mask:0xf bank_mask:0xf
	v_min_i32_e32 v12, v12, v23
	s_waitcnt lgkmcnt(0)
	s_barrier
	ds_read_u8 v13, v5 offset:4096
	v_mov_b32_dpp v15, v12 row_shr:2 row_mask:0xf bank_mask:0xf
	v_min_i32_e32 v12, v15, v12
	ds_bpermute_b32 v23, v19, v12
	s_mov_b32 s21, 0
	s_waitcnt lgkmcnt(1)
	v_cmp_eq_u32_e32 vcc, 0, v13
	s_cbranch_vccnz .LBB172_21
; %bb.16:                               ;   in Loop: Header=BB172_7 Depth=1
	s_ashr_i32 s31, s30, 31
	s_lshl_b64 s[18:19], s[30:31], 2
	s_add_u32 s18, s24, s18
	v_add_u32_e32 v12, s33, v14
	s_addc_u32 s19, s25, s19
	global_store_dword v5, v12, s[18:19]
	s_mul_hi_u32 s18, s44, s30
	s_mul_i32 s19, s44, s31
	s_add_i32 s18, s18, s19
	s_mul_i32 s19, s43, s30
	s_add_i32 s19, s18, s19
	s_mul_i32 s18, s44, s30
	s_lshl_b64 s[18:19], s[18:19], 3
	v_lshl_add_u64 v[12:13], v[6:7], 0, s[18:19]
	v_lshl_add_u64 v[14:15], v[8:9], 0, s[18:19]
	s_and_saveexec_b64 s[18:19], s[34:35]
	s_cbranch_execz .LBB172_18
; %bb.17:                               ;   in Loop: Header=BB172_7 Depth=1
	ds_read_b64 v[26:27], v20
	v_lshl_add_u64 v[28:29], v[4:5], 3, v[12:13]
	v_cndmask_b32_e64 v29, v29, v15, s[0:1]
	v_cndmask_b32_e64 v28, v28, v14, s[0:1]
	s_waitcnt lgkmcnt(0)
	global_store_dwordx2 v[28:29], v[26:27], off
.LBB172_18:                             ;   in Loop: Header=BB172_7 Depth=1
	s_or_b64 exec, exec, s[18:19]
	s_and_saveexec_b64 s[18:19], s[36:37]
	s_cbranch_execz .LBB172_20
; %bb.19:                               ;   in Loop: Header=BB172_7 Depth=1
	ds_read_b64 v[26:27], v20 offset:32
	v_lshl_add_u64 v[14:15], v[14:15], 0, 32
	v_lshl_add_u64 v[12:13], v[0:1], 3, v[12:13]
	v_cndmask_b32_e64 v13, v13, v15, s[0:1]
	v_cndmask_b32_e64 v12, v12, v14, s[0:1]
	s_waitcnt lgkmcnt(0)
	global_store_dwordx2 v[12:13], v[26:27], off
.LBB172_20:                             ;   in Loop: Header=BB172_7 Depth=1
	s_or_b64 exec, exec, s[18:19]
	s_mov_b32 s21, 1
.LBB172_21:                             ;   in Loop: Header=BB172_7 Depth=1
	s_waitcnt lgkmcnt(0)
	s_barrier
	ds_write_b32 v3, v24
	s_waitcnt lgkmcnt(0)
	s_barrier
	s_and_saveexec_b64 s[18:19], s[2:3]
	s_cbranch_execz .LBB172_23
; %bb.22:                               ;   in Loop: Header=BB172_7 Depth=1
	ds_read2st64_b32 v[12:13], v3 offset1:2
	s_waitcnt lgkmcnt(0)
	v_min_i32_e32 v12, v13, v12
	ds_write_b32 v3, v12
.LBB172_23:                             ;   in Loop: Header=BB172_7 Depth=1
	s_or_b64 exec, exec, s[18:19]
	s_waitcnt lgkmcnt(0)
	s_barrier
	s_and_saveexec_b64 s[18:19], s[4:5]
	s_cbranch_execz .LBB172_25
; %bb.24:                               ;   in Loop: Header=BB172_7 Depth=1
	ds_read2st64_b32 v[12:13], v3 offset1:1
	s_waitcnt lgkmcnt(0)
	v_min_i32_e32 v12, v13, v12
	ds_write_b32 v3, v12
.LBB172_25:                             ;   in Loop: Header=BB172_7 Depth=1
	s_or_b64 exec, exec, s[18:19]
	s_waitcnt lgkmcnt(0)
	s_barrier
	s_and_saveexec_b64 s[18:19], s[6:7]
	s_cbranch_execz .LBB172_27
; %bb.26:                               ;   in Loop: Header=BB172_7 Depth=1
	ds_read2_b32 v[12:13], v3 offset1:32
	s_waitcnt lgkmcnt(0)
	v_min_i32_e32 v12, v13, v12
	ds_write_b32 v3, v12
.LBB172_27:                             ;   in Loop: Header=BB172_7 Depth=1
	s_or_b64 exec, exec, s[18:19]
	s_waitcnt lgkmcnt(0)
	s_barrier
	s_and_saveexec_b64 s[18:19], s[8:9]
	s_cbranch_execz .LBB172_29
; %bb.28:                               ;   in Loop: Header=BB172_7 Depth=1
	ds_read2_b32 v[12:13], v3 offset1:16
	s_waitcnt lgkmcnt(0)
	v_min_i32_e32 v12, v13, v12
	ds_write_b32 v3, v12
.LBB172_29:                             ;   in Loop: Header=BB172_7 Depth=1
	;; [unrolled: 11-line block ×5, first 2 shown]
	s_or_b64 exec, exec, s[18:19]
	s_waitcnt lgkmcnt(0)
	s_barrier
	s_and_saveexec_b64 s[18:19], s[16:17]
	s_cbranch_execz .LBB172_6
; %bb.36:                               ;   in Loop: Header=BB172_7 Depth=1
	ds_read_b64 v[12:13], v5
	s_waitcnt lgkmcnt(0)
	v_min_i32_e32 v12, v13, v12
	ds_write_b32 v5, v12
	s_branch .LBB172_6
.LBB172_37:
	s_endpgm
	.section	.rodata,"a",@progbits
	.p2align	6, 0x0
	.amdhsa_kernel _ZN9rocsparseL40csr2gebsr_block_per_row_multipass_kernelILj256ELj64ELj8E21rocsparse_complex_numIfEEEv20rocsparse_direction_iiiiii21rocsparse_index_base_PKT2_PKiS9_S4_PS5_PiSB_
		.amdhsa_group_segment_fixed_size 4100
		.amdhsa_private_segment_fixed_size 0
		.amdhsa_kernarg_size 88
		.amdhsa_user_sgpr_count 2
		.amdhsa_user_sgpr_dispatch_ptr 0
		.amdhsa_user_sgpr_queue_ptr 0
		.amdhsa_user_sgpr_kernarg_segment_ptr 1
		.amdhsa_user_sgpr_dispatch_id 0
		.amdhsa_user_sgpr_kernarg_preload_length 0
		.amdhsa_user_sgpr_kernarg_preload_offset 0
		.amdhsa_user_sgpr_private_segment_size 0
		.amdhsa_uses_dynamic_stack 0
		.amdhsa_enable_private_segment 0
		.amdhsa_system_sgpr_workgroup_id_x 1
		.amdhsa_system_sgpr_workgroup_id_y 0
		.amdhsa_system_sgpr_workgroup_id_z 0
		.amdhsa_system_sgpr_workgroup_info 0
		.amdhsa_system_vgpr_workitem_id 0
		.amdhsa_next_free_vgpr 31
		.amdhsa_next_free_sgpr 48
		.amdhsa_accum_offset 32
		.amdhsa_reserve_vcc 1
		.amdhsa_float_round_mode_32 0
		.amdhsa_float_round_mode_16_64 0
		.amdhsa_float_denorm_mode_32 3
		.amdhsa_float_denorm_mode_16_64 3
		.amdhsa_dx10_clamp 1
		.amdhsa_ieee_mode 1
		.amdhsa_fp16_overflow 0
		.amdhsa_tg_split 0
		.amdhsa_exception_fp_ieee_invalid_op 0
		.amdhsa_exception_fp_denorm_src 0
		.amdhsa_exception_fp_ieee_div_zero 0
		.amdhsa_exception_fp_ieee_overflow 0
		.amdhsa_exception_fp_ieee_underflow 0
		.amdhsa_exception_fp_ieee_inexact 0
		.amdhsa_exception_int_div_zero 0
	.end_amdhsa_kernel
	.section	.text._ZN9rocsparseL40csr2gebsr_block_per_row_multipass_kernelILj256ELj64ELj8E21rocsparse_complex_numIfEEEv20rocsparse_direction_iiiiii21rocsparse_index_base_PKT2_PKiS9_S4_PS5_PiSB_,"axG",@progbits,_ZN9rocsparseL40csr2gebsr_block_per_row_multipass_kernelILj256ELj64ELj8E21rocsparse_complex_numIfEEEv20rocsparse_direction_iiiiii21rocsparse_index_base_PKT2_PKiS9_S4_PS5_PiSB_,comdat
.Lfunc_end172:
	.size	_ZN9rocsparseL40csr2gebsr_block_per_row_multipass_kernelILj256ELj64ELj8E21rocsparse_complex_numIfEEEv20rocsparse_direction_iiiiii21rocsparse_index_base_PKT2_PKiS9_S4_PS5_PiSB_, .Lfunc_end172-_ZN9rocsparseL40csr2gebsr_block_per_row_multipass_kernelILj256ELj64ELj8E21rocsparse_complex_numIfEEEv20rocsparse_direction_iiiiii21rocsparse_index_base_PKT2_PKiS9_S4_PS5_PiSB_
                                        ; -- End function
	.section	.AMDGPU.csdata,"",@progbits
; Kernel info:
; codeLenInByte = 1568
; NumSgprs: 54
; NumVgprs: 31
; NumAgprs: 0
; TotalNumVgprs: 31
; ScratchSize: 0
; MemoryBound: 0
; FloatMode: 240
; IeeeMode: 1
; LDSByteSize: 4100 bytes/workgroup (compile time only)
; SGPRBlocks: 6
; VGPRBlocks: 3
; NumSGPRsForWavesPerEU: 54
; NumVGPRsForWavesPerEU: 31
; AccumOffset: 32
; Occupancy: 8
; WaveLimiterHint : 0
; COMPUTE_PGM_RSRC2:SCRATCH_EN: 0
; COMPUTE_PGM_RSRC2:USER_SGPR: 2
; COMPUTE_PGM_RSRC2:TRAP_HANDLER: 0
; COMPUTE_PGM_RSRC2:TGID_X_EN: 1
; COMPUTE_PGM_RSRC2:TGID_Y_EN: 0
; COMPUTE_PGM_RSRC2:TGID_Z_EN: 0
; COMPUTE_PGM_RSRC2:TIDIG_COMP_CNT: 0
; COMPUTE_PGM_RSRC3_GFX90A:ACCUM_OFFSET: 7
; COMPUTE_PGM_RSRC3_GFX90A:TG_SPLIT: 0
	.section	.text._ZN9rocsparseL40csr2gebsr_block_per_row_multipass_kernelILj256ELj64ELj16E21rocsparse_complex_numIfEEEv20rocsparse_direction_iiiiii21rocsparse_index_base_PKT2_PKiS9_S4_PS5_PiSB_,"axG",@progbits,_ZN9rocsparseL40csr2gebsr_block_per_row_multipass_kernelILj256ELj64ELj16E21rocsparse_complex_numIfEEEv20rocsparse_direction_iiiiii21rocsparse_index_base_PKT2_PKiS9_S4_PS5_PiSB_,comdat
	.globl	_ZN9rocsparseL40csr2gebsr_block_per_row_multipass_kernelILj256ELj64ELj16E21rocsparse_complex_numIfEEEv20rocsparse_direction_iiiiii21rocsparse_index_base_PKT2_PKiS9_S4_PS5_PiSB_ ; -- Begin function _ZN9rocsparseL40csr2gebsr_block_per_row_multipass_kernelILj256ELj64ELj16E21rocsparse_complex_numIfEEEv20rocsparse_direction_iiiiii21rocsparse_index_base_PKT2_PKiS9_S4_PS5_PiSB_
	.p2align	8
	.type	_ZN9rocsparseL40csr2gebsr_block_per_row_multipass_kernelILj256ELj64ELj16E21rocsparse_complex_numIfEEEv20rocsparse_direction_iiiiii21rocsparse_index_base_PKT2_PKiS9_S4_PS5_PiSB_,@function
_ZN9rocsparseL40csr2gebsr_block_per_row_multipass_kernelILj256ELj64ELj16E21rocsparse_complex_numIfEEEv20rocsparse_direction_iiiiii21rocsparse_index_base_PKT2_PKiS9_S4_PS5_PiSB_: ; @_ZN9rocsparseL40csr2gebsr_block_per_row_multipass_kernelILj256ELj64ELj16E21rocsparse_complex_numIfEEEv20rocsparse_direction_iiiiii21rocsparse_index_base_PKT2_PKiS9_S4_PS5_PiSB_
; %bb.0:
	s_load_dwordx4 s[20:23], s[0:1], 0x10
	s_load_dwordx2 s[6:7], s[0:1], 0x0
	s_load_dwordx2 s[8:9], s[0:1], 0x28
	v_lshrrev_b32_e32 v1, 2, v0
	v_mov_b32_e32 v18, 0
	s_waitcnt lgkmcnt(0)
	s_mul_i32 s3, s2, s21
	v_add_u32_e32 v2, s3, v1
	v_cmp_gt_i32_e64 s[4:5], s7, v2
	v_cmp_gt_i32_e32 vcc, s21, v1
	s_and_b64 s[4:5], vcc, s[4:5]
	v_mov_b32_e32 v27, 0
	s_and_saveexec_b64 s[10:11], s[4:5]
	s_cbranch_execnz .LBB173_3
; %bb.1:
	s_or_b64 exec, exec, s[10:11]
	s_and_saveexec_b64 s[10:11], s[4:5]
	s_cbranch_execnz .LBB173_4
.LBB173_2:
	s_or_b64 exec, exec, s[10:11]
	s_cmp_lt_i32 s20, 1
	s_cbranch_scc0 .LBB173_5
	s_branch .LBB173_41
.LBB173_3:
	v_ashrrev_i32_e32 v3, 31, v2
	v_lshl_add_u64 v[4:5], v[2:3], 2, s[8:9]
	global_load_dword v3, v[4:5], off
	s_waitcnt vmcnt(0)
	v_subrev_u32_e32 v27, s23, v3
	s_or_b64 exec, exec, s[10:11]
	s_and_saveexec_b64 s[10:11], s[4:5]
	s_cbranch_execz .LBB173_2
.LBB173_4:
	v_ashrrev_i32_e32 v3, 31, v2
	v_lshl_add_u64 v[2:3], v[2:3], 2, s[8:9]
	global_load_dword v2, v[2:3], off offset:4
	s_waitcnt vmcnt(0)
	v_subrev_u32_e32 v18, s23, v2
	s_or_b64 exec, exec, s[10:11]
	s_cmp_lt_i32 s20, 1
	s_cbranch_scc1 .LBB173_41
.LBB173_5:
	s_load_dwordx4 s[8:11], s[0:1], 0x40
	s_load_dwordx2 s[24:25], s[0:1], 0x50
	s_load_dword s33, s[0:1], 0x38
	s_ashr_i32 s3, s2, 31
	s_lshl_b64 s[2:3], s[2:3], 2
	s_waitcnt lgkmcnt(0)
	s_add_u32 s2, s10, s2
	s_addc_u32 s3, s11, s3
	s_load_dword s4, s[2:3], 0x0
	s_load_dwordx2 s[26:27], s[0:1], 0x20
	s_load_dwordx2 s[28:29], s[0:1], 0x30
	v_mbcnt_lo_u32_b32 v2, -1, 0
	v_mbcnt_hi_u32_b32 v2, -1, v2
	s_waitcnt lgkmcnt(0)
	s_sub_i32 s30, s4, s33
	v_mul_lo_u32 v6, v1, s22
	v_and_b32_e32 v19, 3, v0
	v_lshl_or_b32 v22, v2, 2, 12
	s_cmp_eq_u32 s6, 0
	v_lshlrev_b32_e32 v2, 3, v1
	v_mov_b32_e32 v3, 0
	v_ashrrev_i32_e32 v7, 31, v6
	s_cselect_b64 s[0:1], -1, 0
	s_ashr_i32 s48, s22, 31
	v_lshl_add_u64 v[4:5], s[8:9], 0, v[2:3]
	v_lshl_add_u64 v[6:7], v[6:7], 3, s[8:9]
	v_lshlrev_b32_e32 v2, 3, v19
	s_mul_hi_u32 s2, s22, s21
	s_mul_i32 s3, s48, s21
	s_mul_i32 s50, s22, s21
	v_lshl_add_u64 v[6:7], v[6:7], 0, v[2:3]
	v_mul_lo_u32 v2, v19, s21
	s_lshl_b32 s31, s21, 2
	s_abs_i32 s21, s22
	v_cvt_f32_u32_e32 v10, s21
	v_lshlrev_b32_e32 v20, 4, v1
	s_add_i32 s49, s2, s3
	s_movk_i32 s2, 0x80
	v_rcp_iflag_f32_e32 v10, v10
	v_lshlrev_b32_e32 v23, 2, v0
	v_cmp_gt_u32_e64 s[2:3], s2, v0
	v_cmp_gt_u32_e64 s[4:5], 64, v0
	;; [unrolled: 1-line block ×7, first 2 shown]
	v_cmp_eq_u32_e64 s[16:17], 0, v0
	v_or_b32_e32 v0, v20, v19
	v_lshlrev_b32_e32 v24, 3, v0
	v_cmp_gt_u32_e64 s[18:19], s22, v19
	v_or_b32_e32 v0, 4, v19
	v_mul_f32_e32 v10, 0x4f7ffffe, v10
	s_and_b64 s[34:35], vcc, s[18:19]
	v_cmp_gt_u32_e64 s[18:19], s22, v0
	v_or_b32_e32 v8, 8, v19
	v_cvt_u32_f32_e32 v12, v10
	s_and_b64 s[36:37], vcc, s[18:19]
	v_cmp_gt_u32_e64 s[18:19], s22, v8
	v_or_b32_e32 v11, 12, v19
	s_and_b64 s[38:39], vcc, s[18:19]
	v_cmp_gt_u32_e64 s[18:19], s22, v11
	s_and_b64 s[40:41], vcc, s[18:19]
	s_sub_i32 s18, 0, s21
	s_mov_b32 s42, 0
	v_add_u32_e32 v0, s31, v2
	v_mul_lo_u32 v13, s18, v12
	v_add_u32_e32 v8, s31, v0
	v_mul_hi_u32 v13, v12, v13
	s_mov_b32 s43, s42
	v_mov_b32_e32 v21, 0
	v_mov_b32_e32 v1, v3
	v_mov_b32_e32 v9, v3
	v_add_u32_e32 v10, s31, v8
	v_mov_b32_e32 v11, v3
	v_add_u32_e32 v25, v12, v13
	v_mov_b64_e32 v[12:13], s[42:43]
	s_mov_b64 s[42:43], 0x60
	v_mov_b32_e32 v26, 1
	v_mov_b32_e32 v16, 0
	s_branch .LBB173_7
.LBB173_6:                              ;   in Loop: Header=BB173_7 Depth=1
	s_or_b64 exec, exec, s[18:19]
	s_waitcnt lgkmcnt(0)
	s_barrier
	ds_read_b32 v16, v3
	s_add_i32 s30, s31, s30
	s_waitcnt lgkmcnt(0)
	s_barrier
	v_cmp_gt_i32_e32 vcc, s20, v16
	s_cbranch_vccz .LBB173_41
.LBB173_7:                              ; =>This Loop Header: Depth=1
                                        ;     Child Loop BB173_10 Depth 2
	v_add_u32_e32 v14, v27, v19
	v_cmp_lt_i32_e32 vcc, v14, v18
	v_mov_b32_e32 v28, s20
	v_mov_b32_e32 v27, v18
	ds_write_b8 v3, v21 offset:8192
	ds_write2_b64 v24, v[12:13], v[12:13] offset1:4
	ds_write2_b64 v24, v[12:13], v[12:13] offset0:8 offset1:12
	s_waitcnt lgkmcnt(0)
	s_barrier
	s_and_saveexec_b64 s[44:45], vcc
	s_cbranch_execz .LBB173_15
; %bb.8:                                ;   in Loop: Header=BB173_7 Depth=1
	v_mul_lo_u32 v17, v16, s22
	s_mov_b64 s[46:47], 0
	v_mov_b32_e32 v28, s20
	v_mov_b32_e32 v27, v18
	s_branch .LBB173_10
.LBB173_9:                              ;   in Loop: Header=BB173_10 Depth=2
	s_or_b64 exec, exec, s[18:19]
	v_add_u32_e32 v14, 4, v14
	v_cmp_ge_i32_e64 s[18:19], v14, v18
	s_xor_b64 s[52:53], vcc, -1
	s_or_b64 s[18:19], s[52:53], s[18:19]
	s_and_b64 s[18:19], exec, s[18:19]
	s_or_b64 s[46:47], s[18:19], s[46:47]
	s_andn2_b64 exec, exec, s[46:47]
	s_cbranch_execz .LBB173_14
.LBB173_10:                             ;   Parent Loop BB173_7 Depth=1
                                        ; =>  This Inner Loop Header: Depth=2
	v_ashrrev_i32_e32 v15, 31, v14
	v_lshl_add_u64 v[30:31], v[14:15], 2, s[28:29]
	global_load_dword v29, v[30:31], off
	s_waitcnt vmcnt(0)
	v_subrev_u32_e32 v29, s23, v29
	v_sub_u32_e32 v31, 0, v29
	v_max_i32_e32 v31, v29, v31
	v_mul_hi_u32 v32, v31, v25
	v_mul_lo_u32 v33, v32, s21
	v_sub_u32_e32 v31, v31, v33
	v_add_u32_e32 v34, 1, v32
	v_cmp_le_u32_e32 vcc, s21, v31
	v_subrev_u32_e32 v33, s21, v31
	v_ashrrev_i32_e32 v30, 31, v29
	v_cndmask_b32_e32 v32, v32, v34, vcc
	v_cndmask_b32_e32 v31, v31, v33, vcc
	v_add_u32_e32 v33, 1, v32
	v_cmp_le_u32_e32 vcc, s21, v31
	v_xor_b32_e32 v30, s48, v30
	s_nop 0
	v_cndmask_b32_e32 v31, v32, v33, vcc
	v_xor_b32_e32 v31, v31, v30
	v_sub_u32_e32 v31, v31, v30
	v_cmp_eq_u32_e32 vcc, v31, v16
	v_cmp_ne_u32_e64 s[18:19], v31, v16
	v_mov_b32_e32 v30, v27
	s_and_saveexec_b64 s[52:53], s[18:19]
	s_xor_b64 s[18:19], exec, s[52:53]
; %bb.11:                               ;   in Loop: Header=BB173_10 Depth=2
	v_min_i32_e32 v28, v31, v28
                                        ; implicit-def: $vgpr29
                                        ; implicit-def: $vgpr30
; %bb.12:                               ;   in Loop: Header=BB173_10 Depth=2
	s_or_saveexec_b64 s[18:19], s[18:19]
	v_mov_b32_e32 v27, v14
	s_xor_b64 exec, exec, s[18:19]
	s_cbranch_execz .LBB173_9
; %bb.13:                               ;   in Loop: Header=BB173_10 Depth=2
	v_lshl_add_u64 v[32:33], v[14:15], 3, s[26:27]
	global_load_dwordx2 v[32:33], v[32:33], off
	v_sub_u32_e32 v15, v29, v17
	v_add_lshl_u32 v15, v15, v20, 3
	v_mov_b32_e32 v27, v30
	ds_write_b8 v3, v26 offset:8192
	s_waitcnt vmcnt(0)
	ds_write_b64 v15, v[32:33]
	s_branch .LBB173_9
.LBB173_14:                             ;   in Loop: Header=BB173_7 Depth=1
	s_or_b64 exec, exec, s[46:47]
.LBB173_15:                             ;   in Loop: Header=BB173_7 Depth=1
	s_or_b64 exec, exec, s[44:45]
	v_mov_b32_dpp v14, v27 row_shr:1 row_mask:0xf bank_mask:0xf
	v_min_i32_e32 v14, v14, v27
	s_waitcnt lgkmcnt(0)
	s_barrier
	ds_read_u8 v15, v3 offset:8192
	v_mov_b32_dpp v17, v14 row_shr:2 row_mask:0xf bank_mask:0xf
	v_min_i32_e32 v14, v17, v14
	ds_bpermute_b32 v27, v22, v14
	s_mov_b32 s31, 0
	s_waitcnt lgkmcnt(1)
	v_cmp_eq_u32_e32 vcc, 0, v15
	s_cbranch_vccnz .LBB173_22
; %bb.16:                               ;   in Loop: Header=BB173_7 Depth=1
	s_ashr_i32 s31, s30, 31
	s_lshl_b64 s[18:19], s[30:31], 2
	s_add_u32 s18, s24, s18
	v_add_u32_e32 v14, s33, v16
	s_addc_u32 s19, s25, s19
	global_store_dword v3, v14, s[18:19]
	s_mul_hi_u32 s18, s50, s30
	s_mul_i32 s19, s50, s31
	s_add_i32 s18, s18, s19
	s_mul_i32 s19, s49, s30
	s_add_i32 s19, s18, s19
	s_mul_i32 s18, s50, s30
	s_lshl_b64 s[18:19], s[18:19], 3
	v_lshl_add_u64 v[14:15], v[4:5], 0, s[18:19]
	v_lshl_add_u64 v[16:17], v[6:7], 0, s[18:19]
	s_and_saveexec_b64 s[18:19], s[34:35]
	s_cbranch_execnz .LBB173_38
; %bb.17:                               ;   in Loop: Header=BB173_7 Depth=1
	s_or_b64 exec, exec, s[18:19]
	s_and_saveexec_b64 s[18:19], s[36:37]
	s_cbranch_execnz .LBB173_39
.LBB173_18:                             ;   in Loop: Header=BB173_7 Depth=1
	s_or_b64 exec, exec, s[18:19]
	s_and_saveexec_b64 s[18:19], s[38:39]
	s_cbranch_execnz .LBB173_40
.LBB173_19:                             ;   in Loop: Header=BB173_7 Depth=1
	s_or_b64 exec, exec, s[18:19]
	s_and_saveexec_b64 s[18:19], s[40:41]
	s_cbranch_execz .LBB173_21
.LBB173_20:                             ;   in Loop: Header=BB173_7 Depth=1
	ds_read_b64 v[30:31], v24 offset:96
	v_lshl_add_u64 v[16:17], v[16:17], 0, s[42:43]
	v_lshl_add_u64 v[14:15], v[10:11], 3, v[14:15]
	v_cndmask_b32_e64 v15, v15, v17, s[0:1]
	v_cndmask_b32_e64 v14, v14, v16, s[0:1]
	s_waitcnt lgkmcnt(0)
	global_store_dwordx2 v[14:15], v[30:31], off
.LBB173_21:                             ;   in Loop: Header=BB173_7 Depth=1
	s_or_b64 exec, exec, s[18:19]
	s_mov_b32 s31, 1
.LBB173_22:                             ;   in Loop: Header=BB173_7 Depth=1
	s_waitcnt lgkmcnt(0)
	s_barrier
	ds_write_b32 v23, v28
	s_waitcnt lgkmcnt(0)
	s_barrier
	s_and_saveexec_b64 s[18:19], s[2:3]
	s_cbranch_execz .LBB173_24
; %bb.23:                               ;   in Loop: Header=BB173_7 Depth=1
	ds_read2st64_b32 v[14:15], v23 offset1:2
	s_waitcnt lgkmcnt(0)
	v_min_i32_e32 v14, v15, v14
	ds_write_b32 v23, v14
.LBB173_24:                             ;   in Loop: Header=BB173_7 Depth=1
	s_or_b64 exec, exec, s[18:19]
	s_waitcnt lgkmcnt(0)
	s_barrier
	s_and_saveexec_b64 s[18:19], s[4:5]
	s_cbranch_execz .LBB173_26
; %bb.25:                               ;   in Loop: Header=BB173_7 Depth=1
	ds_read2st64_b32 v[14:15], v23 offset1:1
	s_waitcnt lgkmcnt(0)
	v_min_i32_e32 v14, v15, v14
	ds_write_b32 v23, v14
.LBB173_26:                             ;   in Loop: Header=BB173_7 Depth=1
	s_or_b64 exec, exec, s[18:19]
	s_waitcnt lgkmcnt(0)
	s_barrier
	s_and_saveexec_b64 s[18:19], s[6:7]
	s_cbranch_execz .LBB173_28
; %bb.27:                               ;   in Loop: Header=BB173_7 Depth=1
	ds_read2_b32 v[14:15], v23 offset1:32
	s_waitcnt lgkmcnt(0)
	v_min_i32_e32 v14, v15, v14
	ds_write_b32 v23, v14
.LBB173_28:                             ;   in Loop: Header=BB173_7 Depth=1
	s_or_b64 exec, exec, s[18:19]
	s_waitcnt lgkmcnt(0)
	s_barrier
	s_and_saveexec_b64 s[18:19], s[8:9]
	s_cbranch_execz .LBB173_30
; %bb.29:                               ;   in Loop: Header=BB173_7 Depth=1
	ds_read2_b32 v[14:15], v23 offset1:16
	s_waitcnt lgkmcnt(0)
	v_min_i32_e32 v14, v15, v14
	ds_write_b32 v23, v14
.LBB173_30:                             ;   in Loop: Header=BB173_7 Depth=1
	;; [unrolled: 11-line block ×5, first 2 shown]
	s_or_b64 exec, exec, s[18:19]
	s_waitcnt lgkmcnt(0)
	s_barrier
	s_and_saveexec_b64 s[18:19], s[16:17]
	s_cbranch_execz .LBB173_6
; %bb.37:                               ;   in Loop: Header=BB173_7 Depth=1
	ds_read_b64 v[14:15], v3
	s_waitcnt lgkmcnt(0)
	v_min_i32_e32 v14, v15, v14
	ds_write_b32 v3, v14
	s_branch .LBB173_6
.LBB173_38:                             ;   in Loop: Header=BB173_7 Depth=1
	ds_read_b64 v[30:31], v24
	v_lshl_add_u64 v[32:33], v[2:3], 3, v[14:15]
	v_cndmask_b32_e64 v33, v33, v17, s[0:1]
	v_cndmask_b32_e64 v32, v32, v16, s[0:1]
	s_waitcnt lgkmcnt(0)
	global_store_dwordx2 v[32:33], v[30:31], off
	s_or_b64 exec, exec, s[18:19]
	s_and_saveexec_b64 s[18:19], s[36:37]
	s_cbranch_execz .LBB173_18
.LBB173_39:                             ;   in Loop: Header=BB173_7 Depth=1
	ds_read_b64 v[30:31], v24 offset:32
	v_lshl_add_u64 v[32:33], v[16:17], 0, 32
	v_lshl_add_u64 v[34:35], v[0:1], 3, v[14:15]
	v_cndmask_b32_e64 v33, v35, v33, s[0:1]
	v_cndmask_b32_e64 v32, v34, v32, s[0:1]
	s_waitcnt lgkmcnt(0)
	global_store_dwordx2 v[32:33], v[30:31], off
	s_or_b64 exec, exec, s[18:19]
	s_and_saveexec_b64 s[18:19], s[38:39]
	s_cbranch_execz .LBB173_19
.LBB173_40:                             ;   in Loop: Header=BB173_7 Depth=1
	ds_read_b64 v[30:31], v24 offset:64
	v_lshl_add_u64 v[32:33], v[16:17], 0, 64
	v_lshl_add_u64 v[34:35], v[8:9], 3, v[14:15]
	v_cndmask_b32_e64 v33, v35, v33, s[0:1]
	v_cndmask_b32_e64 v32, v34, v32, s[0:1]
	s_waitcnt lgkmcnt(0)
	global_store_dwordx2 v[32:33], v[30:31], off
	s_or_b64 exec, exec, s[18:19]
	s_and_saveexec_b64 s[18:19], s[40:41]
	s_cbranch_execnz .LBB173_20
	s_branch .LBB173_21
.LBB173_41:
	s_endpgm
	.section	.rodata,"a",@progbits
	.p2align	6, 0x0
	.amdhsa_kernel _ZN9rocsparseL40csr2gebsr_block_per_row_multipass_kernelILj256ELj64ELj16E21rocsparse_complex_numIfEEEv20rocsparse_direction_iiiiii21rocsparse_index_base_PKT2_PKiS9_S4_PS5_PiSB_
		.amdhsa_group_segment_fixed_size 8196
		.amdhsa_private_segment_fixed_size 0
		.amdhsa_kernarg_size 88
		.amdhsa_user_sgpr_count 2
		.amdhsa_user_sgpr_dispatch_ptr 0
		.amdhsa_user_sgpr_queue_ptr 0
		.amdhsa_user_sgpr_kernarg_segment_ptr 1
		.amdhsa_user_sgpr_dispatch_id 0
		.amdhsa_user_sgpr_kernarg_preload_length 0
		.amdhsa_user_sgpr_kernarg_preload_offset 0
		.amdhsa_user_sgpr_private_segment_size 0
		.amdhsa_uses_dynamic_stack 0
		.amdhsa_enable_private_segment 0
		.amdhsa_system_sgpr_workgroup_id_x 1
		.amdhsa_system_sgpr_workgroup_id_y 0
		.amdhsa_system_sgpr_workgroup_id_z 0
		.amdhsa_system_sgpr_workgroup_info 0
		.amdhsa_system_vgpr_workitem_id 0
		.amdhsa_next_free_vgpr 36
		.amdhsa_next_free_sgpr 54
		.amdhsa_accum_offset 36
		.amdhsa_reserve_vcc 1
		.amdhsa_float_round_mode_32 0
		.amdhsa_float_round_mode_16_64 0
		.amdhsa_float_denorm_mode_32 3
		.amdhsa_float_denorm_mode_16_64 3
		.amdhsa_dx10_clamp 1
		.amdhsa_ieee_mode 1
		.amdhsa_fp16_overflow 0
		.amdhsa_tg_split 0
		.amdhsa_exception_fp_ieee_invalid_op 0
		.amdhsa_exception_fp_denorm_src 0
		.amdhsa_exception_fp_ieee_div_zero 0
		.amdhsa_exception_fp_ieee_overflow 0
		.amdhsa_exception_fp_ieee_underflow 0
		.amdhsa_exception_fp_ieee_inexact 0
		.amdhsa_exception_int_div_zero 0
	.end_amdhsa_kernel
	.section	.text._ZN9rocsparseL40csr2gebsr_block_per_row_multipass_kernelILj256ELj64ELj16E21rocsparse_complex_numIfEEEv20rocsparse_direction_iiiiii21rocsparse_index_base_PKT2_PKiS9_S4_PS5_PiSB_,"axG",@progbits,_ZN9rocsparseL40csr2gebsr_block_per_row_multipass_kernelILj256ELj64ELj16E21rocsparse_complex_numIfEEEv20rocsparse_direction_iiiiii21rocsparse_index_base_PKT2_PKiS9_S4_PS5_PiSB_,comdat
.Lfunc_end173:
	.size	_ZN9rocsparseL40csr2gebsr_block_per_row_multipass_kernelILj256ELj64ELj16E21rocsparse_complex_numIfEEEv20rocsparse_direction_iiiiii21rocsparse_index_base_PKT2_PKiS9_S4_PS5_PiSB_, .Lfunc_end173-_ZN9rocsparseL40csr2gebsr_block_per_row_multipass_kernelILj256ELj64ELj16E21rocsparse_complex_numIfEEEv20rocsparse_direction_iiiiii21rocsparse_index_base_PKT2_PKiS9_S4_PS5_PiSB_
                                        ; -- End function
	.section	.AMDGPU.csdata,"",@progbits
; Kernel info:
; codeLenInByte = 1800
; NumSgprs: 60
; NumVgprs: 36
; NumAgprs: 0
; TotalNumVgprs: 36
; ScratchSize: 0
; MemoryBound: 0
; FloatMode: 240
; IeeeMode: 1
; LDSByteSize: 8196 bytes/workgroup (compile time only)
; SGPRBlocks: 7
; VGPRBlocks: 4
; NumSGPRsForWavesPerEU: 60
; NumVGPRsForWavesPerEU: 36
; AccumOffset: 36
; Occupancy: 7
; WaveLimiterHint : 0
; COMPUTE_PGM_RSRC2:SCRATCH_EN: 0
; COMPUTE_PGM_RSRC2:USER_SGPR: 2
; COMPUTE_PGM_RSRC2:TRAP_HANDLER: 0
; COMPUTE_PGM_RSRC2:TGID_X_EN: 1
; COMPUTE_PGM_RSRC2:TGID_Y_EN: 0
; COMPUTE_PGM_RSRC2:TGID_Z_EN: 0
; COMPUTE_PGM_RSRC2:TIDIG_COMP_CNT: 0
; COMPUTE_PGM_RSRC3_GFX90A:ACCUM_OFFSET: 8
; COMPUTE_PGM_RSRC3_GFX90A:TG_SPLIT: 0
	.section	.text._ZN9rocsparseL40csr2gebsr_block_per_row_multipass_kernelILj256ELj64ELj32E21rocsparse_complex_numIfEEEv20rocsparse_direction_iiiiii21rocsparse_index_base_PKT2_PKiS9_S4_PS5_PiSB_,"axG",@progbits,_ZN9rocsparseL40csr2gebsr_block_per_row_multipass_kernelILj256ELj64ELj32E21rocsparse_complex_numIfEEEv20rocsparse_direction_iiiiii21rocsparse_index_base_PKT2_PKiS9_S4_PS5_PiSB_,comdat
	.globl	_ZN9rocsparseL40csr2gebsr_block_per_row_multipass_kernelILj256ELj64ELj32E21rocsparse_complex_numIfEEEv20rocsparse_direction_iiiiii21rocsparse_index_base_PKT2_PKiS9_S4_PS5_PiSB_ ; -- Begin function _ZN9rocsparseL40csr2gebsr_block_per_row_multipass_kernelILj256ELj64ELj32E21rocsparse_complex_numIfEEEv20rocsparse_direction_iiiiii21rocsparse_index_base_PKT2_PKiS9_S4_PS5_PiSB_
	.p2align	8
	.type	_ZN9rocsparseL40csr2gebsr_block_per_row_multipass_kernelILj256ELj64ELj32E21rocsparse_complex_numIfEEEv20rocsparse_direction_iiiiii21rocsparse_index_base_PKT2_PKiS9_S4_PS5_PiSB_,@function
_ZN9rocsparseL40csr2gebsr_block_per_row_multipass_kernelILj256ELj64ELj32E21rocsparse_complex_numIfEEEv20rocsparse_direction_iiiiii21rocsparse_index_base_PKT2_PKiS9_S4_PS5_PiSB_: ; @_ZN9rocsparseL40csr2gebsr_block_per_row_multipass_kernelILj256ELj64ELj32E21rocsparse_complex_numIfEEEv20rocsparse_direction_iiiiii21rocsparse_index_base_PKT2_PKiS9_S4_PS5_PiSB_
; %bb.0:
	s_load_dwordx4 s[20:23], s[0:1], 0x10
	s_load_dwordx2 s[6:7], s[0:1], 0x0
	s_load_dwordx2 s[8:9], s[0:1], 0x28
	v_lshrrev_b32_e32 v1, 2, v0
	v_mov_b32_e32 v26, 0
	s_waitcnt lgkmcnt(0)
	s_mul_i32 s3, s2, s21
	v_add_u32_e32 v2, s3, v1
	v_cmp_gt_i32_e64 s[4:5], s7, v2
	v_cmp_gt_i32_e32 vcc, s21, v1
	s_and_b64 s[4:5], vcc, s[4:5]
	v_mov_b32_e32 v33, 0
	s_and_saveexec_b64 s[10:11], s[4:5]
	s_cbranch_execnz .LBB174_3
; %bb.1:
	s_or_b64 exec, exec, s[10:11]
	s_and_saveexec_b64 s[10:11], s[4:5]
	s_cbranch_execnz .LBB174_4
.LBB174_2:
	s_or_b64 exec, exec, s[10:11]
	s_cmp_lt_i32 s20, 1
	s_cbranch_scc0 .LBB174_5
	s_branch .LBB174_49
.LBB174_3:
	v_ashrrev_i32_e32 v3, 31, v2
	v_lshl_add_u64 v[4:5], v[2:3], 2, s[8:9]
	global_load_dword v3, v[4:5], off
	s_waitcnt vmcnt(0)
	v_subrev_u32_e32 v33, s23, v3
	s_or_b64 exec, exec, s[10:11]
	s_and_saveexec_b64 s[10:11], s[4:5]
	s_cbranch_execz .LBB174_2
.LBB174_4:
	v_ashrrev_i32_e32 v3, 31, v2
	v_lshl_add_u64 v[2:3], v[2:3], 2, s[8:9]
	global_load_dword v2, v[2:3], off offset:4
	s_waitcnt vmcnt(0)
	v_subrev_u32_e32 v26, s23, v2
	s_or_b64 exec, exec, s[10:11]
	s_cmp_lt_i32 s20, 1
	s_cbranch_scc1 .LBB174_49
.LBB174_5:
	s_load_dwordx4 s[8:11], s[0:1], 0x40
	s_load_dwordx2 s[24:25], s[0:1], 0x50
	s_load_dword s33, s[0:1], 0x38
	s_ashr_i32 s3, s2, 31
	s_lshl_b64 s[2:3], s[2:3], 2
	s_waitcnt lgkmcnt(0)
	s_add_u32 s2, s10, s2
	s_addc_u32 s3, s11, s3
	s_load_dword s4, s[2:3], 0x0
	s_load_dwordx2 s[26:27], s[0:1], 0x20
	s_load_dwordx2 s[28:29], s[0:1], 0x30
	v_mbcnt_lo_u32_b32 v2, -1, 0
	v_mbcnt_hi_u32_b32 v2, -1, v2
	s_waitcnt lgkmcnt(0)
	s_sub_i32 s30, s4, s33
	v_mul_lo_u32 v6, v1, s22
	v_and_b32_e32 v27, 3, v0
	v_lshl_or_b32 v30, v2, 2, 12
	s_cmp_eq_u32 s6, 0
	v_lshlrev_b32_e32 v2, 3, v1
	v_mov_b32_e32 v3, 0
	v_ashrrev_i32_e32 v7, 31, v6
	s_cselect_b64 s[0:1], -1, 0
	s_ashr_i32 s64, s22, 31
	v_lshl_add_u64 v[4:5], s[8:9], 0, v[2:3]
	v_lshl_add_u64 v[6:7], v[6:7], 3, s[8:9]
	v_lshlrev_b32_e32 v2, 3, v27
	s_mul_hi_u32 s2, s22, s21
	s_mul_i32 s3, s64, s21
	s_mul_i32 s66, s22, s21
	v_lshl_add_u64 v[6:7], v[6:7], 0, v[2:3]
	v_mul_lo_u32 v2, v27, s21
	s_lshl_b32 s31, s21, 2
	s_abs_i32 s21, s22
	v_cvt_f32_u32_e32 v18, s21
	v_lshlrev_b32_e32 v28, 5, v1
	s_add_i32 s65, s2, s3
	s_movk_i32 s2, 0x80
	v_lshlrev_b32_e32 v31, 2, v0
	v_cmp_gt_u32_e64 s[2:3], s2, v0
	v_cmp_gt_u32_e64 s[4:5], 64, v0
	;; [unrolled: 1-line block ×7, first 2 shown]
	v_cmp_eq_u32_e64 s[16:17], 0, v0
	v_or_b32_e32 v0, v28, v27
	v_lshlrev_b32_e32 v32, 3, v0
	v_cmp_gt_u32_e64 s[18:19], s22, v27
	v_or_b32_e32 v0, 4, v27
	v_rcp_iflag_f32_e32 v18, v18
	s_and_b64 s[34:35], vcc, s[18:19]
	v_cmp_gt_u32_e64 s[18:19], s22, v0
	v_or_b32_e32 v8, 8, v27
	s_and_b64 s[36:37], vcc, s[18:19]
	v_cmp_gt_u32_e64 s[18:19], s22, v8
	v_or_b32_e32 v10, 12, v27
	;; [unrolled: 3-line block ×4, first 2 shown]
	v_mul_f32_e32 v18, 0x4f7ffffe, v18
	v_add_u32_e32 v0, s31, v2
	s_and_b64 s[42:43], vcc, s[18:19]
	v_cmp_gt_u32_e64 s[18:19], s22, v14
	v_or_b32_e32 v16, 24, v27
	v_cvt_u32_f32_e32 v20, v18
	v_add_u32_e32 v8, s31, v0
	s_and_b64 s[44:45], vcc, s[18:19]
	v_cmp_gt_u32_e64 s[18:19], s22, v16
	v_or_b32_e32 v19, 28, v27
	v_add_u32_e32 v10, s31, v8
	s_and_b64 s[46:47], vcc, s[18:19]
	v_cmp_gt_u32_e64 s[18:19], s22, v19
	v_add_u32_e32 v12, s31, v10
	s_and_b64 s[48:49], vcc, s[18:19]
	s_sub_i32 s18, 0, s21
	s_mov_b32 s50, 0
	v_add_u32_e32 v14, s31, v12
	v_mul_lo_u32 v21, s18, v20
	v_add_u32_e32 v16, s31, v14
	v_mul_hi_u32 v21, v20, v21
	s_mov_b32 s51, s50
	v_mov_b32_e32 v29, 0
	v_mov_b32_e32 v1, v3
	;; [unrolled: 1-line block ×7, first 2 shown]
	v_add_u32_e32 v18, s31, v16
	v_mov_b32_e32 v19, v3
	v_add_u32_e32 v34, v20, v21
	v_mov_b64_e32 v[20:21], s[50:51]
	s_mov_b64 s[50:51], 0x60
	s_mov_b64 s[52:53], 0x80
	;; [unrolled: 1-line block ×5, first 2 shown]
	v_mov_b32_e32 v35, 1
	v_mov_b32_e32 v24, 0
	s_branch .LBB174_7
.LBB174_6:                              ;   in Loop: Header=BB174_7 Depth=1
	s_or_b64 exec, exec, s[18:19]
	s_waitcnt lgkmcnt(0)
	s_barrier
	ds_read_b32 v24, v3
	s_add_i32 s30, s31, s30
	s_waitcnt lgkmcnt(0)
	s_barrier
	v_cmp_gt_i32_e32 vcc, s20, v24
	s_cbranch_vccz .LBB174_49
.LBB174_7:                              ; =>This Loop Header: Depth=1
                                        ;     Child Loop BB174_10 Depth 2
	v_add_u32_e32 v22, v33, v27
	v_cmp_lt_i32_e32 vcc, v22, v26
	v_mov_b32_e32 v36, s20
	v_mov_b32_e32 v33, v26
	ds_write_b8 v3, v29 offset:16384
	ds_write2_b64 v32, v[20:21], v[20:21] offset1:4
	ds_write2_b64 v32, v[20:21], v[20:21] offset0:8 offset1:12
	ds_write2_b64 v32, v[20:21], v[20:21] offset0:16 offset1:20
	;; [unrolled: 1-line block ×3, first 2 shown]
	s_waitcnt lgkmcnt(0)
	s_barrier
	s_and_saveexec_b64 s[60:61], vcc
	s_cbranch_execz .LBB174_15
; %bb.8:                                ;   in Loop: Header=BB174_7 Depth=1
	v_mul_lo_u32 v25, v24, s22
	s_mov_b64 s[62:63], 0
	v_mov_b32_e32 v36, s20
	v_mov_b32_e32 v33, v26
	s_branch .LBB174_10
.LBB174_9:                              ;   in Loop: Header=BB174_10 Depth=2
	s_or_b64 exec, exec, s[18:19]
	v_add_u32_e32 v22, 4, v22
	v_cmp_ge_i32_e64 s[18:19], v22, v26
	s_xor_b64 s[68:69], vcc, -1
	s_or_b64 s[18:19], s[68:69], s[18:19]
	s_and_b64 s[18:19], exec, s[18:19]
	s_or_b64 s[62:63], s[18:19], s[62:63]
	s_andn2_b64 exec, exec, s[62:63]
	s_cbranch_execz .LBB174_14
.LBB174_10:                             ;   Parent Loop BB174_7 Depth=1
                                        ; =>  This Inner Loop Header: Depth=2
	v_ashrrev_i32_e32 v23, 31, v22
	v_lshl_add_u64 v[38:39], v[22:23], 2, s[28:29]
	global_load_dword v37, v[38:39], off
	s_waitcnt vmcnt(0)
	v_subrev_u32_e32 v37, s23, v37
	v_sub_u32_e32 v39, 0, v37
	v_max_i32_e32 v39, v37, v39
	v_mul_hi_u32 v40, v39, v34
	v_mul_lo_u32 v41, v40, s21
	v_sub_u32_e32 v39, v39, v41
	v_add_u32_e32 v42, 1, v40
	v_cmp_le_u32_e32 vcc, s21, v39
	v_subrev_u32_e32 v41, s21, v39
	v_ashrrev_i32_e32 v38, 31, v37
	v_cndmask_b32_e32 v40, v40, v42, vcc
	v_cndmask_b32_e32 v39, v39, v41, vcc
	v_add_u32_e32 v41, 1, v40
	v_cmp_le_u32_e32 vcc, s21, v39
	v_xor_b32_e32 v38, s64, v38
	s_nop 0
	v_cndmask_b32_e32 v39, v40, v41, vcc
	v_xor_b32_e32 v39, v39, v38
	v_sub_u32_e32 v39, v39, v38
	v_cmp_eq_u32_e32 vcc, v39, v24
	v_cmp_ne_u32_e64 s[18:19], v39, v24
	v_mov_b32_e32 v38, v33
	s_and_saveexec_b64 s[68:69], s[18:19]
	s_xor_b64 s[18:19], exec, s[68:69]
; %bb.11:                               ;   in Loop: Header=BB174_10 Depth=2
	v_min_i32_e32 v36, v39, v36
                                        ; implicit-def: $vgpr37
                                        ; implicit-def: $vgpr38
; %bb.12:                               ;   in Loop: Header=BB174_10 Depth=2
	s_or_saveexec_b64 s[18:19], s[18:19]
	v_mov_b32_e32 v33, v22
	s_xor_b64 exec, exec, s[18:19]
	s_cbranch_execz .LBB174_9
; %bb.13:                               ;   in Loop: Header=BB174_10 Depth=2
	v_lshl_add_u64 v[40:41], v[22:23], 3, s[26:27]
	global_load_dwordx2 v[40:41], v[40:41], off
	v_sub_u32_e32 v23, v37, v25
	v_add_lshl_u32 v23, v23, v28, 3
	v_mov_b32_e32 v33, v38
	ds_write_b8 v3, v35 offset:16384
	s_waitcnt vmcnt(0)
	ds_write_b64 v23, v[40:41]
	s_branch .LBB174_9
.LBB174_14:                             ;   in Loop: Header=BB174_7 Depth=1
	s_or_b64 exec, exec, s[62:63]
.LBB174_15:                             ;   in Loop: Header=BB174_7 Depth=1
	s_or_b64 exec, exec, s[60:61]
	v_mov_b32_dpp v22, v33 row_shr:1 row_mask:0xf bank_mask:0xf
	v_min_i32_e32 v22, v22, v33
	s_waitcnt lgkmcnt(0)
	s_barrier
	ds_read_u8 v23, v3 offset:16384
	v_mov_b32_dpp v25, v22 row_shr:2 row_mask:0xf bank_mask:0xf
	v_min_i32_e32 v22, v25, v22
	ds_bpermute_b32 v33, v30, v22
	s_mov_b32 s31, 0
	s_waitcnt lgkmcnt(1)
	v_cmp_eq_u32_e32 vcc, 0, v23
	s_cbranch_vccnz .LBB174_26
; %bb.16:                               ;   in Loop: Header=BB174_7 Depth=1
	s_ashr_i32 s31, s30, 31
	s_lshl_b64 s[18:19], s[30:31], 2
	s_add_u32 s18, s24, s18
	v_add_u32_e32 v22, s33, v24
	s_addc_u32 s19, s25, s19
	global_store_dword v3, v22, s[18:19]
	s_mul_hi_u32 s18, s66, s30
	s_mul_i32 s19, s66, s31
	s_add_i32 s18, s18, s19
	s_mul_i32 s19, s65, s30
	s_add_i32 s19, s18, s19
	s_mul_i32 s18, s66, s30
	s_lshl_b64 s[18:19], s[18:19], 3
	v_lshl_add_u64 v[22:23], v[4:5], 0, s[18:19]
	v_lshl_add_u64 v[24:25], v[6:7], 0, s[18:19]
	s_and_saveexec_b64 s[18:19], s[34:35]
	s_cbranch_execnz .LBB174_42
; %bb.17:                               ;   in Loop: Header=BB174_7 Depth=1
	s_or_b64 exec, exec, s[18:19]
	s_and_saveexec_b64 s[18:19], s[36:37]
	s_cbranch_execnz .LBB174_43
.LBB174_18:                             ;   in Loop: Header=BB174_7 Depth=1
	s_or_b64 exec, exec, s[18:19]
	s_and_saveexec_b64 s[18:19], s[38:39]
	s_cbranch_execnz .LBB174_44
.LBB174_19:                             ;   in Loop: Header=BB174_7 Depth=1
	s_or_b64 exec, exec, s[18:19]
	s_and_saveexec_b64 s[18:19], s[40:41]
	s_cbranch_execnz .LBB174_45
.LBB174_20:                             ;   in Loop: Header=BB174_7 Depth=1
	s_or_b64 exec, exec, s[18:19]
	s_and_saveexec_b64 s[18:19], s[42:43]
	s_cbranch_execnz .LBB174_46
.LBB174_21:                             ;   in Loop: Header=BB174_7 Depth=1
	s_or_b64 exec, exec, s[18:19]
	s_and_saveexec_b64 s[18:19], s[44:45]
	s_cbranch_execnz .LBB174_47
.LBB174_22:                             ;   in Loop: Header=BB174_7 Depth=1
	s_or_b64 exec, exec, s[18:19]
	s_and_saveexec_b64 s[18:19], s[46:47]
	s_cbranch_execnz .LBB174_48
.LBB174_23:                             ;   in Loop: Header=BB174_7 Depth=1
	s_or_b64 exec, exec, s[18:19]
	s_and_saveexec_b64 s[18:19], s[48:49]
	s_cbranch_execz .LBB174_25
.LBB174_24:                             ;   in Loop: Header=BB174_7 Depth=1
	ds_read_b64 v[38:39], v32 offset:224
	v_lshl_add_u64 v[24:25], v[24:25], 0, s[58:59]
	v_lshl_add_u64 v[22:23], v[18:19], 3, v[22:23]
	v_cndmask_b32_e64 v23, v23, v25, s[0:1]
	v_cndmask_b32_e64 v22, v22, v24, s[0:1]
	s_waitcnt lgkmcnt(0)
	global_store_dwordx2 v[22:23], v[38:39], off
.LBB174_25:                             ;   in Loop: Header=BB174_7 Depth=1
	s_or_b64 exec, exec, s[18:19]
	s_mov_b32 s31, 1
.LBB174_26:                             ;   in Loop: Header=BB174_7 Depth=1
	s_waitcnt lgkmcnt(0)
	s_barrier
	ds_write_b32 v31, v36
	s_waitcnt lgkmcnt(0)
	s_barrier
	s_and_saveexec_b64 s[18:19], s[2:3]
	s_cbranch_execz .LBB174_28
; %bb.27:                               ;   in Loop: Header=BB174_7 Depth=1
	ds_read2st64_b32 v[22:23], v31 offset1:2
	s_waitcnt lgkmcnt(0)
	v_min_i32_e32 v22, v23, v22
	ds_write_b32 v31, v22
.LBB174_28:                             ;   in Loop: Header=BB174_7 Depth=1
	s_or_b64 exec, exec, s[18:19]
	s_waitcnt lgkmcnt(0)
	s_barrier
	s_and_saveexec_b64 s[18:19], s[4:5]
	s_cbranch_execz .LBB174_30
; %bb.29:                               ;   in Loop: Header=BB174_7 Depth=1
	ds_read2st64_b32 v[22:23], v31 offset1:1
	s_waitcnt lgkmcnt(0)
	v_min_i32_e32 v22, v23, v22
	ds_write_b32 v31, v22
.LBB174_30:                             ;   in Loop: Header=BB174_7 Depth=1
	s_or_b64 exec, exec, s[18:19]
	s_waitcnt lgkmcnt(0)
	s_barrier
	s_and_saveexec_b64 s[18:19], s[6:7]
	s_cbranch_execz .LBB174_32
; %bb.31:                               ;   in Loop: Header=BB174_7 Depth=1
	ds_read2_b32 v[22:23], v31 offset1:32
	s_waitcnt lgkmcnt(0)
	v_min_i32_e32 v22, v23, v22
	ds_write_b32 v31, v22
.LBB174_32:                             ;   in Loop: Header=BB174_7 Depth=1
	s_or_b64 exec, exec, s[18:19]
	s_waitcnt lgkmcnt(0)
	s_barrier
	s_and_saveexec_b64 s[18:19], s[8:9]
	s_cbranch_execz .LBB174_34
; %bb.33:                               ;   in Loop: Header=BB174_7 Depth=1
	ds_read2_b32 v[22:23], v31 offset1:16
	s_waitcnt lgkmcnt(0)
	v_min_i32_e32 v22, v23, v22
	ds_write_b32 v31, v22
.LBB174_34:                             ;   in Loop: Header=BB174_7 Depth=1
	;; [unrolled: 11-line block ×5, first 2 shown]
	s_or_b64 exec, exec, s[18:19]
	s_waitcnt lgkmcnt(0)
	s_barrier
	s_and_saveexec_b64 s[18:19], s[16:17]
	s_cbranch_execz .LBB174_6
; %bb.41:                               ;   in Loop: Header=BB174_7 Depth=1
	ds_read_b64 v[22:23], v3
	s_waitcnt lgkmcnt(0)
	v_min_i32_e32 v22, v23, v22
	ds_write_b32 v3, v22
	s_branch .LBB174_6
.LBB174_42:                             ;   in Loop: Header=BB174_7 Depth=1
	ds_read_b64 v[38:39], v32
	v_lshl_add_u64 v[40:41], v[2:3], 3, v[22:23]
	v_cndmask_b32_e64 v41, v41, v25, s[0:1]
	v_cndmask_b32_e64 v40, v40, v24, s[0:1]
	s_waitcnt lgkmcnt(0)
	global_store_dwordx2 v[40:41], v[38:39], off
	s_or_b64 exec, exec, s[18:19]
	s_and_saveexec_b64 s[18:19], s[36:37]
	s_cbranch_execz .LBB174_18
.LBB174_43:                             ;   in Loop: Header=BB174_7 Depth=1
	ds_read_b64 v[38:39], v32 offset:32
	v_lshl_add_u64 v[40:41], v[24:25], 0, 32
	v_lshl_add_u64 v[42:43], v[0:1], 3, v[22:23]
	v_cndmask_b32_e64 v41, v43, v41, s[0:1]
	v_cndmask_b32_e64 v40, v42, v40, s[0:1]
	s_waitcnt lgkmcnt(0)
	global_store_dwordx2 v[40:41], v[38:39], off
	s_or_b64 exec, exec, s[18:19]
	s_and_saveexec_b64 s[18:19], s[38:39]
	s_cbranch_execz .LBB174_19
.LBB174_44:                             ;   in Loop: Header=BB174_7 Depth=1
	ds_read_b64 v[38:39], v32 offset:64
	v_lshl_add_u64 v[40:41], v[24:25], 0, 64
	v_lshl_add_u64 v[42:43], v[8:9], 3, v[22:23]
	v_cndmask_b32_e64 v41, v43, v41, s[0:1]
	v_cndmask_b32_e64 v40, v42, v40, s[0:1]
	s_waitcnt lgkmcnt(0)
	global_store_dwordx2 v[40:41], v[38:39], off
	s_or_b64 exec, exec, s[18:19]
	s_and_saveexec_b64 s[18:19], s[40:41]
	s_cbranch_execz .LBB174_20
.LBB174_45:                             ;   in Loop: Header=BB174_7 Depth=1
	ds_read_b64 v[38:39], v32 offset:96
	v_lshl_add_u64 v[40:41], v[24:25], 0, s[50:51]
	v_lshl_add_u64 v[42:43], v[10:11], 3, v[22:23]
	v_cndmask_b32_e64 v41, v43, v41, s[0:1]
	v_cndmask_b32_e64 v40, v42, v40, s[0:1]
	s_waitcnt lgkmcnt(0)
	global_store_dwordx2 v[40:41], v[38:39], off
	s_or_b64 exec, exec, s[18:19]
	s_and_saveexec_b64 s[18:19], s[42:43]
	s_cbranch_execz .LBB174_21
.LBB174_46:                             ;   in Loop: Header=BB174_7 Depth=1
	ds_read_b64 v[38:39], v32 offset:128
	v_lshl_add_u64 v[40:41], v[24:25], 0, s[52:53]
	v_lshl_add_u64 v[42:43], v[12:13], 3, v[22:23]
	v_cndmask_b32_e64 v41, v43, v41, s[0:1]
	v_cndmask_b32_e64 v40, v42, v40, s[0:1]
	s_waitcnt lgkmcnt(0)
	global_store_dwordx2 v[40:41], v[38:39], off
	s_or_b64 exec, exec, s[18:19]
	s_and_saveexec_b64 s[18:19], s[44:45]
	s_cbranch_execz .LBB174_22
.LBB174_47:                             ;   in Loop: Header=BB174_7 Depth=1
	ds_read_b64 v[38:39], v32 offset:160
	v_lshl_add_u64 v[40:41], v[24:25], 0, s[54:55]
	v_lshl_add_u64 v[42:43], v[14:15], 3, v[22:23]
	v_cndmask_b32_e64 v41, v43, v41, s[0:1]
	v_cndmask_b32_e64 v40, v42, v40, s[0:1]
	s_waitcnt lgkmcnt(0)
	global_store_dwordx2 v[40:41], v[38:39], off
	s_or_b64 exec, exec, s[18:19]
	s_and_saveexec_b64 s[18:19], s[46:47]
	s_cbranch_execz .LBB174_23
.LBB174_48:                             ;   in Loop: Header=BB174_7 Depth=1
	ds_read_b64 v[38:39], v32 offset:192
	v_lshl_add_u64 v[40:41], v[24:25], 0, s[56:57]
	v_lshl_add_u64 v[42:43], v[16:17], 3, v[22:23]
	v_cndmask_b32_e64 v41, v43, v41, s[0:1]
	v_cndmask_b32_e64 v40, v42, v40, s[0:1]
	s_waitcnt lgkmcnt(0)
	global_store_dwordx2 v[40:41], v[38:39], off
	s_or_b64 exec, exec, s[18:19]
	s_and_saveexec_b64 s[18:19], s[48:49]
	s_cbranch_execnz .LBB174_24
	s_branch .LBB174_25
.LBB174_49:
	s_endpgm
	.section	.rodata,"a",@progbits
	.p2align	6, 0x0
	.amdhsa_kernel _ZN9rocsparseL40csr2gebsr_block_per_row_multipass_kernelILj256ELj64ELj32E21rocsparse_complex_numIfEEEv20rocsparse_direction_iiiiii21rocsparse_index_base_PKT2_PKiS9_S4_PS5_PiSB_
		.amdhsa_group_segment_fixed_size 16388
		.amdhsa_private_segment_fixed_size 0
		.amdhsa_kernarg_size 88
		.amdhsa_user_sgpr_count 2
		.amdhsa_user_sgpr_dispatch_ptr 0
		.amdhsa_user_sgpr_queue_ptr 0
		.amdhsa_user_sgpr_kernarg_segment_ptr 1
		.amdhsa_user_sgpr_dispatch_id 0
		.amdhsa_user_sgpr_kernarg_preload_length 0
		.amdhsa_user_sgpr_kernarg_preload_offset 0
		.amdhsa_user_sgpr_private_segment_size 0
		.amdhsa_uses_dynamic_stack 0
		.amdhsa_enable_private_segment 0
		.amdhsa_system_sgpr_workgroup_id_x 1
		.amdhsa_system_sgpr_workgroup_id_y 0
		.amdhsa_system_sgpr_workgroup_id_z 0
		.amdhsa_system_sgpr_workgroup_info 0
		.amdhsa_system_vgpr_workitem_id 0
		.amdhsa_next_free_vgpr 44
		.amdhsa_next_free_sgpr 70
		.amdhsa_accum_offset 44
		.amdhsa_reserve_vcc 1
		.amdhsa_float_round_mode_32 0
		.amdhsa_float_round_mode_16_64 0
		.amdhsa_float_denorm_mode_32 3
		.amdhsa_float_denorm_mode_16_64 3
		.amdhsa_dx10_clamp 1
		.amdhsa_ieee_mode 1
		.amdhsa_fp16_overflow 0
		.amdhsa_tg_split 0
		.amdhsa_exception_fp_ieee_invalid_op 0
		.amdhsa_exception_fp_denorm_src 0
		.amdhsa_exception_fp_ieee_div_zero 0
		.amdhsa_exception_fp_ieee_overflow 0
		.amdhsa_exception_fp_ieee_underflow 0
		.amdhsa_exception_fp_ieee_inexact 0
		.amdhsa_exception_int_div_zero 0
	.end_amdhsa_kernel
	.section	.text._ZN9rocsparseL40csr2gebsr_block_per_row_multipass_kernelILj256ELj64ELj32E21rocsparse_complex_numIfEEEv20rocsparse_direction_iiiiii21rocsparse_index_base_PKT2_PKiS9_S4_PS5_PiSB_,"axG",@progbits,_ZN9rocsparseL40csr2gebsr_block_per_row_multipass_kernelILj256ELj64ELj32E21rocsparse_complex_numIfEEEv20rocsparse_direction_iiiiii21rocsparse_index_base_PKT2_PKiS9_S4_PS5_PiSB_,comdat
.Lfunc_end174:
	.size	_ZN9rocsparseL40csr2gebsr_block_per_row_multipass_kernelILj256ELj64ELj32E21rocsparse_complex_numIfEEEv20rocsparse_direction_iiiiii21rocsparse_index_base_PKT2_PKiS9_S4_PS5_PiSB_, .Lfunc_end174-_ZN9rocsparseL40csr2gebsr_block_per_row_multipass_kernelILj256ELj64ELj32E21rocsparse_complex_numIfEEEv20rocsparse_direction_iiiiii21rocsparse_index_base_PKT2_PKiS9_S4_PS5_PiSB_
                                        ; -- End function
	.section	.AMDGPU.csdata,"",@progbits
; Kernel info:
; codeLenInByte = 2248
; NumSgprs: 76
; NumVgprs: 44
; NumAgprs: 0
; TotalNumVgprs: 44
; ScratchSize: 0
; MemoryBound: 0
; FloatMode: 240
; IeeeMode: 1
; LDSByteSize: 16388 bytes/workgroup (compile time only)
; SGPRBlocks: 9
; VGPRBlocks: 5
; NumSGPRsForWavesPerEU: 76
; NumVGPRsForWavesPerEU: 44
; AccumOffset: 44
; Occupancy: 3
; WaveLimiterHint : 0
; COMPUTE_PGM_RSRC2:SCRATCH_EN: 0
; COMPUTE_PGM_RSRC2:USER_SGPR: 2
; COMPUTE_PGM_RSRC2:TRAP_HANDLER: 0
; COMPUTE_PGM_RSRC2:TGID_X_EN: 1
; COMPUTE_PGM_RSRC2:TGID_Y_EN: 0
; COMPUTE_PGM_RSRC2:TGID_Z_EN: 0
; COMPUTE_PGM_RSRC2:TIDIG_COMP_CNT: 0
; COMPUTE_PGM_RSRC3_GFX90A:ACCUM_OFFSET: 10
; COMPUTE_PGM_RSRC3_GFX90A:TG_SPLIT: 0
	.section	.text._ZN9rocsparseL40csr2gebsr_block_per_row_multipass_kernelILj256ELj64ELj64E21rocsparse_complex_numIfEEEv20rocsparse_direction_iiiiii21rocsparse_index_base_PKT2_PKiS9_S4_PS5_PiSB_,"axG",@progbits,_ZN9rocsparseL40csr2gebsr_block_per_row_multipass_kernelILj256ELj64ELj64E21rocsparse_complex_numIfEEEv20rocsparse_direction_iiiiii21rocsparse_index_base_PKT2_PKiS9_S4_PS5_PiSB_,comdat
	.globl	_ZN9rocsparseL40csr2gebsr_block_per_row_multipass_kernelILj256ELj64ELj64E21rocsparse_complex_numIfEEEv20rocsparse_direction_iiiiii21rocsparse_index_base_PKT2_PKiS9_S4_PS5_PiSB_ ; -- Begin function _ZN9rocsparseL40csr2gebsr_block_per_row_multipass_kernelILj256ELj64ELj64E21rocsparse_complex_numIfEEEv20rocsparse_direction_iiiiii21rocsparse_index_base_PKT2_PKiS9_S4_PS5_PiSB_
	.p2align	8
	.type	_ZN9rocsparseL40csr2gebsr_block_per_row_multipass_kernelILj256ELj64ELj64E21rocsparse_complex_numIfEEEv20rocsparse_direction_iiiiii21rocsparse_index_base_PKT2_PKiS9_S4_PS5_PiSB_,@function
_ZN9rocsparseL40csr2gebsr_block_per_row_multipass_kernelILj256ELj64ELj64E21rocsparse_complex_numIfEEEv20rocsparse_direction_iiiiii21rocsparse_index_base_PKT2_PKiS9_S4_PS5_PiSB_: ; @_ZN9rocsparseL40csr2gebsr_block_per_row_multipass_kernelILj256ELj64ELj64E21rocsparse_complex_numIfEEEv20rocsparse_direction_iiiiii21rocsparse_index_base_PKT2_PKiS9_S4_PS5_PiSB_
; %bb.0:
	s_load_dwordx4 s[20:23], s[0:1], 0x10
	s_load_dwordx2 s[6:7], s[0:1], 0x0
	s_load_dwordx2 s[8:9], s[0:1], 0x28
	v_lshrrev_b32_e32 v1, 2, v0
	v_mov_b32_e32 v42, 0
	s_waitcnt lgkmcnt(0)
	s_mul_i32 s3, s2, s21
	v_add_u32_e32 v2, s3, v1
	v_cmp_gt_i32_e64 s[4:5], s7, v2
	v_cmp_gt_i32_e32 vcc, s21, v1
	s_and_b64 s[4:5], vcc, s[4:5]
	v_mov_b32_e32 v49, 0
	s_and_saveexec_b64 s[10:11], s[4:5]
	s_cbranch_execnz .LBB175_3
; %bb.1:
	s_or_b64 exec, exec, s[10:11]
	s_and_saveexec_b64 s[10:11], s[4:5]
	s_cbranch_execnz .LBB175_4
.LBB175_2:
	s_or_b64 exec, exec, s[10:11]
	s_cmp_lt_i32 s20, 1
	s_cbranch_scc0 .LBB175_5
	s_branch .LBB175_65
.LBB175_3:
	v_ashrrev_i32_e32 v3, 31, v2
	v_lshl_add_u64 v[4:5], v[2:3], 2, s[8:9]
	global_load_dword v3, v[4:5], off
	s_waitcnt vmcnt(0)
	v_subrev_u32_e32 v49, s23, v3
	s_or_b64 exec, exec, s[10:11]
	s_and_saveexec_b64 s[10:11], s[4:5]
	s_cbranch_execz .LBB175_2
.LBB175_4:
	v_ashrrev_i32_e32 v3, 31, v2
	v_lshl_add_u64 v[2:3], v[2:3], 2, s[8:9]
	global_load_dword v2, v[2:3], off offset:4
	s_waitcnt vmcnt(0)
	v_subrev_u32_e32 v42, s23, v2
	s_or_b64 exec, exec, s[10:11]
	s_cmp_lt_i32 s20, 1
	s_cbranch_scc1 .LBB175_65
.LBB175_5:
	s_load_dwordx4 s[8:11], s[0:1], 0x40
	s_load_dwordx2 s[24:25], s[0:1], 0x50
	s_load_dword s33, s[0:1], 0x38
	s_ashr_i32 s3, s2, 31
	s_lshl_b64 s[2:3], s[2:3], 2
	s_waitcnt lgkmcnt(0)
	s_add_u32 s2, s10, s2
	s_addc_u32 s3, s11, s3
	s_load_dword s4, s[2:3], 0x0
	s_load_dwordx2 s[26:27], s[0:1], 0x20
	s_load_dwordx2 s[28:29], s[0:1], 0x30
	v_mbcnt_lo_u32_b32 v2, -1, 0
	v_mbcnt_hi_u32_b32 v2, -1, v2
	s_waitcnt lgkmcnt(0)
	s_sub_i32 s30, s4, s33
	s_cmp_eq_u32 s6, 0
	s_cselect_b64 s[0:1], -1, 0
	s_ashr_i32 s96, s22, 31
	s_mul_hi_u32 s2, s22, s21
	s_mul_i32 s3, s96, s21
	v_mul_lo_u32 v6, v1, s22
	v_and_b32_e32 v43, 3, v0
	v_lshlrev_b32_e32 v44, 6, v1
	v_lshl_or_b32 v46, v2, 2, 12
	s_add_i32 s97, s2, s3
	v_lshlrev_b32_e32 v2, 3, v1
	v_mov_b32_e32 v3, 0
	v_ashrrev_i32_e32 v7, 31, v6
	s_movk_i32 s2, 0x80
	v_lshl_add_u64 v[4:5], s[8:9], 0, v[2:3]
	v_lshl_add_u64 v[6:7], v[6:7], 3, s[8:9]
	v_lshlrev_b32_e32 v47, 2, v0
	v_cmp_gt_u32_e64 s[2:3], s2, v0
	v_cmp_gt_u32_e64 s[4:5], 64, v0
	v_cmp_gt_u32_e64 s[6:7], 32, v0
	v_cmp_gt_u32_e64 s[8:9], 16, v0
	v_cmp_gt_u32_e64 s[10:11], 8, v0
	v_cmp_gt_u32_e64 s[12:13], 4, v0
	v_cmp_gt_u32_e64 s[14:15], 2, v0
	v_cmp_eq_u32_e64 s[16:17], 0, v0
	v_or_b32_e32 v0, v44, v43
	v_lshlrev_b32_e32 v48, 3, v0
	v_cmp_gt_u32_e64 s[18:19], s22, v43
	v_or_b32_e32 v0, 4, v43
	s_and_b64 s[34:35], vcc, s[18:19]
	v_cmp_gt_u32_e64 s[18:19], s22, v0
	v_or_b32_e32 v8, 8, v43
	v_lshlrev_b32_e32 v2, 3, v43
	s_and_b64 s[36:37], vcc, s[18:19]
	v_cmp_gt_u32_e64 s[18:19], s22, v8
	v_or_b32_e32 v10, 12, v43
	s_mul_i32 s98, s22, s21
	v_lshl_add_u64 v[6:7], v[6:7], 0, v[2:3]
	v_mul_lo_u32 v2, v43, s21
	s_lshl_b32 s31, s21, 2
	s_and_b64 s[38:39], vcc, s[18:19]
	v_cmp_gt_u32_e64 s[18:19], s22, v10
	v_or_b32_e32 v12, 16, v43
	s_abs_i32 s21, s22
	s_and_b64 s[40:41], vcc, s[18:19]
	v_cmp_gt_u32_e64 s[18:19], s22, v12
	v_or_b32_e32 v14, 20, v43
	v_cvt_f32_u32_e32 v34, s21
	v_add_u32_e32 v0, s31, v2
	s_and_b64 s[42:43], vcc, s[18:19]
	v_cmp_gt_u32_e64 s[18:19], s22, v14
	v_or_b32_e32 v16, 24, v43
	v_add_u32_e32 v8, s31, v0
	s_and_b64 s[44:45], vcc, s[18:19]
	v_cmp_gt_u32_e64 s[18:19], s22, v16
	v_or_b32_e32 v18, 28, v43
	;; [unrolled: 4-line block ×4, first 2 shown]
	v_rcp_iflag_f32_e32 v34, v34
	v_add_u32_e32 v14, s31, v12
	s_and_b64 s[50:51], vcc, s[18:19]
	v_cmp_gt_u32_e64 s[18:19], s22, v22
	v_or_b32_e32 v24, 40, v43
	v_add_u32_e32 v16, s31, v14
	s_and_b64 s[52:53], vcc, s[18:19]
	v_cmp_gt_u32_e64 s[18:19], s22, v24
	v_or_b32_e32 v26, 44, v43
	;; [unrolled: 4-line block ×4, first 2 shown]
	v_mul_f32_e32 v34, 0x4f7ffffe, v34
	v_add_u32_e32 v22, s31, v20
	s_and_b64 s[58:59], vcc, s[18:19]
	v_cmp_gt_u32_e64 s[18:19], s22, v30
	v_or_b32_e32 v32, 56, v43
	v_cvt_u32_f32_e32 v36, v34
	v_add_u32_e32 v24, s31, v22
	s_and_b64 s[60:61], vcc, s[18:19]
	v_cmp_gt_u32_e64 s[18:19], s22, v32
	v_or_b32_e32 v35, 60, v43
	v_add_u32_e32 v26, s31, v24
	s_and_b64 s[62:63], vcc, s[18:19]
	v_cmp_gt_u32_e64 s[18:19], s22, v35
	v_add_u32_e32 v28, s31, v26
	s_and_b64 s[64:65], vcc, s[18:19]
	s_sub_i32 s18, 0, s21
	s_mov_b32 s66, 0
	v_add_u32_e32 v30, s31, v28
	v_mul_lo_u32 v37, s18, v36
	v_add_u32_e32 v32, s31, v30
	v_mul_hi_u32 v37, v36, v37
	s_mov_b32 s67, s66
	v_mov_b32_e32 v45, 0
	v_mov_b32_e32 v1, v3
	;; [unrolled: 1-line block ×15, first 2 shown]
	v_add_u32_e32 v34, s31, v32
	v_mov_b32_e32 v35, v3
	v_add_u32_e32 v50, v36, v37
	v_mov_b64_e32 v[36:37], s[66:67]
	s_mov_b64 s[70:71], 0xa0
	s_mov_b64 s[72:73], 0xc0
	;; [unrolled: 1-line block ×11, first 2 shown]
	v_mov_b32_e32 v51, 1
	v_mov_b32_e32 v40, 0
	s_branch .LBB175_7
.LBB175_6:                              ;   in Loop: Header=BB175_7 Depth=1
	s_or_b64 exec, exec, s[18:19]
	s_waitcnt lgkmcnt(0)
	s_barrier
	ds_read_b32 v40, v3
	s_add_i32 s30, s31, s30
	s_waitcnt lgkmcnt(0)
	s_barrier
	v_cmp_gt_i32_e32 vcc, s20, v40
	s_cbranch_vccz .LBB175_65
.LBB175_7:                              ; =>This Loop Header: Depth=1
                                        ;     Child Loop BB175_10 Depth 2
	v_add_u32_e32 v38, v49, v43
	v_cmp_lt_i32_e32 vcc, v38, v42
	v_mov_b32_e32 v52, s20
	v_mov_b32_e32 v49, v42
	ds_write_b8 v3, v45 offset:32768
	ds_write2_b64 v48, v[36:37], v[36:37] offset1:4
	ds_write2_b64 v48, v[36:37], v[36:37] offset0:8 offset1:12
	ds_write2_b64 v48, v[36:37], v[36:37] offset0:16 offset1:20
	;; [unrolled: 1-line block ×7, first 2 shown]
	s_waitcnt lgkmcnt(0)
	s_barrier
	s_and_saveexec_b64 s[92:93], vcc
	s_cbranch_execz .LBB175_15
; %bb.8:                                ;   in Loop: Header=BB175_7 Depth=1
	v_mul_lo_u32 v41, v40, s22
	s_mov_b64 s[94:95], 0
	v_mov_b32_e32 v52, s20
	v_mov_b32_e32 v49, v42
	s_branch .LBB175_10
.LBB175_9:                              ;   in Loop: Header=BB175_10 Depth=2
	s_or_b64 exec, exec, s[18:19]
	v_add_u32_e32 v38, 4, v38
	v_cmp_ge_i32_e64 s[18:19], v38, v42
	s_xor_b64 s[66:67], vcc, -1
	s_or_b64 s[18:19], s[66:67], s[18:19]
	s_and_b64 s[18:19], exec, s[18:19]
	s_or_b64 s[94:95], s[18:19], s[94:95]
	s_andn2_b64 exec, exec, s[94:95]
	s_cbranch_execz .LBB175_14
.LBB175_10:                             ;   Parent Loop BB175_7 Depth=1
                                        ; =>  This Inner Loop Header: Depth=2
	v_ashrrev_i32_e32 v39, 31, v38
	v_lshl_add_u64 v[54:55], v[38:39], 2, s[28:29]
	global_load_dword v53, v[54:55], off
	s_waitcnt vmcnt(0)
	v_subrev_u32_e32 v53, s23, v53
	v_sub_u32_e32 v55, 0, v53
	v_max_i32_e32 v55, v53, v55
	v_mul_hi_u32 v56, v55, v50
	v_mul_lo_u32 v57, v56, s21
	v_sub_u32_e32 v55, v55, v57
	v_add_u32_e32 v58, 1, v56
	v_cmp_le_u32_e32 vcc, s21, v55
	v_subrev_u32_e32 v57, s21, v55
	v_ashrrev_i32_e32 v54, 31, v53
	v_cndmask_b32_e32 v56, v56, v58, vcc
	v_cndmask_b32_e32 v55, v55, v57, vcc
	v_add_u32_e32 v57, 1, v56
	v_cmp_le_u32_e32 vcc, s21, v55
	v_xor_b32_e32 v54, s96, v54
	s_nop 0
	v_cndmask_b32_e32 v55, v56, v57, vcc
	v_xor_b32_e32 v55, v55, v54
	v_sub_u32_e32 v55, v55, v54
	v_cmp_eq_u32_e32 vcc, v55, v40
	v_cmp_ne_u32_e64 s[18:19], v55, v40
	v_mov_b32_e32 v54, v49
	s_and_saveexec_b64 s[66:67], s[18:19]
	s_xor_b64 s[18:19], exec, s[66:67]
; %bb.11:                               ;   in Loop: Header=BB175_10 Depth=2
	v_min_i32_e32 v52, v55, v52
                                        ; implicit-def: $vgpr53
                                        ; implicit-def: $vgpr54
; %bb.12:                               ;   in Loop: Header=BB175_10 Depth=2
	s_or_saveexec_b64 s[18:19], s[18:19]
	v_mov_b32_e32 v49, v38
	s_xor_b64 exec, exec, s[18:19]
	s_cbranch_execz .LBB175_9
; %bb.13:                               ;   in Loop: Header=BB175_10 Depth=2
	v_lshl_add_u64 v[56:57], v[38:39], 3, s[26:27]
	global_load_dwordx2 v[56:57], v[56:57], off
	v_sub_u32_e32 v39, v53, v41
	v_add_lshl_u32 v39, v39, v44, 3
	v_mov_b32_e32 v49, v54
	ds_write_b8 v3, v51 offset:32768
	s_waitcnt vmcnt(0)
	ds_write_b64 v39, v[56:57]
	s_branch .LBB175_9
.LBB175_14:                             ;   in Loop: Header=BB175_7 Depth=1
	s_or_b64 exec, exec, s[94:95]
.LBB175_15:                             ;   in Loop: Header=BB175_7 Depth=1
	s_or_b64 exec, exec, s[92:93]
	v_mov_b32_dpp v38, v49 row_shr:1 row_mask:0xf bank_mask:0xf
	v_min_i32_e32 v38, v38, v49
	s_waitcnt lgkmcnt(0)
	s_barrier
	ds_read_u8 v39, v3 offset:32768
	v_mov_b32_dpp v41, v38 row_shr:2 row_mask:0xf bank_mask:0xf
	v_min_i32_e32 v38, v41, v38
	ds_bpermute_b32 v49, v46, v38
	s_mov_b32 s31, 0
	s_waitcnt lgkmcnt(1)
	v_cmp_eq_u32_e32 vcc, 0, v39
	s_cbranch_vccnz .LBB175_34
; %bb.16:                               ;   in Loop: Header=BB175_7 Depth=1
	s_ashr_i32 s31, s30, 31
	s_lshl_b64 s[18:19], s[30:31], 2
	s_add_u32 s18, s24, s18
	v_add_u32_e32 v38, s33, v40
	s_addc_u32 s19, s25, s19
	global_store_dword v3, v38, s[18:19]
	s_mul_hi_u32 s18, s98, s30
	s_mul_i32 s19, s98, s31
	s_add_i32 s18, s18, s19
	s_mul_i32 s19, s97, s30
	s_add_i32 s19, s18, s19
	s_mul_i32 s18, s98, s30
	s_lshl_b64 s[18:19], s[18:19], 3
	v_lshl_add_u64 v[38:39], v[4:5], 0, s[18:19]
	v_lshl_add_u64 v[40:41], v[6:7], 0, s[18:19]
	s_and_saveexec_b64 s[18:19], s[34:35]
	s_cbranch_execnz .LBB175_50
; %bb.17:                               ;   in Loop: Header=BB175_7 Depth=1
	s_or_b64 exec, exec, s[18:19]
	s_and_saveexec_b64 s[18:19], s[36:37]
	s_cbranch_execnz .LBB175_51
.LBB175_18:                             ;   in Loop: Header=BB175_7 Depth=1
	s_or_b64 exec, exec, s[18:19]
	s_and_saveexec_b64 s[18:19], s[38:39]
	s_cbranch_execnz .LBB175_52
.LBB175_19:                             ;   in Loop: Header=BB175_7 Depth=1
	s_or_b64 exec, exec, s[18:19]
	s_and_saveexec_b64 s[18:19], s[40:41]
	s_cbranch_execnz .LBB175_53
.LBB175_20:                             ;   in Loop: Header=BB175_7 Depth=1
	s_or_b64 exec, exec, s[18:19]
	s_and_saveexec_b64 s[18:19], s[42:43]
	s_cbranch_execnz .LBB175_54
.LBB175_21:                             ;   in Loop: Header=BB175_7 Depth=1
	s_or_b64 exec, exec, s[18:19]
	s_and_saveexec_b64 s[18:19], s[44:45]
	s_cbranch_execnz .LBB175_55
.LBB175_22:                             ;   in Loop: Header=BB175_7 Depth=1
	s_or_b64 exec, exec, s[18:19]
	s_and_saveexec_b64 s[18:19], s[46:47]
	s_cbranch_execnz .LBB175_56
.LBB175_23:                             ;   in Loop: Header=BB175_7 Depth=1
	s_or_b64 exec, exec, s[18:19]
	s_and_saveexec_b64 s[18:19], s[48:49]
	s_cbranch_execnz .LBB175_57
.LBB175_24:                             ;   in Loop: Header=BB175_7 Depth=1
	s_or_b64 exec, exec, s[18:19]
	s_and_saveexec_b64 s[18:19], s[50:51]
	s_cbranch_execnz .LBB175_58
.LBB175_25:                             ;   in Loop: Header=BB175_7 Depth=1
	s_or_b64 exec, exec, s[18:19]
	s_and_saveexec_b64 s[18:19], s[52:53]
	s_cbranch_execnz .LBB175_59
.LBB175_26:                             ;   in Loop: Header=BB175_7 Depth=1
	s_or_b64 exec, exec, s[18:19]
	s_and_saveexec_b64 s[18:19], s[54:55]
	s_cbranch_execnz .LBB175_60
.LBB175_27:                             ;   in Loop: Header=BB175_7 Depth=1
	s_or_b64 exec, exec, s[18:19]
	s_and_saveexec_b64 s[18:19], s[56:57]
	s_cbranch_execnz .LBB175_61
.LBB175_28:                             ;   in Loop: Header=BB175_7 Depth=1
	s_or_b64 exec, exec, s[18:19]
	s_and_saveexec_b64 s[18:19], s[58:59]
	s_cbranch_execnz .LBB175_62
.LBB175_29:                             ;   in Loop: Header=BB175_7 Depth=1
	s_or_b64 exec, exec, s[18:19]
	s_and_saveexec_b64 s[18:19], s[60:61]
	s_cbranch_execnz .LBB175_63
.LBB175_30:                             ;   in Loop: Header=BB175_7 Depth=1
	s_or_b64 exec, exec, s[18:19]
	s_and_saveexec_b64 s[18:19], s[62:63]
	s_cbranch_execnz .LBB175_64
.LBB175_31:                             ;   in Loop: Header=BB175_7 Depth=1
	s_or_b64 exec, exec, s[18:19]
	s_and_saveexec_b64 s[18:19], s[64:65]
	s_cbranch_execz .LBB175_33
.LBB175_32:                             ;   in Loop: Header=BB175_7 Depth=1
	ds_read_b64 v[54:55], v48 offset:480
	v_lshl_add_u64 v[40:41], v[40:41], 0, s[90:91]
	v_lshl_add_u64 v[38:39], v[34:35], 3, v[38:39]
	v_cndmask_b32_e64 v39, v39, v41, s[0:1]
	v_cndmask_b32_e64 v38, v38, v40, s[0:1]
	s_waitcnt lgkmcnt(0)
	global_store_dwordx2 v[38:39], v[54:55], off
.LBB175_33:                             ;   in Loop: Header=BB175_7 Depth=1
	s_or_b64 exec, exec, s[18:19]
	s_mov_b32 s31, 1
.LBB175_34:                             ;   in Loop: Header=BB175_7 Depth=1
	s_waitcnt lgkmcnt(0)
	s_barrier
	ds_write_b32 v47, v52
	s_waitcnt lgkmcnt(0)
	s_barrier
	s_and_saveexec_b64 s[18:19], s[2:3]
	s_cbranch_execz .LBB175_36
; %bb.35:                               ;   in Loop: Header=BB175_7 Depth=1
	ds_read2st64_b32 v[38:39], v47 offset1:2
	s_waitcnt lgkmcnt(0)
	v_min_i32_e32 v38, v39, v38
	ds_write_b32 v47, v38
.LBB175_36:                             ;   in Loop: Header=BB175_7 Depth=1
	s_or_b64 exec, exec, s[18:19]
	s_waitcnt lgkmcnt(0)
	s_barrier
	s_and_saveexec_b64 s[18:19], s[4:5]
	s_cbranch_execz .LBB175_38
; %bb.37:                               ;   in Loop: Header=BB175_7 Depth=1
	ds_read2st64_b32 v[38:39], v47 offset1:1
	s_waitcnt lgkmcnt(0)
	v_min_i32_e32 v38, v39, v38
	ds_write_b32 v47, v38
.LBB175_38:                             ;   in Loop: Header=BB175_7 Depth=1
	s_or_b64 exec, exec, s[18:19]
	s_waitcnt lgkmcnt(0)
	s_barrier
	s_and_saveexec_b64 s[18:19], s[6:7]
	s_cbranch_execz .LBB175_40
; %bb.39:                               ;   in Loop: Header=BB175_7 Depth=1
	ds_read2_b32 v[38:39], v47 offset1:32
	s_waitcnt lgkmcnt(0)
	v_min_i32_e32 v38, v39, v38
	ds_write_b32 v47, v38
.LBB175_40:                             ;   in Loop: Header=BB175_7 Depth=1
	s_or_b64 exec, exec, s[18:19]
	s_waitcnt lgkmcnt(0)
	s_barrier
	s_and_saveexec_b64 s[18:19], s[8:9]
	s_cbranch_execz .LBB175_42
; %bb.41:                               ;   in Loop: Header=BB175_7 Depth=1
	ds_read2_b32 v[38:39], v47 offset1:16
	s_waitcnt lgkmcnt(0)
	v_min_i32_e32 v38, v39, v38
	ds_write_b32 v47, v38
.LBB175_42:                             ;   in Loop: Header=BB175_7 Depth=1
	;; [unrolled: 11-line block ×5, first 2 shown]
	s_or_b64 exec, exec, s[18:19]
	s_waitcnt lgkmcnt(0)
	s_barrier
	s_and_saveexec_b64 s[18:19], s[16:17]
	s_cbranch_execz .LBB175_6
; %bb.49:                               ;   in Loop: Header=BB175_7 Depth=1
	ds_read_b64 v[38:39], v3
	s_waitcnt lgkmcnt(0)
	v_min_i32_e32 v38, v39, v38
	ds_write_b32 v3, v38
	s_branch .LBB175_6
.LBB175_50:                             ;   in Loop: Header=BB175_7 Depth=1
	ds_read_b64 v[54:55], v48
	v_lshl_add_u64 v[56:57], v[2:3], 3, v[38:39]
	v_cndmask_b32_e64 v57, v57, v41, s[0:1]
	v_cndmask_b32_e64 v56, v56, v40, s[0:1]
	s_waitcnt lgkmcnt(0)
	global_store_dwordx2 v[56:57], v[54:55], off
	s_or_b64 exec, exec, s[18:19]
	s_and_saveexec_b64 s[18:19], s[36:37]
	s_cbranch_execz .LBB175_18
.LBB175_51:                             ;   in Loop: Header=BB175_7 Depth=1
	ds_read_b64 v[54:55], v48 offset:32
	v_lshl_add_u64 v[56:57], v[40:41], 0, 32
	v_lshl_add_u64 v[58:59], v[0:1], 3, v[38:39]
	v_cndmask_b32_e64 v57, v59, v57, s[0:1]
	v_cndmask_b32_e64 v56, v58, v56, s[0:1]
	s_waitcnt lgkmcnt(0)
	global_store_dwordx2 v[56:57], v[54:55], off
	s_or_b64 exec, exec, s[18:19]
	s_and_saveexec_b64 s[18:19], s[38:39]
	s_cbranch_execz .LBB175_19
.LBB175_52:                             ;   in Loop: Header=BB175_7 Depth=1
	ds_read_b64 v[54:55], v48 offset:64
	v_lshl_add_u64 v[56:57], v[40:41], 0, 64
	v_lshl_add_u64 v[58:59], v[8:9], 3, v[38:39]
	v_cndmask_b32_e64 v57, v59, v57, s[0:1]
	v_cndmask_b32_e64 v56, v58, v56, s[0:1]
	s_waitcnt lgkmcnt(0)
	global_store_dwordx2 v[56:57], v[54:55], off
	s_or_b64 exec, exec, s[18:19]
	s_and_saveexec_b64 s[18:19], s[40:41]
	s_cbranch_execz .LBB175_20
.LBB175_53:                             ;   in Loop: Header=BB175_7 Depth=1
	ds_read_b64 v[54:55], v48 offset:96
	s_mov_b64 s[66:67], 0x60
	v_lshl_add_u64 v[56:57], v[40:41], 0, s[66:67]
	v_lshl_add_u64 v[58:59], v[10:11], 3, v[38:39]
	v_cndmask_b32_e64 v57, v59, v57, s[0:1]
	v_cndmask_b32_e64 v56, v58, v56, s[0:1]
	s_waitcnt lgkmcnt(0)
	global_store_dwordx2 v[56:57], v[54:55], off
	s_or_b64 exec, exec, s[18:19]
	s_and_saveexec_b64 s[18:19], s[42:43]
	s_cbranch_execz .LBB175_21
.LBB175_54:                             ;   in Loop: Header=BB175_7 Depth=1
	ds_read_b64 v[54:55], v48 offset:128
	s_mov_b64 s[66:67], 0x80
	v_lshl_add_u64 v[56:57], v[40:41], 0, s[66:67]
	v_lshl_add_u64 v[58:59], v[12:13], 3, v[38:39]
	v_cndmask_b32_e64 v57, v59, v57, s[0:1]
	v_cndmask_b32_e64 v56, v58, v56, s[0:1]
	s_waitcnt lgkmcnt(0)
	global_store_dwordx2 v[56:57], v[54:55], off
	s_or_b64 exec, exec, s[18:19]
	s_and_saveexec_b64 s[18:19], s[44:45]
	s_cbranch_execz .LBB175_22
.LBB175_55:                             ;   in Loop: Header=BB175_7 Depth=1
	ds_read_b64 v[54:55], v48 offset:160
	v_lshl_add_u64 v[56:57], v[40:41], 0, s[70:71]
	v_lshl_add_u64 v[58:59], v[14:15], 3, v[38:39]
	v_cndmask_b32_e64 v57, v59, v57, s[0:1]
	v_cndmask_b32_e64 v56, v58, v56, s[0:1]
	s_waitcnt lgkmcnt(0)
	global_store_dwordx2 v[56:57], v[54:55], off
	s_or_b64 exec, exec, s[18:19]
	s_and_saveexec_b64 s[18:19], s[46:47]
	s_cbranch_execz .LBB175_23
.LBB175_56:                             ;   in Loop: Header=BB175_7 Depth=1
	ds_read_b64 v[54:55], v48 offset:192
	v_lshl_add_u64 v[56:57], v[40:41], 0, s[72:73]
	v_lshl_add_u64 v[58:59], v[16:17], 3, v[38:39]
	v_cndmask_b32_e64 v57, v59, v57, s[0:1]
	v_cndmask_b32_e64 v56, v58, v56, s[0:1]
	s_waitcnt lgkmcnt(0)
	global_store_dwordx2 v[56:57], v[54:55], off
	s_or_b64 exec, exec, s[18:19]
	s_and_saveexec_b64 s[18:19], s[48:49]
	s_cbranch_execz .LBB175_24
.LBB175_57:                             ;   in Loop: Header=BB175_7 Depth=1
	ds_read_b64 v[54:55], v48 offset:224
	v_lshl_add_u64 v[56:57], v[40:41], 0, s[74:75]
	v_lshl_add_u64 v[58:59], v[18:19], 3, v[38:39]
	v_cndmask_b32_e64 v57, v59, v57, s[0:1]
	v_cndmask_b32_e64 v56, v58, v56, s[0:1]
	s_waitcnt lgkmcnt(0)
	global_store_dwordx2 v[56:57], v[54:55], off
	s_or_b64 exec, exec, s[18:19]
	s_and_saveexec_b64 s[18:19], s[50:51]
	s_cbranch_execz .LBB175_25
.LBB175_58:                             ;   in Loop: Header=BB175_7 Depth=1
	ds_read_b64 v[54:55], v48 offset:256
	v_lshl_add_u64 v[56:57], v[40:41], 0, s[76:77]
	v_lshl_add_u64 v[58:59], v[20:21], 3, v[38:39]
	v_cndmask_b32_e64 v57, v59, v57, s[0:1]
	v_cndmask_b32_e64 v56, v58, v56, s[0:1]
	s_waitcnt lgkmcnt(0)
	global_store_dwordx2 v[56:57], v[54:55], off
	s_or_b64 exec, exec, s[18:19]
	s_and_saveexec_b64 s[18:19], s[52:53]
	s_cbranch_execz .LBB175_26
.LBB175_59:                             ;   in Loop: Header=BB175_7 Depth=1
	ds_read_b64 v[54:55], v48 offset:288
	v_lshl_add_u64 v[56:57], v[40:41], 0, s[78:79]
	v_lshl_add_u64 v[58:59], v[22:23], 3, v[38:39]
	v_cndmask_b32_e64 v57, v59, v57, s[0:1]
	v_cndmask_b32_e64 v56, v58, v56, s[0:1]
	s_waitcnt lgkmcnt(0)
	global_store_dwordx2 v[56:57], v[54:55], off
	s_or_b64 exec, exec, s[18:19]
	s_and_saveexec_b64 s[18:19], s[54:55]
	s_cbranch_execz .LBB175_27
.LBB175_60:                             ;   in Loop: Header=BB175_7 Depth=1
	ds_read_b64 v[54:55], v48 offset:320
	v_lshl_add_u64 v[56:57], v[40:41], 0, s[80:81]
	v_lshl_add_u64 v[58:59], v[24:25], 3, v[38:39]
	v_cndmask_b32_e64 v57, v59, v57, s[0:1]
	v_cndmask_b32_e64 v56, v58, v56, s[0:1]
	s_waitcnt lgkmcnt(0)
	global_store_dwordx2 v[56:57], v[54:55], off
	s_or_b64 exec, exec, s[18:19]
	s_and_saveexec_b64 s[18:19], s[56:57]
	s_cbranch_execz .LBB175_28
.LBB175_61:                             ;   in Loop: Header=BB175_7 Depth=1
	ds_read_b64 v[54:55], v48 offset:352
	v_lshl_add_u64 v[56:57], v[40:41], 0, s[82:83]
	v_lshl_add_u64 v[58:59], v[26:27], 3, v[38:39]
	v_cndmask_b32_e64 v57, v59, v57, s[0:1]
	v_cndmask_b32_e64 v56, v58, v56, s[0:1]
	s_waitcnt lgkmcnt(0)
	global_store_dwordx2 v[56:57], v[54:55], off
	s_or_b64 exec, exec, s[18:19]
	s_and_saveexec_b64 s[18:19], s[58:59]
	s_cbranch_execz .LBB175_29
.LBB175_62:                             ;   in Loop: Header=BB175_7 Depth=1
	ds_read_b64 v[54:55], v48 offset:384
	v_lshl_add_u64 v[56:57], v[40:41], 0, s[84:85]
	v_lshl_add_u64 v[58:59], v[28:29], 3, v[38:39]
	v_cndmask_b32_e64 v57, v59, v57, s[0:1]
	v_cndmask_b32_e64 v56, v58, v56, s[0:1]
	s_waitcnt lgkmcnt(0)
	global_store_dwordx2 v[56:57], v[54:55], off
	s_or_b64 exec, exec, s[18:19]
	s_and_saveexec_b64 s[18:19], s[60:61]
	s_cbranch_execz .LBB175_30
.LBB175_63:                             ;   in Loop: Header=BB175_7 Depth=1
	ds_read_b64 v[54:55], v48 offset:416
	v_lshl_add_u64 v[56:57], v[40:41], 0, s[86:87]
	v_lshl_add_u64 v[58:59], v[30:31], 3, v[38:39]
	v_cndmask_b32_e64 v57, v59, v57, s[0:1]
	v_cndmask_b32_e64 v56, v58, v56, s[0:1]
	s_waitcnt lgkmcnt(0)
	global_store_dwordx2 v[56:57], v[54:55], off
	s_or_b64 exec, exec, s[18:19]
	s_and_saveexec_b64 s[18:19], s[62:63]
	s_cbranch_execz .LBB175_31
.LBB175_64:                             ;   in Loop: Header=BB175_7 Depth=1
	ds_read_b64 v[54:55], v48 offset:448
	v_lshl_add_u64 v[56:57], v[40:41], 0, s[88:89]
	v_lshl_add_u64 v[58:59], v[32:33], 3, v[38:39]
	v_cndmask_b32_e64 v57, v59, v57, s[0:1]
	v_cndmask_b32_e64 v56, v58, v56, s[0:1]
	s_waitcnt lgkmcnt(0)
	global_store_dwordx2 v[56:57], v[54:55], off
	s_or_b64 exec, exec, s[18:19]
	s_and_saveexec_b64 s[18:19], s[64:65]
	s_cbranch_execnz .LBB175_32
	s_branch .LBB175_33
.LBB175_65:
	s_endpgm
	.section	.rodata,"a",@progbits
	.p2align	6, 0x0
	.amdhsa_kernel _ZN9rocsparseL40csr2gebsr_block_per_row_multipass_kernelILj256ELj64ELj64E21rocsparse_complex_numIfEEEv20rocsparse_direction_iiiiii21rocsparse_index_base_PKT2_PKiS9_S4_PS5_PiSB_
		.amdhsa_group_segment_fixed_size 32772
		.amdhsa_private_segment_fixed_size 0
		.amdhsa_kernarg_size 88
		.amdhsa_user_sgpr_count 2
		.amdhsa_user_sgpr_dispatch_ptr 0
		.amdhsa_user_sgpr_queue_ptr 0
		.amdhsa_user_sgpr_kernarg_segment_ptr 1
		.amdhsa_user_sgpr_dispatch_id 0
		.amdhsa_user_sgpr_kernarg_preload_length 0
		.amdhsa_user_sgpr_kernarg_preload_offset 0
		.amdhsa_user_sgpr_private_segment_size 0
		.amdhsa_uses_dynamic_stack 0
		.amdhsa_enable_private_segment 0
		.amdhsa_system_sgpr_workgroup_id_x 1
		.amdhsa_system_sgpr_workgroup_id_y 0
		.amdhsa_system_sgpr_workgroup_id_z 0
		.amdhsa_system_sgpr_workgroup_info 0
		.amdhsa_system_vgpr_workitem_id 0
		.amdhsa_next_free_vgpr 60
		.amdhsa_next_free_sgpr 99
		.amdhsa_accum_offset 60
		.amdhsa_reserve_vcc 1
		.amdhsa_float_round_mode_32 0
		.amdhsa_float_round_mode_16_64 0
		.amdhsa_float_denorm_mode_32 3
		.amdhsa_float_denorm_mode_16_64 3
		.amdhsa_dx10_clamp 1
		.amdhsa_ieee_mode 1
		.amdhsa_fp16_overflow 0
		.amdhsa_tg_split 0
		.amdhsa_exception_fp_ieee_invalid_op 0
		.amdhsa_exception_fp_denorm_src 0
		.amdhsa_exception_fp_ieee_div_zero 0
		.amdhsa_exception_fp_ieee_overflow 0
		.amdhsa_exception_fp_ieee_underflow 0
		.amdhsa_exception_fp_ieee_inexact 0
		.amdhsa_exception_int_div_zero 0
	.end_amdhsa_kernel
	.section	.text._ZN9rocsparseL40csr2gebsr_block_per_row_multipass_kernelILj256ELj64ELj64E21rocsparse_complex_numIfEEEv20rocsparse_direction_iiiiii21rocsparse_index_base_PKT2_PKiS9_S4_PS5_PiSB_,"axG",@progbits,_ZN9rocsparseL40csr2gebsr_block_per_row_multipass_kernelILj256ELj64ELj64E21rocsparse_complex_numIfEEEv20rocsparse_direction_iiiiii21rocsparse_index_base_PKT2_PKiS9_S4_PS5_PiSB_,comdat
.Lfunc_end175:
	.size	_ZN9rocsparseL40csr2gebsr_block_per_row_multipass_kernelILj256ELj64ELj64E21rocsparse_complex_numIfEEEv20rocsparse_direction_iiiiii21rocsparse_index_base_PKT2_PKiS9_S4_PS5_PiSB_, .Lfunc_end175-_ZN9rocsparseL40csr2gebsr_block_per_row_multipass_kernelILj256ELj64ELj64E21rocsparse_complex_numIfEEEv20rocsparse_direction_iiiiii21rocsparse_index_base_PKT2_PKiS9_S4_PS5_PiSB_
                                        ; -- End function
	.section	.AMDGPU.csdata,"",@progbits
; Kernel info:
; codeLenInByte = 3144
; NumSgprs: 105
; NumVgprs: 60
; NumAgprs: 0
; TotalNumVgprs: 60
; ScratchSize: 0
; MemoryBound: 0
; FloatMode: 240
; IeeeMode: 1
; LDSByteSize: 32772 bytes/workgroup (compile time only)
; SGPRBlocks: 13
; VGPRBlocks: 7
; NumSGPRsForWavesPerEU: 105
; NumVGPRsForWavesPerEU: 60
; AccumOffset: 60
; Occupancy: 1
; WaveLimiterHint : 0
; COMPUTE_PGM_RSRC2:SCRATCH_EN: 0
; COMPUTE_PGM_RSRC2:USER_SGPR: 2
; COMPUTE_PGM_RSRC2:TRAP_HANDLER: 0
; COMPUTE_PGM_RSRC2:TGID_X_EN: 1
; COMPUTE_PGM_RSRC2:TGID_Y_EN: 0
; COMPUTE_PGM_RSRC2:TGID_Z_EN: 0
; COMPUTE_PGM_RSRC2:TIDIG_COMP_CNT: 0
; COMPUTE_PGM_RSRC3_GFX90A:ACCUM_OFFSET: 14
; COMPUTE_PGM_RSRC3_GFX90A:TG_SPLIT: 0
	.section	.text._ZN9rocsparseL23csr2gebsr_65_inf_kernelILi32E21rocsparse_complex_numIfEEEv20rocsparse_direction_iiiiiii21rocsparse_index_base_PKT0_PKiS9_S4_PS5_PiSB_SB_SA_,"axG",@progbits,_ZN9rocsparseL23csr2gebsr_65_inf_kernelILi32E21rocsparse_complex_numIfEEEv20rocsparse_direction_iiiiiii21rocsparse_index_base_PKT0_PKiS9_S4_PS5_PiSB_SB_SA_,comdat
	.globl	_ZN9rocsparseL23csr2gebsr_65_inf_kernelILi32E21rocsparse_complex_numIfEEEv20rocsparse_direction_iiiiiii21rocsparse_index_base_PKT0_PKiS9_S4_PS5_PiSB_SB_SA_ ; -- Begin function _ZN9rocsparseL23csr2gebsr_65_inf_kernelILi32E21rocsparse_complex_numIfEEEv20rocsparse_direction_iiiiiii21rocsparse_index_base_PKT0_PKiS9_S4_PS5_PiSB_SB_SA_
	.p2align	8
	.type	_ZN9rocsparseL23csr2gebsr_65_inf_kernelILi32E21rocsparse_complex_numIfEEEv20rocsparse_direction_iiiiiii21rocsparse_index_base_PKT0_PKiS9_S4_PS5_PiSB_SB_SA_,@function
_ZN9rocsparseL23csr2gebsr_65_inf_kernelILi32E21rocsparse_complex_numIfEEEv20rocsparse_direction_iiiiiii21rocsparse_index_base_PKT0_PKiS9_S4_PS5_PiSB_SB_SA_: ; @_ZN9rocsparseL23csr2gebsr_65_inf_kernelILi32E21rocsparse_complex_numIfEEEv20rocsparse_direction_iiiiiii21rocsparse_index_base_PKT0_PKiS9_S4_PS5_PiSB_SB_SA_
; %bb.0:
	s_load_dwordx4 s[8:11], s[0:1], 0x0
	s_load_dwordx2 s[4:5], s[0:1], 0x60
	s_load_dword s33, s[0:1], 0x40
	s_waitcnt lgkmcnt(0)
	s_cmp_ge_i32 s2, s11
	s_mov_b32 s11, 0
	s_cbranch_scc1 .LBB176_2
; %bb.1:
	s_load_dwordx2 s[6:7], s[0:1], 0x50
	s_ashr_i32 s3, s2, 31
	s_lshl_b64 s[12:13], s[2:3], 2
	s_waitcnt lgkmcnt(0)
	s_add_u32 s6, s6, s12
	s_addc_u32 s7, s7, s13
	s_load_dword s3, s[6:7], 0x0
	s_waitcnt lgkmcnt(0)
	s_sub_i32 s11, s3, s33
.LBB176_2:
	s_load_dwordx4 s[12:15], s[0:1], 0x14
	s_waitcnt lgkmcnt(0)
	s_mul_i32 s3, s2, s14
	s_mul_i32 s6, s3, 0x60
	s_ashr_i32 s7, s6, 31
	s_lshl_b64 s[6:7], s[6:7], 2
	s_add_u32 s22, s4, s6
	s_addc_u32 s23, s5, s7
	s_lshl_b32 s20, s14, 5
	v_mul_lo_u32 v8, v0, s14
	s_ashr_i32 s21, s20, 31
	v_ashrrev_i32_e32 v9, 31, v8
	s_cmp_gt_i32 s14, 0
	s_cselect_b64 s[24:25], -1, 0
	s_cmp_lt_i32 s14, 1
	v_lshl_add_u64 v[2:3], v[8:9], 2, s[22:23]
	s_cbranch_scc1 .LBB176_7
; %bb.3:
	s_load_dwordx2 s[6:7], s[0:1], 0x30
	s_mul_i32 s3, s2, s12
	s_lshl_b64 s[16:17], s[20:21], 2
	v_mov_b32_e32 v1, 0
	v_mov_b32_e32 v12, v0
	v_mov_b64_e32 v[4:5], v[2:3]
	s_mov_b32 s18, s14
	s_branch .LBB176_5
.LBB176_4:                              ;   in Loop: Header=BB176_5 Depth=1
	s_or_b64 exec, exec, s[4:5]
	s_add_i32 s18, s18, -1
	v_lshl_add_u64 v[4:5], v[4:5], 0, 4
	s_cmp_eq_u32 s18, 0
	v_add_u32_e32 v12, 32, v12
	s_cbranch_scc1 .LBB176_7
.LBB176_5:                              ; =>This Inner Loop Header: Depth=1
	v_add_u32_e32 v10, s3, v12
	v_cmp_gt_i32_e32 vcc, s9, v10
	v_cmp_gt_i32_e64 s[4:5], s12, v12
	v_lshl_add_u64 v[6:7], v[4:5], 0, s[16:17]
	s_and_b64 s[26:27], vcc, s[4:5]
	global_store_dword v[4:5], v1, off
	global_store_dword v[6:7], v1, off
	s_and_saveexec_b64 s[4:5], s[26:27]
	s_cbranch_execz .LBB176_4
; %bb.6:                                ;   in Loop: Header=BB176_5 Depth=1
	v_ashrrev_i32_e32 v11, 31, v10
	s_waitcnt lgkmcnt(0)
	v_lshl_add_u64 v[10:11], v[10:11], 2, s[6:7]
	global_load_dwordx2 v[10:11], v[10:11], off
	s_waitcnt vmcnt(0)
	v_subrev_u32_e32 v10, s15, v10
	v_subrev_u32_e32 v11, s15, v11
	global_store_dword v[4:5], v10, off
	global_store_dword v[6:7], v11, off
	s_branch .LBB176_4
.LBB176_7:
	s_cmp_lt_i32 s10, 1
	s_cbranch_scc1 .LBB176_37
; %bb.8:
	s_load_dwordx2 s[26:27], s[0:1], 0x68
	s_load_dwordx2 s[4:5], s[0:1], 0x28
	s_waitcnt lgkmcnt(0)
	s_load_dwordx2 s[6:7], s[0:1], 0x58
	s_load_dwordx2 s[16:17], s[0:1], 0x48
	;; [unrolled: 1-line block ×3, first 2 shown]
	s_lshl_b64 s[0:1], s[20:21], 2
	s_add_u32 s0, s22, s0
	s_addc_u32 s1, s23, s1
	s_ashr_i32 s23, s14, 31
	s_mov_b32 s22, s14
	v_lshlrev_b64 v[6:7], 2, v[8:9]
	s_lshl_b64 s[22:23], s[22:23], 7
	v_lshl_add_u64 v[4:5], s[0:1], 0, v[6:7]
	s_add_u32 s0, s0, s22
	s_addc_u32 s1, s1, s23
	v_lshl_add_u64 v[6:7], s[0:1], 0, v[6:7]
	s_mul_i32 s0, s20, s2
	s_ashr_i32 s1, s0, 31
	s_lshl_b64 s[0:1], s[0:1], 3
	s_add_u32 s0, s26, s0
	s_addc_u32 s1, s27, s1
	s_cmp_lg_u32 s8, 0
	s_cselect_b64 s[20:21], -1, 0
	s_abs_i32 s38, s13
	v_cvt_f32_u32_e32 v1, s38
	v_mbcnt_lo_u32_b32 v11, -1, 0
	v_mbcnt_hi_u32_b32 v11, -1, v11
	v_mov_b32_e32 v12, 0x7c
	v_rcp_iflag_f32_e32 v13, v1
	v_lshl_or_b32 v1, v11, 2, v12
	s_sub_i32 s2, 0, s38
	v_lshl_add_u64 v[8:9], v[8:9], 3, s[0:1]
	v_mul_f32_e32 v11, 0x4f7ffffe, v13
	v_cvt_u32_f32_e32 v11, v11
	v_cmp_eq_u32_e64 s[0:1], 31, v0
	s_mov_b32 s9, 0
	v_mov_b32_e32 v10, 0
	v_mul_lo_u32 v12, s2, v11
	v_mul_hi_u32 v12, v11, v12
	v_add_u32_e32 v26, v11, v12
	v_cndmask_b32_e64 v11, 0, 1, s[24:25]
	s_add_i32 s39, s11, -1
	s_mul_hi_i32 s40, s13, s12
	s_mul_i32 s41, s13, s12
	s_ashr_i32 s42, s13, 31
	v_mov_b32_e32 v13, 0
	v_mul_lo_u32 v27, v0, s13
	s_lshl_b32 s43, s13, 5
	s_mov_b64 s[22:23], 0
	v_cmp_ne_u32_e64 s[2:3], 1, v11
	v_mov_b32_e32 v12, 0
	v_mov_b32_e32 v28, 0
	;; [unrolled: 1-line block ×3, first 2 shown]
	s_branch .LBB176_10
.LBB176_9:                              ;   in Loop: Header=BB176_10 Depth=1
	s_waitcnt lgkmcnt(0)
	v_add_u32_e32 v12, 1, v11
	v_cmp_le_i32_e32 vcc, s10, v12
	s_or_b64 s[22:23], vcc, s[22:23]
	s_andn2_b64 exec, exec, s[22:23]
	s_cbranch_execz .LBB176_37
.LBB176_10:                             ; =>This Loop Header: Depth=1
                                        ;     Child Loop BB176_14 Depth 2
                                        ;       Child Loop BB176_17 Depth 3
                                        ;     Child Loop BB176_31 Depth 2
	s_and_b64 vcc, exec, s[2:3]
	v_mov_b32_e32 v30, s10
	s_cbranch_vccnz .LBB176_23
; %bb.11:                               ;   in Loop: Header=BB176_10 Depth=1
	s_mov_b32 s8, 0
	v_mov_b32_e32 v30, s10
	s_branch .LBB176_14
.LBB176_12:                             ;   in Loop: Header=BB176_14 Depth=2
	s_or_b64 exec, exec, s[26:27]
.LBB176_13:                             ;   in Loop: Header=BB176_14 Depth=2
	s_or_b64 exec, exec, s[24:25]
	s_add_i32 s8, s8, 1
	s_cmp_eq_u32 s8, s14
	s_cbranch_scc1 .LBB176_23
.LBB176_14:                             ;   Parent Loop BB176_10 Depth=1
                                        ; =>  This Loop Header: Depth=2
                                        ;       Child Loop BB176_17 Depth 3
	s_lshl_b64 s[24:25], s[8:9], 2
	v_lshl_add_u64 v[14:15], v[6:7], 0, s[24:25]
	v_mov_b32_e32 v11, s10
	global_store_dword v[14:15], v11, off
	v_lshl_add_u64 v[16:17], v[2:3], 0, s[24:25]
	v_lshl_add_u64 v[18:19], v[4:5], 0, s[24:25]
	global_load_dword v22, v[16:17], off
	global_load_dword v31, v[18:19], off
	v_lshl_add_u64 v[18:19], s[8:9], 3, v[8:9]
	v_mov_b32_e32 v11, v10
	global_store_dwordx2 v[18:19], v[10:11], off
	s_waitcnt vmcnt(1)
	v_cmp_lt_i32_e32 vcc, v22, v31
	s_and_saveexec_b64 s[24:25], vcc
	s_cbranch_execz .LBB176_13
; %bb.15:                               ;   in Loop: Header=BB176_14 Depth=2
	v_ashrrev_i32_e32 v23, 31, v22
	s_waitcnt lgkmcnt(0)
	v_lshl_add_u64 v[24:25], v[22:23], 2, s[18:19]
	s_mov_b64 s[26:27], 0
                                        ; implicit-def: $sgpr28_sgpr29
                                        ; implicit-def: $sgpr34_sgpr35
                                        ; implicit-def: $sgpr30_sgpr31
	s_branch .LBB176_17
.LBB176_16:                             ;   in Loop: Header=BB176_17 Depth=3
	s_or_b64 exec, exec, s[36:37]
	s_and_b64 s[36:37], exec, s[34:35]
	s_or_b64 s[26:27], s[36:37], s[26:27]
	s_andn2_b64 s[28:29], s[28:29], exec
	s_and_b64 s[36:37], s[30:31], exec
	s_or_b64 s[28:29], s[28:29], s[36:37]
	s_andn2_b64 exec, exec, s[26:27]
	s_cbranch_execz .LBB176_19
.LBB176_17:                             ;   Parent Loop BB176_10 Depth=1
                                        ;     Parent Loop BB176_14 Depth=2
                                        ; =>    This Inner Loop Header: Depth=3
	global_load_dword v11, v[24:25], off
	v_mov_b64_e32 v[20:21], v[22:23]
	s_or_b64 s[30:31], s[30:31], exec
	s_or_b64 s[34:35], s[34:35], exec
                                        ; implicit-def: $vgpr22_vgpr23
	s_waitcnt vmcnt(0)
	v_subrev_u32_e32 v11, s15, v11
	v_cmp_lt_i32_e32 vcc, v11, v12
	s_and_saveexec_b64 s[36:37], vcc
	s_cbranch_execz .LBB176_16
; %bb.18:                               ;   in Loop: Header=BB176_17 Depth=3
	v_lshl_add_u64 v[22:23], v[20:21], 0, 1
	v_cmp_ge_i32_e32 vcc, v22, v31
	s_andn2_b64 s[34:35], s[34:35], exec
	s_and_b64 s[44:45], vcc, exec
	v_lshl_add_u64 v[24:25], v[24:25], 0, 4
	s_andn2_b64 s[30:31], s[30:31], exec
	s_or_b64 s[34:35], s[34:35], s[44:45]
	s_branch .LBB176_16
.LBB176_19:                             ;   in Loop: Header=BB176_14 Depth=2
	s_or_b64 exec, exec, s[26:27]
	s_xor_b64 s[26:27], s[28:29], -1
	v_lshl_add_u64 v[22:23], v[20:21], 3, s[4:5]
	s_and_saveexec_b64 s[28:29], s[26:27]
	s_xor_b64 s[26:27], exec, s[28:29]
	s_cbranch_execz .LBB176_21
; %bb.20:                               ;   in Loop: Header=BB176_14 Depth=2
	global_load_dwordx2 v[16:17], v[22:23], off
                                        ; implicit-def: $vgpr22_vgpr23
	s_nop 0
	global_store_dword v[14:15], v11, off
	s_waitcnt vmcnt(1)
	global_store_dwordx2 v[18:19], v[16:17], off
                                        ; implicit-def: $vgpr14_vgpr15
                                        ; implicit-def: $vgpr18_vgpr19
                                        ; implicit-def: $vgpr16_vgpr17
.LBB176_21:                             ;   in Loop: Header=BB176_14 Depth=2
	s_andn2_saveexec_b64 s[26:27], s[26:27]
	s_cbranch_execz .LBB176_12
; %bb.22:                               ;   in Loop: Header=BB176_14 Depth=2
	global_load_dwordx2 v[22:23], v[22:23], off
	v_min_i32_e32 v30, v11, v30
	global_store_dword v[14:15], v11, off
	s_waitcnt vmcnt(1)
	global_store_dwordx2 v[18:19], v[22:23], off
	global_store_dword v[16:17], v20, off
	s_branch .LBB176_12
.LBB176_23:                             ;   in Loop: Header=BB176_10 Depth=1
	s_nop 0
	v_mov_b32_dpp v11, v30 row_shr:1 row_mask:0xf bank_mask:0xf
	v_min_i32_e32 v11, v11, v30
	s_nop 1
	v_mov_b32_dpp v12, v11 row_shr:2 row_mask:0xf bank_mask:0xf
	v_min_i32_e32 v11, v12, v11
	;; [unrolled: 3-line block ×4, first 2 shown]
	s_nop 1
	v_mov_b32_dpp v12, v11 row_bcast:15 row_mask:0xa bank_mask:0xf
	v_min_i32_e32 v11, v12, v11
	v_cmp_gt_i32_e32 vcc, s10, v11
	s_and_b64 s[26:27], s[0:1], vcc
	s_and_saveexec_b64 s[24:25], s[26:27]
	s_cbranch_execz .LBB176_27
; %bb.24:                               ;   in Loop: Header=BB176_10 Depth=1
	v_sub_u32_e32 v14, 0, v11
	v_max_i32_e32 v14, v11, v14
	v_mul_hi_u32 v15, v14, v26
	v_mul_lo_u32 v16, v15, s38
	v_sub_u32_e32 v14, v14, v16
	v_add_u32_e32 v16, 1, v15
	v_cmp_le_u32_e32 vcc, s38, v14
	v_ashrrev_i32_e32 v12, 31, v11
	v_xor_b32_e32 v12, s42, v12
	v_cndmask_b32_e32 v15, v15, v16, vcc
	v_subrev_u32_e32 v16, s38, v14
	v_cndmask_b32_e32 v14, v14, v16, vcc
	v_add_u32_e32 v16, 1, v15
	v_cmp_le_u32_e32 vcc, s38, v14
	s_nop 1
	v_cndmask_b32_e32 v14, v15, v16, vcc
	v_xor_b32_e32 v14, v14, v12
	v_sub_u32_e32 v12, v14, v12
	v_cmp_ge_i32_e32 vcc, v12, v28
	s_and_saveexec_b64 s[26:27], vcc
	s_cbranch_execz .LBB176_26
; %bb.25:                               ;   in Loop: Header=BB176_10 Depth=1
	v_add_u32_e32 v14, s11, v29
	v_add_u32_e32 v16, 1, v29
	v_ashrrev_i32_e32 v15, 31, v14
	v_add_u32_e32 v28, 1, v12
	s_waitcnt lgkmcnt(0)
	v_lshl_add_u64 v[14:15], v[14:15], 2, s[6:7]
	v_add_u32_e32 v12, s33, v12
	v_mov_b32_e32 v29, v16
	global_store_dword v[14:15], v12, off
.LBB176_26:                             ;   in Loop: Header=BB176_10 Depth=1
	s_or_b64 exec, exec, s[26:27]
.LBB176_27:                             ;   in Loop: Header=BB176_10 Depth=1
	s_or_b64 exec, exec, s[24:25]
	ds_bpermute_b32 v11, v1, v11
	ds_bpermute_b32 v29, v1, v29
	s_and_b64 vcc, exec, s[2:3]
	s_cbranch_vccnz .LBB176_9
; %bb.28:                               ;   in Loop: Header=BB176_10 Depth=1
	s_waitcnt lgkmcnt(0)
	v_add_u32_e32 v12, s39, v29
	v_ashrrev_i32_e32 v14, 31, v12
	v_mul_lo_u32 v16, s41, v14
	v_mul_lo_u32 v17, s40, v12
	v_mad_u64_u32 v[14:15], s[24:25], s41, v12, 0
	v_add3_u32 v15, v15, v16, v17
	v_sub_u32_e32 v16, 0, v11
	v_max_i32_e32 v16, v11, v16
	v_mul_hi_u32 v17, v16, v26
	v_mul_lo_u32 v18, v17, s38
	v_sub_u32_e32 v16, v16, v18
	v_add_u32_e32 v18, 1, v17
	v_cmp_le_u32_e32 vcc, s38, v16
	v_ashrrev_i32_e32 v12, 31, v11
	v_xor_b32_e32 v12, s42, v12
	v_cndmask_b32_e32 v17, v17, v18, vcc
	v_subrev_u32_e32 v18, s38, v16
	v_cndmask_b32_e32 v16, v16, v18, vcc
	v_add_u32_e32 v18, 1, v17
	v_cmp_le_u32_e32 vcc, s38, v16
	v_lshl_add_u64 v[14:15], v[14:15], 3, s[16:17]
	s_mov_b32 s8, s14
	v_cndmask_b32_e32 v16, v17, v18, vcc
	v_xor_b32_e32 v16, v16, v12
	v_sub_u32_e32 v30, v16, v12
	v_mov_b64_e32 v[16:17], v[8:9]
	v_mov_b64_e32 v[18:19], v[6:7]
	v_mov_b32_e32 v12, v0
	v_mov_b32_e32 v31, v27
	s_branch .LBB176_31
.LBB176_29:                             ;   in Loop: Header=BB176_31 Depth=2
	v_ashrrev_i32_e32 v25, 31, v24
	v_lshl_add_u64 v[24:25], v[24:25], 3, v[14:15]
	v_lshl_add_u64 v[22:23], v[22:23], 3, v[24:25]
	s_waitcnt vmcnt(0)
	global_store_dwordx2 v[22:23], v[20:21], off
.LBB176_30:                             ;   in Loop: Header=BB176_31 Depth=2
	s_or_b64 exec, exec, s[24:25]
	s_add_i32 s8, s8, -1
	v_add_u32_e32 v31, s43, v31
	v_add_u32_e32 v12, 32, v12
	v_lshl_add_u64 v[18:19], v[18:19], 0, 4
	s_cmp_eq_u32 s8, 0
	v_lshl_add_u64 v[16:17], v[16:17], 0, 8
	s_cbranch_scc1 .LBB176_9
.LBB176_31:                             ;   Parent Loop BB176_10 Depth=1
                                        ; =>  This Inner Loop Header: Depth=2
	global_load_dword v22, v[18:19], off
	s_waitcnt vmcnt(0)
	v_cmp_gt_i32_e32 vcc, s10, v22
	s_and_saveexec_b64 s[24:25], vcc
	s_cbranch_execz .LBB176_30
; %bb.32:                               ;   in Loop: Header=BB176_31 Depth=2
	v_sub_u32_e32 v21, 0, v22
	v_max_i32_e32 v21, v22, v21
	v_mul_hi_u32 v23, v21, v26
	v_mul_lo_u32 v24, v23, s38
	v_sub_u32_e32 v32, v21, v24
	v_add_u32_e32 v21, 1, v23
	v_cmp_le_u32_e32 vcc, s38, v32
	v_subrev_u32_e32 v33, s38, v32
	v_ashrrev_i32_e32 v25, 31, v22
	v_cndmask_b32_e32 v21, v23, v21, vcc
	v_cndmask_b32_e32 v23, v32, v33, vcc
	v_add_u32_e32 v24, 1, v21
	v_cmp_le_u32_e32 vcc, s38, v23
	v_xor_b32_e32 v20, s42, v25
	s_nop 0
	v_cndmask_b32_e32 v21, v21, v24, vcc
	v_xor_b32_e32 v21, v21, v20
	v_sub_u32_e32 v20, v21, v20
	v_cmp_eq_u32_e32 vcc, v20, v30
	s_and_b64 exec, exec, vcc
	s_cbranch_execz .LBB176_30
; %bb.33:                               ;   in Loop: Header=BB176_31 Depth=2
	global_load_dwordx2 v[20:21], v[16:17], off
	s_and_b64 vcc, exec, s[20:21]
	s_cbranch_vccz .LBB176_35
; %bb.34:                               ;   in Loop: Header=BB176_31 Depth=2
	v_mul_lo_u32 v23, v30, s13
	v_sub_u32_e32 v22, v22, v23
	v_mul_lo_u32 v24, v22, s12
	v_mov_b64_e32 v[22:23], v[12:13]
	s_cbranch_execnz .LBB176_29
	s_branch .LBB176_36
.LBB176_35:                             ;   in Loop: Header=BB176_31 Depth=2
                                        ; implicit-def: $vgpr22_vgpr23
                                        ; implicit-def: $vgpr24
.LBB176_36:                             ;   in Loop: Header=BB176_31 Depth=2
	v_cmp_le_u32_e32 vcc, s38, v32
	v_mov_b32_e32 v24, v31
	s_nop 0
	v_cndmask_b32_e32 v22, v32, v33, vcc
	v_subrev_u32_e32 v23, s38, v22
	v_cmp_le_u32_e32 vcc, s38, v22
	s_nop 1
	v_cndmask_b32_e32 v22, v22, v23, vcc
	v_xor_b32_e32 v22, v22, v25
	v_sub_u32_e32 v22, v22, v25
	v_ashrrev_i32_e32 v23, 31, v22
	s_branch .LBB176_29
.LBB176_37:
	s_endpgm
	.section	.rodata,"a",@progbits
	.p2align	6, 0x0
	.amdhsa_kernel _ZN9rocsparseL23csr2gebsr_65_inf_kernelILi32E21rocsparse_complex_numIfEEEv20rocsparse_direction_iiiiiii21rocsparse_index_base_PKT0_PKiS9_S4_PS5_PiSB_SB_SA_
		.amdhsa_group_segment_fixed_size 0
		.amdhsa_private_segment_fixed_size 0
		.amdhsa_kernarg_size 112
		.amdhsa_user_sgpr_count 2
		.amdhsa_user_sgpr_dispatch_ptr 0
		.amdhsa_user_sgpr_queue_ptr 0
		.amdhsa_user_sgpr_kernarg_segment_ptr 1
		.amdhsa_user_sgpr_dispatch_id 0
		.amdhsa_user_sgpr_kernarg_preload_length 0
		.amdhsa_user_sgpr_kernarg_preload_offset 0
		.amdhsa_user_sgpr_private_segment_size 0
		.amdhsa_uses_dynamic_stack 0
		.amdhsa_enable_private_segment 0
		.amdhsa_system_sgpr_workgroup_id_x 1
		.amdhsa_system_sgpr_workgroup_id_y 0
		.amdhsa_system_sgpr_workgroup_id_z 0
		.amdhsa_system_sgpr_workgroup_info 0
		.amdhsa_system_vgpr_workitem_id 0
		.amdhsa_next_free_vgpr 34
		.amdhsa_next_free_sgpr 46
		.amdhsa_accum_offset 36
		.amdhsa_reserve_vcc 1
		.amdhsa_float_round_mode_32 0
		.amdhsa_float_round_mode_16_64 0
		.amdhsa_float_denorm_mode_32 3
		.amdhsa_float_denorm_mode_16_64 3
		.amdhsa_dx10_clamp 1
		.amdhsa_ieee_mode 1
		.amdhsa_fp16_overflow 0
		.amdhsa_tg_split 0
		.amdhsa_exception_fp_ieee_invalid_op 0
		.amdhsa_exception_fp_denorm_src 0
		.amdhsa_exception_fp_ieee_div_zero 0
		.amdhsa_exception_fp_ieee_overflow 0
		.amdhsa_exception_fp_ieee_underflow 0
		.amdhsa_exception_fp_ieee_inexact 0
		.amdhsa_exception_int_div_zero 0
	.end_amdhsa_kernel
	.section	.text._ZN9rocsparseL23csr2gebsr_65_inf_kernelILi32E21rocsparse_complex_numIfEEEv20rocsparse_direction_iiiiiii21rocsparse_index_base_PKT0_PKiS9_S4_PS5_PiSB_SB_SA_,"axG",@progbits,_ZN9rocsparseL23csr2gebsr_65_inf_kernelILi32E21rocsparse_complex_numIfEEEv20rocsparse_direction_iiiiiii21rocsparse_index_base_PKT0_PKiS9_S4_PS5_PiSB_SB_SA_,comdat
.Lfunc_end176:
	.size	_ZN9rocsparseL23csr2gebsr_65_inf_kernelILi32E21rocsparse_complex_numIfEEEv20rocsparse_direction_iiiiiii21rocsparse_index_base_PKT0_PKiS9_S4_PS5_PiSB_SB_SA_, .Lfunc_end176-_ZN9rocsparseL23csr2gebsr_65_inf_kernelILi32E21rocsparse_complex_numIfEEEv20rocsparse_direction_iiiiiii21rocsparse_index_base_PKT0_PKiS9_S4_PS5_PiSB_SB_SA_
                                        ; -- End function
	.section	.AMDGPU.csdata,"",@progbits
; Kernel info:
; codeLenInByte = 1760
; NumSgprs: 52
; NumVgprs: 34
; NumAgprs: 0
; TotalNumVgprs: 34
; ScratchSize: 0
; MemoryBound: 0
; FloatMode: 240
; IeeeMode: 1
; LDSByteSize: 0 bytes/workgroup (compile time only)
; SGPRBlocks: 6
; VGPRBlocks: 4
; NumSGPRsForWavesPerEU: 52
; NumVGPRsForWavesPerEU: 34
; AccumOffset: 36
; Occupancy: 8
; WaveLimiterHint : 0
; COMPUTE_PGM_RSRC2:SCRATCH_EN: 0
; COMPUTE_PGM_RSRC2:USER_SGPR: 2
; COMPUTE_PGM_RSRC2:TRAP_HANDLER: 0
; COMPUTE_PGM_RSRC2:TGID_X_EN: 1
; COMPUTE_PGM_RSRC2:TGID_Y_EN: 0
; COMPUTE_PGM_RSRC2:TGID_Z_EN: 0
; COMPUTE_PGM_RSRC2:TIDIG_COMP_CNT: 0
; COMPUTE_PGM_RSRC3_GFX90A:ACCUM_OFFSET: 8
; COMPUTE_PGM_RSRC3_GFX90A:TG_SPLIT: 0
	.section	.text._ZN9rocsparseL20csr2gebsr_kernel_bm1ILi256E21rocsparse_complex_numIdEEEviiii21rocsparse_index_base_PKT0_PKiS8_20rocsparse_direction_S3_PS4_S8_Piii,"axG",@progbits,_ZN9rocsparseL20csr2gebsr_kernel_bm1ILi256E21rocsparse_complex_numIdEEEviiii21rocsparse_index_base_PKT0_PKiS8_20rocsparse_direction_S3_PS4_S8_Piii,comdat
	.globl	_ZN9rocsparseL20csr2gebsr_kernel_bm1ILi256E21rocsparse_complex_numIdEEEviiii21rocsparse_index_base_PKT0_PKiS8_20rocsparse_direction_S3_PS4_S8_Piii ; -- Begin function _ZN9rocsparseL20csr2gebsr_kernel_bm1ILi256E21rocsparse_complex_numIdEEEviiii21rocsparse_index_base_PKT0_PKiS8_20rocsparse_direction_S3_PS4_S8_Piii
	.p2align	8
	.type	_ZN9rocsparseL20csr2gebsr_kernel_bm1ILi256E21rocsparse_complex_numIdEEEviiii21rocsparse_index_base_PKT0_PKiS8_20rocsparse_direction_S3_PS4_S8_Piii,@function
_ZN9rocsparseL20csr2gebsr_kernel_bm1ILi256E21rocsparse_complex_numIdEEEviiii21rocsparse_index_base_PKT0_PKiS8_20rocsparse_direction_S3_PS4_S8_Piii: ; @_ZN9rocsparseL20csr2gebsr_kernel_bm1ILi256E21rocsparse_complex_numIdEEEviiii21rocsparse_index_base_PKT0_PKiS8_20rocsparse_direction_S3_PS4_S8_Piii
; %bb.0:
	s_load_dword s3, s[0:1], 0x0
	v_lshl_or_b32 v2, s2, 8, v0
	s_waitcnt lgkmcnt(0)
	v_cmp_gt_i32_e32 vcc, s3, v2
	s_and_saveexec_b64 s[2:3], vcc
	s_cbranch_execz .LBB177_6
; %bb.1:
	s_load_dwordx4 s[16:19], s[0:1], 0x18
	v_ashrrev_i32_e32 v3, 31, v2
	s_waitcnt lgkmcnt(0)
	v_mov_b32_e32 v0, s18
	v_mov_b32_e32 v1, s19
	v_lshl_add_u64 v[0:1], v[2:3], 2, v[0:1]
	global_load_dwordx2 v[4:5], v[0:1], off
	s_waitcnt vmcnt(0)
	v_cmp_lt_i32_e32 vcc, v4, v5
	s_and_b64 exec, exec, vcc
	s_cbranch_execz .LBB177_6
; %bb.2:
	s_load_dwordx8 s[4:11], s[0:1], 0x28
	v_mov_b32_e32 v9, -1
	s_waitcnt lgkmcnt(0)
	v_mov_b32_e32 v6, s10
	v_mov_b32_e32 v7, s11
	v_lshl_add_u64 v[2:3], v[2:3], 2, v[6:7]
	global_load_dword v8, v[2:3], off
	s_load_dword s10, s[0:1], 0x10
	s_load_dwordx4 s[12:15], s[0:1], 0x48
	s_cmp_eq_u32 s6, 0
	v_mov_b32_e32 v10, s4
	v_mov_b32_e32 v11, s5
	s_waitcnt lgkmcnt(0)
	v_subrev_u32_e32 v2, s10, v4
	s_cselect_b32 s6, s14, 1
	s_abs_i32 s11, s15
	v_cvt_f32_u32_e32 v3, s11
	v_mov_b32_e32 v6, s16
	v_mov_b32_e32 v7, s17
	s_sub_i32 s2, 0, s11
	v_rcp_iflag_f32_e32 v12, v3
	v_ashrrev_i32_e32 v3, 31, v2
	v_lshl_add_u64 v[4:5], v[2:3], 2, v[10:11]
	s_ashr_i32 s17, s15, 31
	v_mul_f32_e32 v10, 0x4f7ffffe, v12
	v_cvt_u32_f32_e32 v10, v10
	v_lshl_add_u64 v[6:7], v[2:3], 4, v[6:7]
	s_add_u32 s0, s12, 4
	s_mul_hi_i32 s16, s15, s14
	v_mul_lo_u32 v3, s2, v10
	v_mul_hi_u32 v3, v10, v3
	s_mul_i32 s14, s15, s14
	s_addc_u32 s1, s13, 0
	v_add_u32_e32 v3, v10, v3
	s_mov_b64 s[2:3], 0
	s_waitcnt vmcnt(0)
	v_xad_u32 v8, s7, -1, v8
	v_mov_b32_e32 v10, v8
	s_branch .LBB177_4
.LBB177_3:                              ;   in Loop: Header=BB177_4 Depth=1
	s_or_b64 exec, exec, s[4:5]
	global_load_dwordx4 v[14:17], v[6:7], off
	v_mul_lo_u32 v18, v12, s15
	v_ashrrev_i32_e32 v19, 31, v10
	v_mul_lo_u32 v20, s16, v10
	v_mad_u64_u32 v[12:13], s[4:5], s14, v10, 0
	v_sub_u32_e32 v11, v11, v18
	v_mul_lo_u32 v18, s14, v19
	v_add3_u32 v13, v13, v18, v20
	v_mul_lo_u32 v18, v11, s6
	v_ashrrev_i32_e32 v19, 31, v18
	v_lshl_add_u64 v[12:13], v[12:13], 4, s[8:9]
	v_lshl_add_u64 v[12:13], v[18:19], 4, v[12:13]
	v_add_u32_e32 v2, 1, v2
	v_lshl_add_u64 v[4:5], v[4:5], 0, 4
	v_lshl_add_u64 v[6:7], v[6:7], 0, 16
	s_waitcnt vmcnt(0)
	global_store_dwordx4 v[12:13], v[14:17], off
	global_load_dword v11, v[0:1], off offset:4
	s_waitcnt vmcnt(0)
	v_subrev_u32_e32 v11, s10, v11
	v_cmp_ge_i32_e32 vcc, v2, v11
	s_or_b64 s[2:3], vcc, s[2:3]
	s_andn2_b64 exec, exec, s[2:3]
	s_cbranch_execz .LBB177_6
.LBB177_4:                              ; =>This Inner Loop Header: Depth=1
	global_load_dword v11, v[4:5], off
	s_waitcnt vmcnt(0)
	v_subrev_u32_e32 v11, s10, v11
	v_sub_u32_e32 v13, 0, v11
	v_max_i32_e32 v13, v11, v13
	v_mul_hi_u32 v14, v13, v3
	v_mul_lo_u32 v15, v14, s11
	v_sub_u32_e32 v13, v13, v15
	v_add_u32_e32 v16, 1, v14
	v_cmp_le_u32_e32 vcc, s11, v13
	v_subrev_u32_e32 v15, s11, v13
	v_ashrrev_i32_e32 v12, 31, v11
	v_cndmask_b32_e32 v14, v14, v16, vcc
	v_cndmask_b32_e32 v13, v13, v15, vcc
	v_add_u32_e32 v15, 1, v14
	v_cmp_le_u32_e32 vcc, s11, v13
	v_xor_b32_e32 v12, s17, v12
	s_nop 0
	v_cndmask_b32_e32 v13, v14, v15, vcc
	v_xor_b32_e32 v13, v13, v12
	v_sub_u32_e32 v12, v13, v12
	v_cmp_ne_u32_e32 vcc, v12, v9
	s_and_saveexec_b64 s[4:5], vcc
	s_cbranch_execz .LBB177_3
; %bb.5:                                ;   in Loop: Header=BB177_4 Depth=1
	v_ashrrev_i32_e32 v9, 31, v8
	v_add_u32_e32 v13, 1, v8
	v_lshl_add_u64 v[8:9], v[8:9], 2, s[0:1]
	v_add_u32_e32 v14, s7, v12
	v_add_u32_e32 v10, 1, v10
	global_store_dword v[8:9], v14, off
	v_mov_b32_e32 v8, v13
	v_mov_b32_e32 v9, v12
	s_branch .LBB177_3
.LBB177_6:
	s_endpgm
	.section	.rodata,"a",@progbits
	.p2align	6, 0x0
	.amdhsa_kernel _ZN9rocsparseL20csr2gebsr_kernel_bm1ILi256E21rocsparse_complex_numIdEEEviiii21rocsparse_index_base_PKT0_PKiS8_20rocsparse_direction_S3_PS4_S8_Piii
		.amdhsa_group_segment_fixed_size 0
		.amdhsa_private_segment_fixed_size 0
		.amdhsa_kernarg_size 88
		.amdhsa_user_sgpr_count 2
		.amdhsa_user_sgpr_dispatch_ptr 0
		.amdhsa_user_sgpr_queue_ptr 0
		.amdhsa_user_sgpr_kernarg_segment_ptr 1
		.amdhsa_user_sgpr_dispatch_id 0
		.amdhsa_user_sgpr_kernarg_preload_length 0
		.amdhsa_user_sgpr_kernarg_preload_offset 0
		.amdhsa_user_sgpr_private_segment_size 0
		.amdhsa_uses_dynamic_stack 0
		.amdhsa_enable_private_segment 0
		.amdhsa_system_sgpr_workgroup_id_x 1
		.amdhsa_system_sgpr_workgroup_id_y 0
		.amdhsa_system_sgpr_workgroup_id_z 0
		.amdhsa_system_sgpr_workgroup_info 0
		.amdhsa_system_vgpr_workitem_id 0
		.amdhsa_next_free_vgpr 21
		.amdhsa_next_free_sgpr 20
		.amdhsa_accum_offset 24
		.amdhsa_reserve_vcc 1
		.amdhsa_float_round_mode_32 0
		.amdhsa_float_round_mode_16_64 0
		.amdhsa_float_denorm_mode_32 3
		.amdhsa_float_denorm_mode_16_64 3
		.amdhsa_dx10_clamp 1
		.amdhsa_ieee_mode 1
		.amdhsa_fp16_overflow 0
		.amdhsa_tg_split 0
		.amdhsa_exception_fp_ieee_invalid_op 0
		.amdhsa_exception_fp_denorm_src 0
		.amdhsa_exception_fp_ieee_div_zero 0
		.amdhsa_exception_fp_ieee_overflow 0
		.amdhsa_exception_fp_ieee_underflow 0
		.amdhsa_exception_fp_ieee_inexact 0
		.amdhsa_exception_int_div_zero 0
	.end_amdhsa_kernel
	.section	.text._ZN9rocsparseL20csr2gebsr_kernel_bm1ILi256E21rocsparse_complex_numIdEEEviiii21rocsparse_index_base_PKT0_PKiS8_20rocsparse_direction_S3_PS4_S8_Piii,"axG",@progbits,_ZN9rocsparseL20csr2gebsr_kernel_bm1ILi256E21rocsparse_complex_numIdEEEviiii21rocsparse_index_base_PKT0_PKiS8_20rocsparse_direction_S3_PS4_S8_Piii,comdat
.Lfunc_end177:
	.size	_ZN9rocsparseL20csr2gebsr_kernel_bm1ILi256E21rocsparse_complex_numIdEEEviiii21rocsparse_index_base_PKT0_PKiS8_20rocsparse_direction_S3_PS4_S8_Piii, .Lfunc_end177-_ZN9rocsparseL20csr2gebsr_kernel_bm1ILi256E21rocsparse_complex_numIdEEEviiii21rocsparse_index_base_PKT0_PKiS8_20rocsparse_direction_S3_PS4_S8_Piii
                                        ; -- End function
	.section	.AMDGPU.csdata,"",@progbits
; Kernel info:
; codeLenInByte = 596
; NumSgprs: 26
; NumVgprs: 21
; NumAgprs: 0
; TotalNumVgprs: 21
; ScratchSize: 0
; MemoryBound: 0
; FloatMode: 240
; IeeeMode: 1
; LDSByteSize: 0 bytes/workgroup (compile time only)
; SGPRBlocks: 3
; VGPRBlocks: 2
; NumSGPRsForWavesPerEU: 26
; NumVGPRsForWavesPerEU: 21
; AccumOffset: 24
; Occupancy: 8
; WaveLimiterHint : 0
; COMPUTE_PGM_RSRC2:SCRATCH_EN: 0
; COMPUTE_PGM_RSRC2:USER_SGPR: 2
; COMPUTE_PGM_RSRC2:TRAP_HANDLER: 0
; COMPUTE_PGM_RSRC2:TGID_X_EN: 1
; COMPUTE_PGM_RSRC2:TGID_Y_EN: 0
; COMPUTE_PGM_RSRC2:TGID_Z_EN: 0
; COMPUTE_PGM_RSRC2:TIDIG_COMP_CNT: 0
; COMPUTE_PGM_RSRC3_GFX90A:ACCUM_OFFSET: 5
; COMPUTE_PGM_RSRC3_GFX90A:TG_SPLIT: 0
	.section	.text._ZN9rocsparseL44csr2gebsr_wavefront_per_row_multipass_kernelILi256ELi2ELi2ELi4E21rocsparse_complex_numIdEEEv20rocsparse_direction_iiiiii21rocsparse_index_base_PKT3_PKiS9_S4_PS5_PiSB_,"axG",@progbits,_ZN9rocsparseL44csr2gebsr_wavefront_per_row_multipass_kernelILi256ELi2ELi2ELi4E21rocsparse_complex_numIdEEEv20rocsparse_direction_iiiiii21rocsparse_index_base_PKT3_PKiS9_S4_PS5_PiSB_,comdat
	.globl	_ZN9rocsparseL44csr2gebsr_wavefront_per_row_multipass_kernelILi256ELi2ELi2ELi4E21rocsparse_complex_numIdEEEv20rocsparse_direction_iiiiii21rocsparse_index_base_PKT3_PKiS9_S4_PS5_PiSB_ ; -- Begin function _ZN9rocsparseL44csr2gebsr_wavefront_per_row_multipass_kernelILi256ELi2ELi2ELi4E21rocsparse_complex_numIdEEEv20rocsparse_direction_iiiiii21rocsparse_index_base_PKT3_PKiS9_S4_PS5_PiSB_
	.p2align	8
	.type	_ZN9rocsparseL44csr2gebsr_wavefront_per_row_multipass_kernelILi256ELi2ELi2ELi4E21rocsparse_complex_numIdEEEv20rocsparse_direction_iiiiii21rocsparse_index_base_PKT3_PKiS9_S4_PS5_PiSB_,@function
_ZN9rocsparseL44csr2gebsr_wavefront_per_row_multipass_kernelILi256ELi2ELi2ELi4E21rocsparse_complex_numIdEEEv20rocsparse_direction_iiiiii21rocsparse_index_base_PKT3_PKiS9_S4_PS5_PiSB_: ; @_ZN9rocsparseL44csr2gebsr_wavefront_per_row_multipass_kernelILi256ELi2ELi2ELi4E21rocsparse_complex_numIdEEEv20rocsparse_direction_iiiiii21rocsparse_index_base_PKT3_PKiS9_S4_PS5_PiSB_
; %bb.0:
	s_load_dwordx2 s[14:15], s[0:1], 0x0
	s_load_dwordx4 s[4:7], s[0:1], 0xc
	s_load_dword s20, s[0:1], 0x1c
	s_load_dwordx2 s[8:9], s[0:1], 0x28
	v_lshrrev_b32_e32 v14, 2, v0
	v_bfe_u32 v2, v0, 1, 1
	v_lshl_or_b32 v6, s2, 6, v14
	s_waitcnt lgkmcnt(0)
	v_mad_u64_u32 v[4:5], s[2:3], v6, s6, v[2:3]
	v_cmp_gt_i32_e64 s[2:3], s15, v4
	v_cmp_gt_i32_e32 vcc, s6, v2
	s_and_b64 s[2:3], vcc, s[2:3]
	v_mov_b32_e32 v15, 0
	v_mov_b32_e32 v10, 0
	s_and_saveexec_b64 s[10:11], s[2:3]
	s_cbranch_execz .LBB178_2
; %bb.1:
	v_ashrrev_i32_e32 v5, 31, v4
	v_lshl_add_u64 v[8:9], v[4:5], 2, s[8:9]
	global_load_dword v1, v[8:9], off
	s_waitcnt vmcnt(0)
	v_subrev_u32_e32 v10, s20, v1
.LBB178_2:
	s_or_b64 exec, exec, s[10:11]
	s_and_saveexec_b64 s[10:11], s[2:3]
	s_cbranch_execz .LBB178_4
; %bb.3:
	v_ashrrev_i32_e32 v5, 31, v4
	v_lshl_add_u64 v[4:5], v[4:5], 2, s[8:9]
	global_load_dword v1, v[4:5], off offset:4
	s_waitcnt vmcnt(0)
	v_subrev_u32_e32 v15, s20, v1
.LBB178_4:
	s_or_b64 exec, exec, s[10:11]
	s_load_dword s21, s[0:1], 0x38
	v_cmp_gt_i32_e64 s[2:3], s4, v6
	v_mov_b32_e32 v4, 0
	s_and_saveexec_b64 s[8:9], s[2:3]
	s_cbranch_execz .LBB178_6
; %bb.5:
	s_load_dwordx2 s[2:3], s[0:1], 0x48
	v_ashrrev_i32_e32 v7, 31, v6
	s_waitcnt lgkmcnt(0)
	v_lshl_add_u64 v[4:5], v[6:7], 2, s[2:3]
	global_load_dword v1, v[4:5], off
	s_waitcnt vmcnt(0)
	v_subrev_u32_e32 v4, s21, v1
.LBB178_6:
	s_or_b64 exec, exec, s[8:9]
	s_cmp_lt_i32 s5, 1
	s_cbranch_scc1 .LBB178_21
; %bb.7:
	v_and_b32_e32 v6, 1, v0
	v_and_b32_e32 v0, 0xfc, v0
	s_load_dwordx2 s[2:3], s[0:1], 0x20
	s_load_dwordx2 s[8:9], s[0:1], 0x50
	;; [unrolled: 1-line block ×4, first 2 shown]
	v_lshl_or_b32 v16, v2, 1, v0
	v_mbcnt_lo_u32_b32 v0, -1, 0
	v_mbcnt_hi_u32_b32 v0, -1, v0
	v_mov_b32_e32 v7, 0
	v_lshlrev_b32_e32 v5, 2, v0
	v_cmp_gt_u32_e64 s[0:1], s7, v6
	v_or_b32_e32 v0, v16, v6
	s_and_b64 s[12:13], vcc, s[0:1]
	v_lshlrev_b32_e32 v18, 4, v0
	v_mul_lo_u32 v0, v6, s6
	v_mov_b32_e32 v1, v7
	v_lshlrev_b32_e32 v8, 4, v2
	v_mul_lo_u32 v2, v2, s7
	s_cmp_eq_u32 s14, 0
	s_waitcnt lgkmcnt(0)
	v_lshl_add_u64 v[0:1], v[0:1], 4, s[16:17]
	v_mov_b32_e32 v9, v7
	v_ashrrev_i32_e32 v3, 31, v2
	v_lshl_add_u64 v[0:1], v[0:1], 0, v[8:9]
	v_lshl_add_u64 v[2:3], v[2:3], 4, s[16:17]
	v_lshlrev_b32_e32 v8, 4, v6
	s_cselect_b64 vcc, -1, 0
	s_abs_i32 s4, s7
	v_lshl_add_u64 v[2:3], v[2:3], 0, v[8:9]
	v_cvt_f32_u32_e32 v8, s4
	v_or_b32_e32 v17, 4, v5
	v_or_b32_e32 v19, 12, v5
	s_ashr_i32 s22, s7, 31
	v_rcp_iflag_f32_e32 v8, v8
	s_mul_hi_u32 s0, s7, s6
	s_mul_i32 s1, s22, s6
	s_add_i32 s23, s0, s1
	v_mul_f32_e32 v5, 0x4f7ffffe, v8
	v_cvt_u32_f32_e32 v5, v5
	s_sub_i32 s0, 0, s4
	v_cndmask_b32_e32 v8, v0, v2, vcc
	s_mul_i32 s6, s7, s6
	v_mul_lo_u32 v0, s0, v5
	v_mul_hi_u32 v0, v5, v0
	v_cndmask_b32_e32 v9, v1, v3, vcc
	v_add_u32_e32 v20, v5, v0
	s_mov_b64 s[14:15], 0
	v_mov_b32_e32 v0, v7
	v_mov_b32_e32 v1, v7
	v_mov_b32_e32 v2, v7
	v_mov_b32_e32 v3, v7
	v_mov_b32_e32 v21, 1
	v_mov_b32_e32 v5, v7
	s_branch .LBB178_10
.LBB178_8:                              ;   in Loop: Header=BB178_10 Depth=1
	s_or_b64 exec, exec, s[16:17]
	v_mov_b32_e32 v11, 1
.LBB178_9:                              ;   in Loop: Header=BB178_10 Depth=1
	s_or_b64 exec, exec, s[0:1]
	v_mov_b32_dpp v5, v22 row_shr:1 row_mask:0xf bank_mask:0xf
	v_min_i32_e32 v5, v5, v22
	v_add_u32_e32 v4, v11, v4
	s_waitcnt lgkmcnt(0)
	v_mov_b32_dpp v12, v5 row_shr:2 row_mask:0xf bank_mask:0xf
	v_min_i32_e32 v5, v12, v5
	ds_bpermute_b32 v5, v19, v5
	s_waitcnt lgkmcnt(0)
	v_cmp_le_i32_e32 vcc, s5, v5
	s_or_b64 s[14:15], vcc, s[14:15]
	s_andn2_b64 exec, exec, s[14:15]
	s_cbranch_execz .LBB178_21
.LBB178_10:                             ; =>This Loop Header: Depth=1
                                        ;     Child Loop BB178_13 Depth 2
	v_add_u32_e32 v23, v10, v6
	v_cmp_lt_i32_e32 vcc, v23, v15
	v_mov_b32_e32 v22, s5
	v_mov_b32_e32 v25, v15
	ds_write_b8 v14, v7 offset:4096
	ds_write_b128 v18, v[0:3]
	s_waitcnt lgkmcnt(0)
	s_and_saveexec_b64 s[16:17], vcc
	s_cbranch_execz .LBB178_18
; %bb.11:                               ;   in Loop: Header=BB178_10 Depth=1
	v_ashrrev_i32_e32 v11, 31, v10
	v_lshl_add_u64 v[12:13], v[6:7], 0, v[10:11]
	v_mul_lo_u32 v24, v5, s7
	v_lshl_add_u64 v[10:11], v[12:13], 2, s[10:11]
	v_lshl_add_u64 v[12:13], v[12:13], 4, s[2:3]
	s_mov_b64 s[18:19], 0
	v_mov_b32_e32 v22, s5
	v_mov_b32_e32 v25, v15
	s_branch .LBB178_13
.LBB178_12:                             ;   in Loop: Header=BB178_13 Depth=2
	s_or_b64 exec, exec, s[0:1]
	v_add_u32_e32 v23, 2, v23
	v_cmp_ge_i32_e64 s[0:1], v23, v15
	s_xor_b64 s[24:25], vcc, -1
	s_or_b64 s[0:1], s[24:25], s[0:1]
	s_and_b64 s[0:1], exec, s[0:1]
	v_lshl_add_u64 v[10:11], v[10:11], 0, 8
	s_or_b64 s[18:19], s[0:1], s[18:19]
	v_lshl_add_u64 v[12:13], v[12:13], 0, 32
	s_andn2_b64 exec, exec, s[18:19]
	s_cbranch_execz .LBB178_17
.LBB178_13:                             ;   Parent Loop BB178_10 Depth=1
                                        ; =>  This Inner Loop Header: Depth=2
	global_load_dword v26, v[10:11], off
	s_waitcnt vmcnt(0)
	v_subrev_u32_e32 v26, s20, v26
	v_sub_u32_e32 v28, 0, v26
	v_max_i32_e32 v28, v26, v28
	v_mul_hi_u32 v29, v28, v20
	v_mul_lo_u32 v30, v29, s4
	v_sub_u32_e32 v28, v28, v30
	v_add_u32_e32 v31, 1, v29
	v_cmp_le_u32_e32 vcc, s4, v28
	v_subrev_u32_e32 v30, s4, v28
	v_ashrrev_i32_e32 v27, 31, v26
	v_cndmask_b32_e32 v29, v29, v31, vcc
	v_cndmask_b32_e32 v28, v28, v30, vcc
	v_add_u32_e32 v30, 1, v29
	v_cmp_le_u32_e32 vcc, s4, v28
	v_xor_b32_e32 v27, s22, v27
	s_nop 0
	v_cndmask_b32_e32 v28, v29, v30, vcc
	v_xor_b32_e32 v28, v28, v27
	v_sub_u32_e32 v28, v28, v27
	v_cmp_eq_u32_e32 vcc, v28, v5
	v_cmp_ne_u32_e64 s[0:1], v28, v5
	v_mov_b32_e32 v27, v25
	s_and_saveexec_b64 s[24:25], s[0:1]
	s_xor_b64 s[0:1], exec, s[24:25]
; %bb.14:                               ;   in Loop: Header=BB178_13 Depth=2
	v_min_i32_e32 v22, v28, v22
                                        ; implicit-def: $vgpr26
                                        ; implicit-def: $vgpr27
; %bb.15:                               ;   in Loop: Header=BB178_13 Depth=2
	s_or_saveexec_b64 s[0:1], s[0:1]
	v_mov_b32_e32 v25, v23
	s_xor_b64 exec, exec, s[0:1]
	s_cbranch_execz .LBB178_12
; %bb.16:                               ;   in Loop: Header=BB178_13 Depth=2
	global_load_dwordx4 v[28:31], v[12:13], off
	v_sub_u32_e32 v25, v26, v24
	v_add_lshl_u32 v25, v16, v25, 4
	ds_write_b8 v14, v21 offset:4096
	s_waitcnt vmcnt(0)
	ds_write2_b64 v25, v[28:29], v[30:31] offset1:1
	v_mov_b32_e32 v25, v27
	s_branch .LBB178_12
.LBB178_17:                             ;   in Loop: Header=BB178_10 Depth=1
	s_or_b64 exec, exec, s[18:19]
.LBB178_18:                             ;   in Loop: Header=BB178_10 Depth=1
	s_or_b64 exec, exec, s[16:17]
	s_waitcnt lgkmcnt(0)
	ds_read_u8 v11, v14 offset:4096
	v_mov_b32_dpp v10, v25 row_shr:1 row_mask:0xf bank_mask:0xf
	v_min_i32_e32 v10, v10, v25
	ds_bpermute_b32 v10, v17, v10
	s_waitcnt lgkmcnt(1)
	v_and_b32_e32 v11, 1, v11
	v_cmp_eq_u32_e32 vcc, 1, v11
	v_mov_b32_e32 v11, 0
	s_and_saveexec_b64 s[0:1], vcc
	s_cbranch_execz .LBB178_9
; %bb.19:                               ;   in Loop: Header=BB178_10 Depth=1
	v_add_u32_e32 v11, s21, v5
	v_ashrrev_i32_e32 v5, 31, v4
	v_lshl_add_u64 v[12:13], v[4:5], 2, s[8:9]
	global_store_dword v[12:13], v11, off
	s_and_saveexec_b64 s[16:17], s[12:13]
	s_cbranch_execz .LBB178_8
; %bb.20:                               ;   in Loop: Header=BB178_10 Depth=1
	ds_read2_b64 v[24:27], v18 offset1:1
	v_mul_lo_u32 v11, s23, v4
	v_mul_lo_u32 v5, s6, v5
	v_mad_u64_u32 v[12:13], s[18:19], s6, v4, 0
	v_add3_u32 v13, v13, v5, v11
	v_lshl_add_u64 v[12:13], v[12:13], 4, v[8:9]
	s_waitcnt lgkmcnt(0)
	global_store_dwordx4 v[12:13], v[24:27], off
	s_branch .LBB178_8
.LBB178_21:
	s_endpgm
	.section	.rodata,"a",@progbits
	.p2align	6, 0x0
	.amdhsa_kernel _ZN9rocsparseL44csr2gebsr_wavefront_per_row_multipass_kernelILi256ELi2ELi2ELi4E21rocsparse_complex_numIdEEEv20rocsparse_direction_iiiiii21rocsparse_index_base_PKT3_PKiS9_S4_PS5_PiSB_
		.amdhsa_group_segment_fixed_size 4160
		.amdhsa_private_segment_fixed_size 0
		.amdhsa_kernarg_size 88
		.amdhsa_user_sgpr_count 2
		.amdhsa_user_sgpr_dispatch_ptr 0
		.amdhsa_user_sgpr_queue_ptr 0
		.amdhsa_user_sgpr_kernarg_segment_ptr 1
		.amdhsa_user_sgpr_dispatch_id 0
		.amdhsa_user_sgpr_kernarg_preload_length 0
		.amdhsa_user_sgpr_kernarg_preload_offset 0
		.amdhsa_user_sgpr_private_segment_size 0
		.amdhsa_uses_dynamic_stack 0
		.amdhsa_enable_private_segment 0
		.amdhsa_system_sgpr_workgroup_id_x 1
		.amdhsa_system_sgpr_workgroup_id_y 0
		.amdhsa_system_sgpr_workgroup_id_z 0
		.amdhsa_system_sgpr_workgroup_info 0
		.amdhsa_system_vgpr_workitem_id 0
		.amdhsa_next_free_vgpr 32
		.amdhsa_next_free_sgpr 26
		.amdhsa_accum_offset 32
		.amdhsa_reserve_vcc 1
		.amdhsa_float_round_mode_32 0
		.amdhsa_float_round_mode_16_64 0
		.amdhsa_float_denorm_mode_32 3
		.amdhsa_float_denorm_mode_16_64 3
		.amdhsa_dx10_clamp 1
		.amdhsa_ieee_mode 1
		.amdhsa_fp16_overflow 0
		.amdhsa_tg_split 0
		.amdhsa_exception_fp_ieee_invalid_op 0
		.amdhsa_exception_fp_denorm_src 0
		.amdhsa_exception_fp_ieee_div_zero 0
		.amdhsa_exception_fp_ieee_overflow 0
		.amdhsa_exception_fp_ieee_underflow 0
		.amdhsa_exception_fp_ieee_inexact 0
		.amdhsa_exception_int_div_zero 0
	.end_amdhsa_kernel
	.section	.text._ZN9rocsparseL44csr2gebsr_wavefront_per_row_multipass_kernelILi256ELi2ELi2ELi4E21rocsparse_complex_numIdEEEv20rocsparse_direction_iiiiii21rocsparse_index_base_PKT3_PKiS9_S4_PS5_PiSB_,"axG",@progbits,_ZN9rocsparseL44csr2gebsr_wavefront_per_row_multipass_kernelILi256ELi2ELi2ELi4E21rocsparse_complex_numIdEEEv20rocsparse_direction_iiiiii21rocsparse_index_base_PKT3_PKiS9_S4_PS5_PiSB_,comdat
.Lfunc_end178:
	.size	_ZN9rocsparseL44csr2gebsr_wavefront_per_row_multipass_kernelILi256ELi2ELi2ELi4E21rocsparse_complex_numIdEEEv20rocsparse_direction_iiiiii21rocsparse_index_base_PKT3_PKiS9_S4_PS5_PiSB_, .Lfunc_end178-_ZN9rocsparseL44csr2gebsr_wavefront_per_row_multipass_kernelILi256ELi2ELi2ELi4E21rocsparse_complex_numIdEEEv20rocsparse_direction_iiiiii21rocsparse_index_base_PKT3_PKiS9_S4_PS5_PiSB_
                                        ; -- End function
	.section	.AMDGPU.csdata,"",@progbits
; Kernel info:
; codeLenInByte = 1116
; NumSgprs: 32
; NumVgprs: 32
; NumAgprs: 0
; TotalNumVgprs: 32
; ScratchSize: 0
; MemoryBound: 0
; FloatMode: 240
; IeeeMode: 1
; LDSByteSize: 4160 bytes/workgroup (compile time only)
; SGPRBlocks: 3
; VGPRBlocks: 3
; NumSGPRsForWavesPerEU: 32
; NumVGPRsForWavesPerEU: 32
; AccumOffset: 32
; Occupancy: 8
; WaveLimiterHint : 0
; COMPUTE_PGM_RSRC2:SCRATCH_EN: 0
; COMPUTE_PGM_RSRC2:USER_SGPR: 2
; COMPUTE_PGM_RSRC2:TRAP_HANDLER: 0
; COMPUTE_PGM_RSRC2:TGID_X_EN: 1
; COMPUTE_PGM_RSRC2:TGID_Y_EN: 0
; COMPUTE_PGM_RSRC2:TGID_Z_EN: 0
; COMPUTE_PGM_RSRC2:TIDIG_COMP_CNT: 0
; COMPUTE_PGM_RSRC3_GFX90A:ACCUM_OFFSET: 7
; COMPUTE_PGM_RSRC3_GFX90A:TG_SPLIT: 0
	.section	.text._ZN9rocsparseL44csr2gebsr_wavefront_per_row_multipass_kernelILi256ELi2ELi4ELi8E21rocsparse_complex_numIdEEEv20rocsparse_direction_iiiiii21rocsparse_index_base_PKT3_PKiS9_S4_PS5_PiSB_,"axG",@progbits,_ZN9rocsparseL44csr2gebsr_wavefront_per_row_multipass_kernelILi256ELi2ELi4ELi8E21rocsparse_complex_numIdEEEv20rocsparse_direction_iiiiii21rocsparse_index_base_PKT3_PKiS9_S4_PS5_PiSB_,comdat
	.globl	_ZN9rocsparseL44csr2gebsr_wavefront_per_row_multipass_kernelILi256ELi2ELi4ELi8E21rocsparse_complex_numIdEEEv20rocsparse_direction_iiiiii21rocsparse_index_base_PKT3_PKiS9_S4_PS5_PiSB_ ; -- Begin function _ZN9rocsparseL44csr2gebsr_wavefront_per_row_multipass_kernelILi256ELi2ELi4ELi8E21rocsparse_complex_numIdEEEv20rocsparse_direction_iiiiii21rocsparse_index_base_PKT3_PKiS9_S4_PS5_PiSB_
	.p2align	8
	.type	_ZN9rocsparseL44csr2gebsr_wavefront_per_row_multipass_kernelILi256ELi2ELi4ELi8E21rocsparse_complex_numIdEEEv20rocsparse_direction_iiiiii21rocsparse_index_base_PKT3_PKiS9_S4_PS5_PiSB_,@function
_ZN9rocsparseL44csr2gebsr_wavefront_per_row_multipass_kernelILi256ELi2ELi4ELi8E21rocsparse_complex_numIdEEEv20rocsparse_direction_iiiiii21rocsparse_index_base_PKT3_PKiS9_S4_PS5_PiSB_: ; @_ZN9rocsparseL44csr2gebsr_wavefront_per_row_multipass_kernelILi256ELi2ELi4ELi8E21rocsparse_complex_numIdEEEv20rocsparse_direction_iiiiii21rocsparse_index_base_PKT3_PKiS9_S4_PS5_PiSB_
; %bb.0:
	s_load_dwordx2 s[14:15], s[0:1], 0x0
	s_load_dwordx4 s[4:7], s[0:1], 0xc
	s_load_dword s20, s[0:1], 0x1c
	s_load_dwordx2 s[8:9], s[0:1], 0x28
	v_lshrrev_b32_e32 v14, 3, v0
	v_bfe_u32 v2, v0, 2, 1
	v_lshl_or_b32 v6, s2, 5, v14
	s_waitcnt lgkmcnt(0)
	v_mad_u64_u32 v[4:5], s[2:3], v6, s6, v[2:3]
	v_cmp_gt_i32_e64 s[2:3], s15, v4
	v_cmp_gt_i32_e32 vcc, s6, v2
	s_and_b64 s[2:3], vcc, s[2:3]
	v_mov_b32_e32 v15, 0
	v_mov_b32_e32 v10, 0
	s_and_saveexec_b64 s[10:11], s[2:3]
	s_cbranch_execz .LBB179_2
; %bb.1:
	v_ashrrev_i32_e32 v5, 31, v4
	v_lshl_add_u64 v[8:9], v[4:5], 2, s[8:9]
	global_load_dword v1, v[8:9], off
	s_waitcnt vmcnt(0)
	v_subrev_u32_e32 v10, s20, v1
.LBB179_2:
	s_or_b64 exec, exec, s[10:11]
	s_and_saveexec_b64 s[10:11], s[2:3]
	s_cbranch_execz .LBB179_4
; %bb.3:
	v_ashrrev_i32_e32 v5, 31, v4
	v_lshl_add_u64 v[4:5], v[4:5], 2, s[8:9]
	global_load_dword v1, v[4:5], off offset:4
	s_waitcnt vmcnt(0)
	v_subrev_u32_e32 v15, s20, v1
.LBB179_4:
	s_or_b64 exec, exec, s[10:11]
	s_load_dword s21, s[0:1], 0x38
	v_cmp_gt_i32_e64 s[2:3], s4, v6
	v_mov_b32_e32 v4, 0
	s_and_saveexec_b64 s[8:9], s[2:3]
	s_cbranch_execz .LBB179_6
; %bb.5:
	s_load_dwordx2 s[2:3], s[0:1], 0x48
	v_ashrrev_i32_e32 v7, 31, v6
	s_waitcnt lgkmcnt(0)
	v_lshl_add_u64 v[4:5], v[6:7], 2, s[2:3]
	global_load_dword v1, v[4:5], off
	s_waitcnt vmcnt(0)
	v_subrev_u32_e32 v4, s21, v1
.LBB179_6:
	s_or_b64 exec, exec, s[8:9]
	s_cmp_lt_i32 s5, 1
	s_cbranch_scc1 .LBB179_21
; %bb.7:
	v_and_b32_e32 v6, 3, v0
	v_and_b32_e32 v0, 0xf8, v0
	s_load_dwordx2 s[2:3], s[0:1], 0x20
	s_load_dwordx2 s[8:9], s[0:1], 0x50
	;; [unrolled: 1-line block ×4, first 2 shown]
	v_lshl_or_b32 v16, v2, 2, v0
	v_mbcnt_lo_u32_b32 v0, -1, 0
	v_mbcnt_hi_u32_b32 v0, -1, v0
	v_mov_b32_e32 v7, 0
	v_lshlrev_b32_e32 v5, 2, v0
	v_cmp_gt_u32_e64 s[0:1], s7, v6
	v_or_b32_e32 v0, v16, v6
	s_and_b64 s[12:13], vcc, s[0:1]
	v_lshlrev_b32_e32 v18, 4, v0
	v_mul_lo_u32 v0, v6, s6
	v_mov_b32_e32 v1, v7
	v_lshlrev_b32_e32 v8, 4, v2
	v_mul_lo_u32 v2, v2, s7
	s_cmp_eq_u32 s14, 0
	s_waitcnt lgkmcnt(0)
	v_lshl_add_u64 v[0:1], v[0:1], 4, s[16:17]
	v_mov_b32_e32 v9, v7
	v_ashrrev_i32_e32 v3, 31, v2
	v_lshl_add_u64 v[0:1], v[0:1], 0, v[8:9]
	v_lshl_add_u64 v[2:3], v[2:3], 4, s[16:17]
	v_lshlrev_b32_e32 v8, 4, v6
	s_cselect_b64 vcc, -1, 0
	s_abs_i32 s4, s7
	v_lshl_add_u64 v[2:3], v[2:3], 0, v[8:9]
	v_cvt_f32_u32_e32 v8, s4
	v_or_b32_e32 v17, 12, v5
	v_or_b32_e32 v19, 28, v5
	s_ashr_i32 s22, s7, 31
	v_rcp_iflag_f32_e32 v8, v8
	s_mul_hi_u32 s0, s7, s6
	s_mul_i32 s1, s22, s6
	s_add_i32 s23, s0, s1
	v_mul_f32_e32 v5, 0x4f7ffffe, v8
	v_cvt_u32_f32_e32 v5, v5
	s_sub_i32 s0, 0, s4
	v_cndmask_b32_e32 v8, v0, v2, vcc
	s_mul_i32 s6, s7, s6
	v_mul_lo_u32 v0, s0, v5
	v_mul_hi_u32 v0, v5, v0
	v_cndmask_b32_e32 v9, v1, v3, vcc
	v_add_u32_e32 v20, v5, v0
	s_mov_b64 s[14:15], 0
	v_mov_b32_e32 v0, v7
	v_mov_b32_e32 v1, v7
	;; [unrolled: 1-line block ×6, first 2 shown]
	s_branch .LBB179_10
.LBB179_8:                              ;   in Loop: Header=BB179_10 Depth=1
	s_or_b64 exec, exec, s[16:17]
	v_mov_b32_e32 v11, 1
.LBB179_9:                              ;   in Loop: Header=BB179_10 Depth=1
	s_or_b64 exec, exec, s[0:1]
	v_mov_b32_dpp v5, v22 row_shr:1 row_mask:0xf bank_mask:0xf
	v_min_i32_e32 v5, v5, v22
	v_add_u32_e32 v4, v11, v4
	s_waitcnt lgkmcnt(0)
	v_mov_b32_dpp v12, v5 row_shr:2 row_mask:0xf bank_mask:0xf
	v_min_i32_e32 v5, v12, v5
	s_nop 1
	v_mov_b32_dpp v12, v5 row_shr:4 row_mask:0xf bank_mask:0xe
	v_min_i32_e32 v5, v12, v5
	ds_bpermute_b32 v5, v19, v5
	s_waitcnt lgkmcnt(0)
	v_cmp_le_i32_e32 vcc, s5, v5
	s_or_b64 s[14:15], vcc, s[14:15]
	s_andn2_b64 exec, exec, s[14:15]
	s_cbranch_execz .LBB179_21
.LBB179_10:                             ; =>This Loop Header: Depth=1
                                        ;     Child Loop BB179_13 Depth 2
	v_add_u32_e32 v23, v10, v6
	v_cmp_lt_i32_e32 vcc, v23, v15
	v_mov_b32_e32 v22, s5
	v_mov_b32_e32 v25, v15
	ds_write_b8 v14, v7 offset:4096
	ds_write_b128 v18, v[0:3]
	s_waitcnt lgkmcnt(0)
	s_and_saveexec_b64 s[16:17], vcc
	s_cbranch_execz .LBB179_18
; %bb.11:                               ;   in Loop: Header=BB179_10 Depth=1
	v_ashrrev_i32_e32 v11, 31, v10
	v_lshl_add_u64 v[12:13], v[6:7], 0, v[10:11]
	v_mul_lo_u32 v24, v5, s7
	v_lshl_add_u64 v[10:11], v[12:13], 2, s[10:11]
	v_lshl_add_u64 v[12:13], v[12:13], 4, s[2:3]
	s_mov_b64 s[18:19], 0
	v_mov_b32_e32 v22, s5
	v_mov_b32_e32 v25, v15
	s_branch .LBB179_13
.LBB179_12:                             ;   in Loop: Header=BB179_13 Depth=2
	s_or_b64 exec, exec, s[0:1]
	v_add_u32_e32 v23, 4, v23
	v_cmp_ge_i32_e64 s[0:1], v23, v15
	s_xor_b64 s[24:25], vcc, -1
	s_or_b64 s[0:1], s[24:25], s[0:1]
	s_and_b64 s[0:1], exec, s[0:1]
	v_lshl_add_u64 v[10:11], v[10:11], 0, 16
	s_or_b64 s[18:19], s[0:1], s[18:19]
	v_lshl_add_u64 v[12:13], v[12:13], 0, 64
	s_andn2_b64 exec, exec, s[18:19]
	s_cbranch_execz .LBB179_17
.LBB179_13:                             ;   Parent Loop BB179_10 Depth=1
                                        ; =>  This Inner Loop Header: Depth=2
	global_load_dword v26, v[10:11], off
	s_waitcnt vmcnt(0)
	v_subrev_u32_e32 v26, s20, v26
	v_sub_u32_e32 v28, 0, v26
	v_max_i32_e32 v28, v26, v28
	v_mul_hi_u32 v29, v28, v20
	v_mul_lo_u32 v30, v29, s4
	v_sub_u32_e32 v28, v28, v30
	v_add_u32_e32 v31, 1, v29
	v_cmp_le_u32_e32 vcc, s4, v28
	v_subrev_u32_e32 v30, s4, v28
	v_ashrrev_i32_e32 v27, 31, v26
	v_cndmask_b32_e32 v29, v29, v31, vcc
	v_cndmask_b32_e32 v28, v28, v30, vcc
	v_add_u32_e32 v30, 1, v29
	v_cmp_le_u32_e32 vcc, s4, v28
	v_xor_b32_e32 v27, s22, v27
	s_nop 0
	v_cndmask_b32_e32 v28, v29, v30, vcc
	v_xor_b32_e32 v28, v28, v27
	v_sub_u32_e32 v28, v28, v27
	v_cmp_eq_u32_e32 vcc, v28, v5
	v_cmp_ne_u32_e64 s[0:1], v28, v5
	v_mov_b32_e32 v27, v25
	s_and_saveexec_b64 s[24:25], s[0:1]
	s_xor_b64 s[0:1], exec, s[24:25]
; %bb.14:                               ;   in Loop: Header=BB179_13 Depth=2
	v_min_i32_e32 v22, v28, v22
                                        ; implicit-def: $vgpr26
                                        ; implicit-def: $vgpr27
; %bb.15:                               ;   in Loop: Header=BB179_13 Depth=2
	s_or_saveexec_b64 s[0:1], s[0:1]
	v_mov_b32_e32 v25, v23
	s_xor_b64 exec, exec, s[0:1]
	s_cbranch_execz .LBB179_12
; %bb.16:                               ;   in Loop: Header=BB179_13 Depth=2
	global_load_dwordx4 v[28:31], v[12:13], off
	v_sub_u32_e32 v25, v26, v24
	v_add_lshl_u32 v25, v16, v25, 4
	ds_write_b8 v14, v21 offset:4096
	s_waitcnt vmcnt(0)
	ds_write2_b64 v25, v[28:29], v[30:31] offset1:1
	v_mov_b32_e32 v25, v27
	s_branch .LBB179_12
.LBB179_17:                             ;   in Loop: Header=BB179_10 Depth=1
	s_or_b64 exec, exec, s[18:19]
.LBB179_18:                             ;   in Loop: Header=BB179_10 Depth=1
	s_or_b64 exec, exec, s[16:17]
	v_mov_b32_dpp v10, v25 row_shr:1 row_mask:0xf bank_mask:0xf
	v_min_i32_e32 v10, v10, v25
	s_waitcnt lgkmcnt(0)
	ds_read_u8 v11, v14 offset:4096
	v_mov_b32_dpp v12, v10 row_shr:2 row_mask:0xf bank_mask:0xf
	v_min_i32_e32 v10, v12, v10
	ds_bpermute_b32 v10, v17, v10
	s_waitcnt lgkmcnt(1)
	v_and_b32_e32 v11, 1, v11
	v_cmp_eq_u32_e32 vcc, 1, v11
	v_mov_b32_e32 v11, 0
	s_and_saveexec_b64 s[0:1], vcc
	s_cbranch_execz .LBB179_9
; %bb.19:                               ;   in Loop: Header=BB179_10 Depth=1
	v_add_u32_e32 v11, s21, v5
	v_ashrrev_i32_e32 v5, 31, v4
	v_lshl_add_u64 v[12:13], v[4:5], 2, s[8:9]
	global_store_dword v[12:13], v11, off
	s_and_saveexec_b64 s[16:17], s[12:13]
	s_cbranch_execz .LBB179_8
; %bb.20:                               ;   in Loop: Header=BB179_10 Depth=1
	ds_read2_b64 v[24:27], v18 offset1:1
	v_mul_lo_u32 v11, s23, v4
	v_mul_lo_u32 v5, s6, v5
	v_mad_u64_u32 v[12:13], s[18:19], s6, v4, 0
	v_add3_u32 v13, v13, v5, v11
	v_lshl_add_u64 v[12:13], v[12:13], 4, v[8:9]
	s_waitcnt lgkmcnt(0)
	global_store_dwordx4 v[12:13], v[24:27], off
	s_branch .LBB179_8
.LBB179_21:
	s_endpgm
	.section	.rodata,"a",@progbits
	.p2align	6, 0x0
	.amdhsa_kernel _ZN9rocsparseL44csr2gebsr_wavefront_per_row_multipass_kernelILi256ELi2ELi4ELi8E21rocsparse_complex_numIdEEEv20rocsparse_direction_iiiiii21rocsparse_index_base_PKT3_PKiS9_S4_PS5_PiSB_
		.amdhsa_group_segment_fixed_size 4128
		.amdhsa_private_segment_fixed_size 0
		.amdhsa_kernarg_size 88
		.amdhsa_user_sgpr_count 2
		.amdhsa_user_sgpr_dispatch_ptr 0
		.amdhsa_user_sgpr_queue_ptr 0
		.amdhsa_user_sgpr_kernarg_segment_ptr 1
		.amdhsa_user_sgpr_dispatch_id 0
		.amdhsa_user_sgpr_kernarg_preload_length 0
		.amdhsa_user_sgpr_kernarg_preload_offset 0
		.amdhsa_user_sgpr_private_segment_size 0
		.amdhsa_uses_dynamic_stack 0
		.amdhsa_enable_private_segment 0
		.amdhsa_system_sgpr_workgroup_id_x 1
		.amdhsa_system_sgpr_workgroup_id_y 0
		.amdhsa_system_sgpr_workgroup_id_z 0
		.amdhsa_system_sgpr_workgroup_info 0
		.amdhsa_system_vgpr_workitem_id 0
		.amdhsa_next_free_vgpr 32
		.amdhsa_next_free_sgpr 26
		.amdhsa_accum_offset 32
		.amdhsa_reserve_vcc 1
		.amdhsa_float_round_mode_32 0
		.amdhsa_float_round_mode_16_64 0
		.amdhsa_float_denorm_mode_32 3
		.amdhsa_float_denorm_mode_16_64 3
		.amdhsa_dx10_clamp 1
		.amdhsa_ieee_mode 1
		.amdhsa_fp16_overflow 0
		.amdhsa_tg_split 0
		.amdhsa_exception_fp_ieee_invalid_op 0
		.amdhsa_exception_fp_denorm_src 0
		.amdhsa_exception_fp_ieee_div_zero 0
		.amdhsa_exception_fp_ieee_overflow 0
		.amdhsa_exception_fp_ieee_underflow 0
		.amdhsa_exception_fp_ieee_inexact 0
		.amdhsa_exception_int_div_zero 0
	.end_amdhsa_kernel
	.section	.text._ZN9rocsparseL44csr2gebsr_wavefront_per_row_multipass_kernelILi256ELi2ELi4ELi8E21rocsparse_complex_numIdEEEv20rocsparse_direction_iiiiii21rocsparse_index_base_PKT3_PKiS9_S4_PS5_PiSB_,"axG",@progbits,_ZN9rocsparseL44csr2gebsr_wavefront_per_row_multipass_kernelILi256ELi2ELi4ELi8E21rocsparse_complex_numIdEEEv20rocsparse_direction_iiiiii21rocsparse_index_base_PKT3_PKiS9_S4_PS5_PiSB_,comdat
.Lfunc_end179:
	.size	_ZN9rocsparseL44csr2gebsr_wavefront_per_row_multipass_kernelILi256ELi2ELi4ELi8E21rocsparse_complex_numIdEEEv20rocsparse_direction_iiiiii21rocsparse_index_base_PKT3_PKiS9_S4_PS5_PiSB_, .Lfunc_end179-_ZN9rocsparseL44csr2gebsr_wavefront_per_row_multipass_kernelILi256ELi2ELi4ELi8E21rocsparse_complex_numIdEEEv20rocsparse_direction_iiiiii21rocsparse_index_base_PKT3_PKiS9_S4_PS5_PiSB_
                                        ; -- End function
	.section	.AMDGPU.csdata,"",@progbits
; Kernel info:
; codeLenInByte = 1144
; NumSgprs: 32
; NumVgprs: 32
; NumAgprs: 0
; TotalNumVgprs: 32
; ScratchSize: 0
; MemoryBound: 0
; FloatMode: 240
; IeeeMode: 1
; LDSByteSize: 4128 bytes/workgroup (compile time only)
; SGPRBlocks: 3
; VGPRBlocks: 3
; NumSGPRsForWavesPerEU: 32
; NumVGPRsForWavesPerEU: 32
; AccumOffset: 32
; Occupancy: 8
; WaveLimiterHint : 0
; COMPUTE_PGM_RSRC2:SCRATCH_EN: 0
; COMPUTE_PGM_RSRC2:USER_SGPR: 2
; COMPUTE_PGM_RSRC2:TRAP_HANDLER: 0
; COMPUTE_PGM_RSRC2:TGID_X_EN: 1
; COMPUTE_PGM_RSRC2:TGID_Y_EN: 0
; COMPUTE_PGM_RSRC2:TGID_Z_EN: 0
; COMPUTE_PGM_RSRC2:TIDIG_COMP_CNT: 0
; COMPUTE_PGM_RSRC3_GFX90A:ACCUM_OFFSET: 7
; COMPUTE_PGM_RSRC3_GFX90A:TG_SPLIT: 0
	.section	.text._ZN9rocsparseL44csr2gebsr_wavefront_per_row_multipass_kernelILi256ELi2ELi8ELi16E21rocsparse_complex_numIdEEEv20rocsparse_direction_iiiiii21rocsparse_index_base_PKT3_PKiS9_S4_PS5_PiSB_,"axG",@progbits,_ZN9rocsparseL44csr2gebsr_wavefront_per_row_multipass_kernelILi256ELi2ELi8ELi16E21rocsparse_complex_numIdEEEv20rocsparse_direction_iiiiii21rocsparse_index_base_PKT3_PKiS9_S4_PS5_PiSB_,comdat
	.globl	_ZN9rocsparseL44csr2gebsr_wavefront_per_row_multipass_kernelILi256ELi2ELi8ELi16E21rocsparse_complex_numIdEEEv20rocsparse_direction_iiiiii21rocsparse_index_base_PKT3_PKiS9_S4_PS5_PiSB_ ; -- Begin function _ZN9rocsparseL44csr2gebsr_wavefront_per_row_multipass_kernelILi256ELi2ELi8ELi16E21rocsparse_complex_numIdEEEv20rocsparse_direction_iiiiii21rocsparse_index_base_PKT3_PKiS9_S4_PS5_PiSB_
	.p2align	8
	.type	_ZN9rocsparseL44csr2gebsr_wavefront_per_row_multipass_kernelILi256ELi2ELi8ELi16E21rocsparse_complex_numIdEEEv20rocsparse_direction_iiiiii21rocsparse_index_base_PKT3_PKiS9_S4_PS5_PiSB_,@function
_ZN9rocsparseL44csr2gebsr_wavefront_per_row_multipass_kernelILi256ELi2ELi8ELi16E21rocsparse_complex_numIdEEEv20rocsparse_direction_iiiiii21rocsparse_index_base_PKT3_PKiS9_S4_PS5_PiSB_: ; @_ZN9rocsparseL44csr2gebsr_wavefront_per_row_multipass_kernelILi256ELi2ELi8ELi16E21rocsparse_complex_numIdEEEv20rocsparse_direction_iiiiii21rocsparse_index_base_PKT3_PKiS9_S4_PS5_PiSB_
; %bb.0:
	s_load_dwordx2 s[14:15], s[0:1], 0x0
	s_load_dwordx4 s[4:7], s[0:1], 0xc
	s_load_dword s22, s[0:1], 0x1c
	s_load_dwordx2 s[8:9], s[0:1], 0x28
	v_lshrrev_b32_e32 v14, 4, v0
	v_bfe_u32 v2, v0, 3, 1
	v_lshl_or_b32 v6, s2, 4, v14
	s_waitcnt lgkmcnt(0)
	v_mad_u64_u32 v[4:5], s[2:3], v6, s6, v[2:3]
	v_cmp_gt_i32_e64 s[2:3], s15, v4
	v_cmp_gt_i32_e32 vcc, s6, v2
	s_and_b64 s[2:3], vcc, s[2:3]
	v_mov_b32_e32 v15, 0
	v_mov_b32_e32 v10, 0
	s_and_saveexec_b64 s[10:11], s[2:3]
	s_cbranch_execz .LBB180_2
; %bb.1:
	v_ashrrev_i32_e32 v5, 31, v4
	v_lshl_add_u64 v[8:9], v[4:5], 2, s[8:9]
	global_load_dword v1, v[8:9], off
	s_waitcnt vmcnt(0)
	v_subrev_u32_e32 v10, s22, v1
.LBB180_2:
	s_or_b64 exec, exec, s[10:11]
	s_and_saveexec_b64 s[10:11], s[2:3]
	s_cbranch_execz .LBB180_4
; %bb.3:
	v_ashrrev_i32_e32 v5, 31, v4
	v_lshl_add_u64 v[4:5], v[4:5], 2, s[8:9]
	global_load_dword v1, v[4:5], off offset:4
	s_waitcnt vmcnt(0)
	v_subrev_u32_e32 v15, s22, v1
.LBB180_4:
	s_or_b64 exec, exec, s[10:11]
	s_load_dword s23, s[0:1], 0x38
	v_cmp_gt_i32_e64 s[2:3], s4, v6
	v_mov_b32_e32 v4, 0
	s_and_saveexec_b64 s[8:9], s[2:3]
	s_cbranch_execz .LBB180_6
; %bb.5:
	s_load_dwordx2 s[2:3], s[0:1], 0x48
	v_ashrrev_i32_e32 v7, 31, v6
	s_waitcnt lgkmcnt(0)
	v_lshl_add_u64 v[4:5], v[6:7], 2, s[2:3]
	global_load_dword v1, v[4:5], off
	s_waitcnt vmcnt(0)
	v_subrev_u32_e32 v4, s23, v1
.LBB180_6:
	s_or_b64 exec, exec, s[8:9]
	s_cmp_lt_i32 s5, 1
	s_cbranch_scc1 .LBB180_21
; %bb.7:
	v_and_b32_e32 v6, 7, v0
	v_and_b32_e32 v0, 0xf0, v0
	s_load_dwordx2 s[2:3], s[0:1], 0x20
	s_load_dwordx2 s[8:9], s[0:1], 0x50
	;; [unrolled: 1-line block ×4, first 2 shown]
	v_lshl_or_b32 v16, v2, 3, v0
	v_mbcnt_lo_u32_b32 v0, -1, 0
	v_mbcnt_hi_u32_b32 v0, -1, v0
	v_mov_b32_e32 v7, 0
	v_lshlrev_b32_e32 v5, 2, v0
	v_cmp_gt_u32_e64 s[0:1], s7, v6
	v_or_b32_e32 v0, v16, v6
	s_and_b64 s[12:13], vcc, s[0:1]
	v_lshlrev_b32_e32 v18, 4, v0
	v_mul_lo_u32 v0, v6, s6
	v_mov_b32_e32 v1, v7
	v_lshlrev_b32_e32 v8, 4, v2
	v_mul_lo_u32 v2, v2, s7
	s_cmp_eq_u32 s14, 0
	s_waitcnt lgkmcnt(0)
	v_lshl_add_u64 v[0:1], v[0:1], 4, s[16:17]
	v_mov_b32_e32 v9, v7
	v_ashrrev_i32_e32 v3, 31, v2
	v_lshl_add_u64 v[0:1], v[0:1], 0, v[8:9]
	v_lshl_add_u64 v[2:3], v[2:3], 4, s[16:17]
	v_lshlrev_b32_e32 v8, 4, v6
	s_cselect_b64 vcc, -1, 0
	s_abs_i32 s4, s7
	v_lshl_add_u64 v[2:3], v[2:3], 0, v[8:9]
	v_cvt_f32_u32_e32 v8, s4
	v_or_b32_e32 v17, 28, v5
	v_or_b32_e32 v19, 60, v5
	s_ashr_i32 s24, s7, 31
	v_rcp_iflag_f32_e32 v8, v8
	s_mul_hi_u32 s0, s7, s6
	s_mul_i32 s1, s24, s6
	s_add_i32 s25, s0, s1
	v_mul_f32_e32 v5, 0x4f7ffffe, v8
	v_cvt_u32_f32_e32 v5, v5
	s_sub_i32 s0, 0, s4
	v_cndmask_b32_e32 v8, v0, v2, vcc
	s_mul_i32 s6, s7, s6
	v_mul_lo_u32 v0, s0, v5
	v_mul_hi_u32 v0, v5, v0
	v_cndmask_b32_e32 v9, v1, v3, vcc
	v_add_u32_e32 v20, v5, v0
	s_mov_b64 s[14:15], 0
	v_mov_b32_e32 v0, v7
	v_mov_b32_e32 v1, v7
	;; [unrolled: 1-line block ×4, first 2 shown]
	s_mov_b64 s[16:17], 0x80
	v_mov_b32_e32 v21, 1
	v_mov_b32_e32 v5, v7
	s_branch .LBB180_10
.LBB180_8:                              ;   in Loop: Header=BB180_10 Depth=1
	s_or_b64 exec, exec, s[18:19]
	v_mov_b32_e32 v11, 1
.LBB180_9:                              ;   in Loop: Header=BB180_10 Depth=1
	s_or_b64 exec, exec, s[0:1]
	v_mov_b32_dpp v5, v22 row_shr:1 row_mask:0xf bank_mask:0xf
	v_min_i32_e32 v5, v5, v22
	v_add_u32_e32 v4, v11, v4
	s_waitcnt lgkmcnt(0)
	v_mov_b32_dpp v12, v5 row_shr:2 row_mask:0xf bank_mask:0xf
	v_min_i32_e32 v5, v12, v5
	s_nop 1
	v_mov_b32_dpp v12, v5 row_shr:4 row_mask:0xf bank_mask:0xe
	v_min_i32_e32 v5, v12, v5
	s_nop 1
	v_mov_b32_dpp v12, v5 row_shr:8 row_mask:0xf bank_mask:0xc
	v_min_i32_e32 v5, v12, v5
	ds_bpermute_b32 v5, v19, v5
	s_waitcnt lgkmcnt(0)
	v_cmp_le_i32_e32 vcc, s5, v5
	s_or_b64 s[14:15], vcc, s[14:15]
	s_andn2_b64 exec, exec, s[14:15]
	s_cbranch_execz .LBB180_21
.LBB180_10:                             ; =>This Loop Header: Depth=1
                                        ;     Child Loop BB180_13 Depth 2
	v_add_u32_e32 v23, v10, v6
	v_cmp_lt_i32_e32 vcc, v23, v15
	v_mov_b32_e32 v22, s5
	v_mov_b32_e32 v25, v15
	ds_write_b8 v14, v7 offset:4096
	ds_write_b128 v18, v[0:3]
	s_waitcnt lgkmcnt(0)
	s_and_saveexec_b64 s[18:19], vcc
	s_cbranch_execz .LBB180_18
; %bb.11:                               ;   in Loop: Header=BB180_10 Depth=1
	v_ashrrev_i32_e32 v11, 31, v10
	v_lshl_add_u64 v[12:13], v[6:7], 0, v[10:11]
	v_mul_lo_u32 v24, v5, s7
	v_lshl_add_u64 v[10:11], v[12:13], 2, s[10:11]
	v_lshl_add_u64 v[12:13], v[12:13], 4, s[2:3]
	s_mov_b64 s[20:21], 0
	v_mov_b32_e32 v22, s5
	v_mov_b32_e32 v25, v15
	s_branch .LBB180_13
.LBB180_12:                             ;   in Loop: Header=BB180_13 Depth=2
	s_or_b64 exec, exec, s[0:1]
	v_add_u32_e32 v23, 8, v23
	v_cmp_ge_i32_e64 s[0:1], v23, v15
	s_xor_b64 s[26:27], vcc, -1
	s_or_b64 s[0:1], s[26:27], s[0:1]
	s_and_b64 s[0:1], exec, s[0:1]
	v_lshl_add_u64 v[10:11], v[10:11], 0, 32
	s_or_b64 s[20:21], s[0:1], s[20:21]
	v_lshl_add_u64 v[12:13], v[12:13], 0, s[16:17]
	s_andn2_b64 exec, exec, s[20:21]
	s_cbranch_execz .LBB180_17
.LBB180_13:                             ;   Parent Loop BB180_10 Depth=1
                                        ; =>  This Inner Loop Header: Depth=2
	global_load_dword v26, v[10:11], off
	s_waitcnt vmcnt(0)
	v_subrev_u32_e32 v26, s22, v26
	v_sub_u32_e32 v28, 0, v26
	v_max_i32_e32 v28, v26, v28
	v_mul_hi_u32 v29, v28, v20
	v_mul_lo_u32 v30, v29, s4
	v_sub_u32_e32 v28, v28, v30
	v_add_u32_e32 v31, 1, v29
	v_cmp_le_u32_e32 vcc, s4, v28
	v_subrev_u32_e32 v30, s4, v28
	v_ashrrev_i32_e32 v27, 31, v26
	v_cndmask_b32_e32 v29, v29, v31, vcc
	v_cndmask_b32_e32 v28, v28, v30, vcc
	v_add_u32_e32 v30, 1, v29
	v_cmp_le_u32_e32 vcc, s4, v28
	v_xor_b32_e32 v27, s24, v27
	s_nop 0
	v_cndmask_b32_e32 v28, v29, v30, vcc
	v_xor_b32_e32 v28, v28, v27
	v_sub_u32_e32 v28, v28, v27
	v_cmp_eq_u32_e32 vcc, v28, v5
	v_cmp_ne_u32_e64 s[0:1], v28, v5
	v_mov_b32_e32 v27, v25
	s_and_saveexec_b64 s[26:27], s[0:1]
	s_xor_b64 s[0:1], exec, s[26:27]
; %bb.14:                               ;   in Loop: Header=BB180_13 Depth=2
	v_min_i32_e32 v22, v28, v22
                                        ; implicit-def: $vgpr26
                                        ; implicit-def: $vgpr27
; %bb.15:                               ;   in Loop: Header=BB180_13 Depth=2
	s_or_saveexec_b64 s[0:1], s[0:1]
	v_mov_b32_e32 v25, v23
	s_xor_b64 exec, exec, s[0:1]
	s_cbranch_execz .LBB180_12
; %bb.16:                               ;   in Loop: Header=BB180_13 Depth=2
	global_load_dwordx4 v[28:31], v[12:13], off
	v_sub_u32_e32 v25, v26, v24
	v_add_lshl_u32 v25, v16, v25, 4
	ds_write_b8 v14, v21 offset:4096
	s_waitcnt vmcnt(0)
	ds_write2_b64 v25, v[28:29], v[30:31] offset1:1
	v_mov_b32_e32 v25, v27
	s_branch .LBB180_12
.LBB180_17:                             ;   in Loop: Header=BB180_10 Depth=1
	s_or_b64 exec, exec, s[20:21]
.LBB180_18:                             ;   in Loop: Header=BB180_10 Depth=1
	s_or_b64 exec, exec, s[18:19]
	v_mov_b32_dpp v10, v25 row_shr:1 row_mask:0xf bank_mask:0xf
	v_min_i32_e32 v10, v10, v25
	s_waitcnt lgkmcnt(0)
	s_nop 0
	v_mov_b32_dpp v11, v10 row_shr:2 row_mask:0xf bank_mask:0xf
	v_min_i32_e32 v10, v11, v10
	ds_read_u8 v11, v14 offset:4096
	s_waitcnt lgkmcnt(0)
	v_and_b32_e32 v11, 1, v11
	v_mov_b32_dpp v12, v10 row_shr:4 row_mask:0xf bank_mask:0xe
	v_min_i32_e32 v10, v12, v10
	ds_bpermute_b32 v10, v17, v10
	v_cmp_eq_u32_e32 vcc, 1, v11
	v_mov_b32_e32 v11, 0
	s_and_saveexec_b64 s[0:1], vcc
	s_cbranch_execz .LBB180_9
; %bb.19:                               ;   in Loop: Header=BB180_10 Depth=1
	v_add_u32_e32 v11, s23, v5
	v_ashrrev_i32_e32 v5, 31, v4
	v_lshl_add_u64 v[12:13], v[4:5], 2, s[8:9]
	global_store_dword v[12:13], v11, off
	s_and_saveexec_b64 s[18:19], s[12:13]
	s_cbranch_execz .LBB180_8
; %bb.20:                               ;   in Loop: Header=BB180_10 Depth=1
	ds_read2_b64 v[24:27], v18 offset1:1
	v_mul_lo_u32 v11, s25, v4
	v_mul_lo_u32 v5, s6, v5
	v_mad_u64_u32 v[12:13], s[20:21], s6, v4, 0
	v_add3_u32 v13, v13, v5, v11
	v_lshl_add_u64 v[12:13], v[12:13], 4, v[8:9]
	s_waitcnt lgkmcnt(0)
	global_store_dwordx4 v[12:13], v[24:27], off
	s_branch .LBB180_8
.LBB180_21:
	s_endpgm
	.section	.rodata,"a",@progbits
	.p2align	6, 0x0
	.amdhsa_kernel _ZN9rocsparseL44csr2gebsr_wavefront_per_row_multipass_kernelILi256ELi2ELi8ELi16E21rocsparse_complex_numIdEEEv20rocsparse_direction_iiiiii21rocsparse_index_base_PKT3_PKiS9_S4_PS5_PiSB_
		.amdhsa_group_segment_fixed_size 4112
		.amdhsa_private_segment_fixed_size 0
		.amdhsa_kernarg_size 88
		.amdhsa_user_sgpr_count 2
		.amdhsa_user_sgpr_dispatch_ptr 0
		.amdhsa_user_sgpr_queue_ptr 0
		.amdhsa_user_sgpr_kernarg_segment_ptr 1
		.amdhsa_user_sgpr_dispatch_id 0
		.amdhsa_user_sgpr_kernarg_preload_length 0
		.amdhsa_user_sgpr_kernarg_preload_offset 0
		.amdhsa_user_sgpr_private_segment_size 0
		.amdhsa_uses_dynamic_stack 0
		.amdhsa_enable_private_segment 0
		.amdhsa_system_sgpr_workgroup_id_x 1
		.amdhsa_system_sgpr_workgroup_id_y 0
		.amdhsa_system_sgpr_workgroup_id_z 0
		.amdhsa_system_sgpr_workgroup_info 0
		.amdhsa_system_vgpr_workitem_id 0
		.amdhsa_next_free_vgpr 32
		.amdhsa_next_free_sgpr 28
		.amdhsa_accum_offset 32
		.amdhsa_reserve_vcc 1
		.amdhsa_float_round_mode_32 0
		.amdhsa_float_round_mode_16_64 0
		.amdhsa_float_denorm_mode_32 3
		.amdhsa_float_denorm_mode_16_64 3
		.amdhsa_dx10_clamp 1
		.amdhsa_ieee_mode 1
		.amdhsa_fp16_overflow 0
		.amdhsa_tg_split 0
		.amdhsa_exception_fp_ieee_invalid_op 0
		.amdhsa_exception_fp_denorm_src 0
		.amdhsa_exception_fp_ieee_div_zero 0
		.amdhsa_exception_fp_ieee_overflow 0
		.amdhsa_exception_fp_ieee_underflow 0
		.amdhsa_exception_fp_ieee_inexact 0
		.amdhsa_exception_int_div_zero 0
	.end_amdhsa_kernel
	.section	.text._ZN9rocsparseL44csr2gebsr_wavefront_per_row_multipass_kernelILi256ELi2ELi8ELi16E21rocsparse_complex_numIdEEEv20rocsparse_direction_iiiiii21rocsparse_index_base_PKT3_PKiS9_S4_PS5_PiSB_,"axG",@progbits,_ZN9rocsparseL44csr2gebsr_wavefront_per_row_multipass_kernelILi256ELi2ELi8ELi16E21rocsparse_complex_numIdEEEv20rocsparse_direction_iiiiii21rocsparse_index_base_PKT3_PKiS9_S4_PS5_PiSB_,comdat
.Lfunc_end180:
	.size	_ZN9rocsparseL44csr2gebsr_wavefront_per_row_multipass_kernelILi256ELi2ELi8ELi16E21rocsparse_complex_numIdEEEv20rocsparse_direction_iiiiii21rocsparse_index_base_PKT3_PKiS9_S4_PS5_PiSB_, .Lfunc_end180-_ZN9rocsparseL44csr2gebsr_wavefront_per_row_multipass_kernelILi256ELi2ELi8ELi16E21rocsparse_complex_numIdEEEv20rocsparse_direction_iiiiii21rocsparse_index_base_PKT3_PKiS9_S4_PS5_PiSB_
                                        ; -- End function
	.section	.AMDGPU.csdata,"",@progbits
; Kernel info:
; codeLenInByte = 1184
; NumSgprs: 34
; NumVgprs: 32
; NumAgprs: 0
; TotalNumVgprs: 32
; ScratchSize: 0
; MemoryBound: 0
; FloatMode: 240
; IeeeMode: 1
; LDSByteSize: 4112 bytes/workgroup (compile time only)
; SGPRBlocks: 4
; VGPRBlocks: 3
; NumSGPRsForWavesPerEU: 34
; NumVGPRsForWavesPerEU: 32
; AccumOffset: 32
; Occupancy: 8
; WaveLimiterHint : 0
; COMPUTE_PGM_RSRC2:SCRATCH_EN: 0
; COMPUTE_PGM_RSRC2:USER_SGPR: 2
; COMPUTE_PGM_RSRC2:TRAP_HANDLER: 0
; COMPUTE_PGM_RSRC2:TGID_X_EN: 1
; COMPUTE_PGM_RSRC2:TGID_Y_EN: 0
; COMPUTE_PGM_RSRC2:TGID_Z_EN: 0
; COMPUTE_PGM_RSRC2:TIDIG_COMP_CNT: 0
; COMPUTE_PGM_RSRC3_GFX90A:ACCUM_OFFSET: 7
; COMPUTE_PGM_RSRC3_GFX90A:TG_SPLIT: 0
	.section	.text._ZN9rocsparseL44csr2gebsr_wavefront_per_row_multipass_kernelILi256ELi2ELi16ELi32E21rocsparse_complex_numIdEEEv20rocsparse_direction_iiiiii21rocsparse_index_base_PKT3_PKiS9_S4_PS5_PiSB_,"axG",@progbits,_ZN9rocsparseL44csr2gebsr_wavefront_per_row_multipass_kernelILi256ELi2ELi16ELi32E21rocsparse_complex_numIdEEEv20rocsparse_direction_iiiiii21rocsparse_index_base_PKT3_PKiS9_S4_PS5_PiSB_,comdat
	.globl	_ZN9rocsparseL44csr2gebsr_wavefront_per_row_multipass_kernelILi256ELi2ELi16ELi32E21rocsparse_complex_numIdEEEv20rocsparse_direction_iiiiii21rocsparse_index_base_PKT3_PKiS9_S4_PS5_PiSB_ ; -- Begin function _ZN9rocsparseL44csr2gebsr_wavefront_per_row_multipass_kernelILi256ELi2ELi16ELi32E21rocsparse_complex_numIdEEEv20rocsparse_direction_iiiiii21rocsparse_index_base_PKT3_PKiS9_S4_PS5_PiSB_
	.p2align	8
	.type	_ZN9rocsparseL44csr2gebsr_wavefront_per_row_multipass_kernelILi256ELi2ELi16ELi32E21rocsparse_complex_numIdEEEv20rocsparse_direction_iiiiii21rocsparse_index_base_PKT3_PKiS9_S4_PS5_PiSB_,@function
_ZN9rocsparseL44csr2gebsr_wavefront_per_row_multipass_kernelILi256ELi2ELi16ELi32E21rocsparse_complex_numIdEEEv20rocsparse_direction_iiiiii21rocsparse_index_base_PKT3_PKiS9_S4_PS5_PiSB_: ; @_ZN9rocsparseL44csr2gebsr_wavefront_per_row_multipass_kernelILi256ELi2ELi16ELi32E21rocsparse_complex_numIdEEEv20rocsparse_direction_iiiiii21rocsparse_index_base_PKT3_PKiS9_S4_PS5_PiSB_
; %bb.0:
	s_load_dwordx2 s[14:15], s[0:1], 0x0
	s_load_dwordx4 s[4:7], s[0:1], 0xc
	s_load_dword s22, s[0:1], 0x1c
	s_load_dwordx2 s[8:9], s[0:1], 0x28
	v_lshrrev_b32_e32 v14, 5, v0
	v_bfe_u32 v2, v0, 4, 1
	v_lshl_or_b32 v6, s2, 3, v14
	s_waitcnt lgkmcnt(0)
	v_mad_u64_u32 v[4:5], s[2:3], v6, s6, v[2:3]
	v_cmp_gt_i32_e64 s[2:3], s15, v4
	v_cmp_gt_i32_e32 vcc, s6, v2
	s_and_b64 s[2:3], vcc, s[2:3]
	v_mov_b32_e32 v15, 0
	v_mov_b32_e32 v10, 0
	s_and_saveexec_b64 s[10:11], s[2:3]
	s_cbranch_execz .LBB181_2
; %bb.1:
	v_ashrrev_i32_e32 v5, 31, v4
	v_lshl_add_u64 v[8:9], v[4:5], 2, s[8:9]
	global_load_dword v1, v[8:9], off
	s_waitcnt vmcnt(0)
	v_subrev_u32_e32 v10, s22, v1
.LBB181_2:
	s_or_b64 exec, exec, s[10:11]
	s_and_saveexec_b64 s[10:11], s[2:3]
	s_cbranch_execz .LBB181_4
; %bb.3:
	v_ashrrev_i32_e32 v5, 31, v4
	v_lshl_add_u64 v[4:5], v[4:5], 2, s[8:9]
	global_load_dword v1, v[4:5], off offset:4
	s_waitcnt vmcnt(0)
	v_subrev_u32_e32 v15, s22, v1
.LBB181_4:
	s_or_b64 exec, exec, s[10:11]
	s_load_dword s23, s[0:1], 0x38
	v_cmp_gt_i32_e64 s[2:3], s4, v6
	v_mov_b32_e32 v4, 0
	s_and_saveexec_b64 s[8:9], s[2:3]
	s_cbranch_execz .LBB181_6
; %bb.5:
	s_load_dwordx2 s[2:3], s[0:1], 0x48
	v_ashrrev_i32_e32 v7, 31, v6
	s_waitcnt lgkmcnt(0)
	v_lshl_add_u64 v[4:5], v[6:7], 2, s[2:3]
	global_load_dword v1, v[4:5], off
	s_waitcnt vmcnt(0)
	v_subrev_u32_e32 v4, s23, v1
.LBB181_6:
	s_or_b64 exec, exec, s[8:9]
	s_cmp_lt_i32 s5, 1
	s_cbranch_scc1 .LBB181_21
; %bb.7:
	s_load_dwordx2 s[2:3], s[0:1], 0x20
	s_load_dwordx2 s[8:9], s[0:1], 0x50
	;; [unrolled: 1-line block ×4, first 2 shown]
	v_lshlrev_b32_e32 v8, 4, v2
	s_movk_i32 s0, 0xe0
	v_and_b32_e32 v6, 15, v0
	v_and_or_b32 v16, v0, s0, v8
	v_mbcnt_lo_u32_b32 v0, -1, 0
	v_mbcnt_hi_u32_b32 v0, -1, v0
	v_mov_b32_e32 v7, 0
	v_lshlrev_b32_e32 v5, 2, v0
	v_cmp_gt_u32_e64 s[0:1], s7, v6
	v_or_b32_e32 v0, v16, v6
	s_and_b64 s[12:13], vcc, s[0:1]
	v_lshlrev_b32_e32 v18, 4, v0
	v_mul_lo_u32 v0, v6, s6
	v_mov_b32_e32 v1, v7
	v_mul_lo_u32 v2, v2, s7
	s_cmp_eq_u32 s14, 0
	s_waitcnt lgkmcnt(0)
	v_lshl_add_u64 v[0:1], v[0:1], 4, s[16:17]
	v_mov_b32_e32 v9, v7
	v_ashrrev_i32_e32 v3, 31, v2
	v_lshl_add_u64 v[0:1], v[0:1], 0, v[8:9]
	v_lshl_add_u64 v[2:3], v[2:3], 4, s[16:17]
	v_lshlrev_b32_e32 v8, 4, v6
	s_cselect_b64 vcc, -1, 0
	s_abs_i32 s4, s7
	v_lshl_add_u64 v[2:3], v[2:3], 0, v[8:9]
	v_cvt_f32_u32_e32 v8, s4
	v_or_b32_e32 v17, 60, v5
	v_or_b32_e32 v19, 0x7c, v5
	s_ashr_i32 s24, s7, 31
	v_rcp_iflag_f32_e32 v8, v8
	s_mul_hi_u32 s0, s7, s6
	s_mul_i32 s1, s24, s6
	s_add_i32 s25, s0, s1
	v_mul_f32_e32 v5, 0x4f7ffffe, v8
	v_cvt_u32_f32_e32 v5, v5
	s_sub_i32 s0, 0, s4
	v_cndmask_b32_e32 v8, v0, v2, vcc
	s_mul_i32 s6, s7, s6
	v_mul_lo_u32 v0, s0, v5
	v_mul_hi_u32 v0, v5, v0
	v_cndmask_b32_e32 v9, v1, v3, vcc
	v_add_u32_e32 v20, v5, v0
	s_mov_b64 s[14:15], 0
	v_mov_b32_e32 v0, v7
	v_mov_b32_e32 v1, v7
	v_mov_b32_e32 v2, v7
	v_mov_b32_e32 v3, v7
	s_mov_b64 s[16:17], 0x100
	v_mov_b32_e32 v21, 1
	v_mov_b32_e32 v5, v7
	s_branch .LBB181_10
.LBB181_8:                              ;   in Loop: Header=BB181_10 Depth=1
	s_or_b64 exec, exec, s[18:19]
	v_mov_b32_e32 v11, 1
.LBB181_9:                              ;   in Loop: Header=BB181_10 Depth=1
	s_or_b64 exec, exec, s[0:1]
	v_mov_b32_dpp v5, v22 row_shr:1 row_mask:0xf bank_mask:0xf
	v_min_i32_e32 v5, v5, v22
	v_add_u32_e32 v4, v11, v4
	s_waitcnt lgkmcnt(0)
	v_mov_b32_dpp v12, v5 row_shr:2 row_mask:0xf bank_mask:0xf
	v_min_i32_e32 v5, v12, v5
	s_nop 1
	v_mov_b32_dpp v12, v5 row_shr:4 row_mask:0xf bank_mask:0xe
	v_min_i32_e32 v5, v12, v5
	s_nop 1
	;; [unrolled: 3-line block ×3, first 2 shown]
	v_mov_b32_dpp v12, v5 row_bcast:15 row_mask:0xa bank_mask:0xf
	v_min_i32_e32 v5, v12, v5
	ds_bpermute_b32 v5, v19, v5
	s_waitcnt lgkmcnt(0)
	v_cmp_le_i32_e32 vcc, s5, v5
	s_or_b64 s[14:15], vcc, s[14:15]
	s_andn2_b64 exec, exec, s[14:15]
	s_cbranch_execz .LBB181_21
.LBB181_10:                             ; =>This Loop Header: Depth=1
                                        ;     Child Loop BB181_13 Depth 2
	v_add_u32_e32 v23, v10, v6
	v_cmp_lt_i32_e32 vcc, v23, v15
	v_mov_b32_e32 v22, s5
	v_mov_b32_e32 v25, v15
	ds_write_b8 v14, v7 offset:4096
	ds_write_b128 v18, v[0:3]
	s_waitcnt lgkmcnt(0)
	s_and_saveexec_b64 s[18:19], vcc
	s_cbranch_execz .LBB181_18
; %bb.11:                               ;   in Loop: Header=BB181_10 Depth=1
	v_ashrrev_i32_e32 v11, 31, v10
	v_lshl_add_u64 v[12:13], v[6:7], 0, v[10:11]
	v_mul_lo_u32 v24, v5, s7
	v_lshl_add_u64 v[10:11], v[12:13], 2, s[10:11]
	v_lshl_add_u64 v[12:13], v[12:13], 4, s[2:3]
	s_mov_b64 s[20:21], 0
	v_mov_b32_e32 v22, s5
	v_mov_b32_e32 v25, v15
	s_branch .LBB181_13
.LBB181_12:                             ;   in Loop: Header=BB181_13 Depth=2
	s_or_b64 exec, exec, s[0:1]
	v_add_u32_e32 v23, 16, v23
	v_cmp_ge_i32_e64 s[0:1], v23, v15
	s_xor_b64 s[26:27], vcc, -1
	s_or_b64 s[0:1], s[26:27], s[0:1]
	s_and_b64 s[0:1], exec, s[0:1]
	v_lshl_add_u64 v[10:11], v[10:11], 0, 64
	s_or_b64 s[20:21], s[0:1], s[20:21]
	v_lshl_add_u64 v[12:13], v[12:13], 0, s[16:17]
	s_andn2_b64 exec, exec, s[20:21]
	s_cbranch_execz .LBB181_17
.LBB181_13:                             ;   Parent Loop BB181_10 Depth=1
                                        ; =>  This Inner Loop Header: Depth=2
	global_load_dword v26, v[10:11], off
	s_waitcnt vmcnt(0)
	v_subrev_u32_e32 v26, s22, v26
	v_sub_u32_e32 v28, 0, v26
	v_max_i32_e32 v28, v26, v28
	v_mul_hi_u32 v29, v28, v20
	v_mul_lo_u32 v30, v29, s4
	v_sub_u32_e32 v28, v28, v30
	v_add_u32_e32 v31, 1, v29
	v_cmp_le_u32_e32 vcc, s4, v28
	v_subrev_u32_e32 v30, s4, v28
	v_ashrrev_i32_e32 v27, 31, v26
	v_cndmask_b32_e32 v29, v29, v31, vcc
	v_cndmask_b32_e32 v28, v28, v30, vcc
	v_add_u32_e32 v30, 1, v29
	v_cmp_le_u32_e32 vcc, s4, v28
	v_xor_b32_e32 v27, s24, v27
	s_nop 0
	v_cndmask_b32_e32 v28, v29, v30, vcc
	v_xor_b32_e32 v28, v28, v27
	v_sub_u32_e32 v28, v28, v27
	v_cmp_eq_u32_e32 vcc, v28, v5
	v_cmp_ne_u32_e64 s[0:1], v28, v5
	v_mov_b32_e32 v27, v25
	s_and_saveexec_b64 s[26:27], s[0:1]
	s_xor_b64 s[0:1], exec, s[26:27]
; %bb.14:                               ;   in Loop: Header=BB181_13 Depth=2
	v_min_i32_e32 v22, v28, v22
                                        ; implicit-def: $vgpr26
                                        ; implicit-def: $vgpr27
; %bb.15:                               ;   in Loop: Header=BB181_13 Depth=2
	s_or_saveexec_b64 s[0:1], s[0:1]
	v_mov_b32_e32 v25, v23
	s_xor_b64 exec, exec, s[0:1]
	s_cbranch_execz .LBB181_12
; %bb.16:                               ;   in Loop: Header=BB181_13 Depth=2
	global_load_dwordx4 v[28:31], v[12:13], off
	v_sub_u32_e32 v25, v26, v24
	v_add_lshl_u32 v25, v16, v25, 4
	ds_write_b8 v14, v21 offset:4096
	s_waitcnt vmcnt(0)
	ds_write2_b64 v25, v[28:29], v[30:31] offset1:1
	v_mov_b32_e32 v25, v27
	s_branch .LBB181_12
.LBB181_17:                             ;   in Loop: Header=BB181_10 Depth=1
	s_or_b64 exec, exec, s[20:21]
.LBB181_18:                             ;   in Loop: Header=BB181_10 Depth=1
	s_or_b64 exec, exec, s[18:19]
	v_mov_b32_dpp v10, v25 row_shr:1 row_mask:0xf bank_mask:0xf
	v_min_i32_e32 v10, v10, v25
	s_waitcnt lgkmcnt(0)
	s_nop 0
	v_mov_b32_dpp v11, v10 row_shr:2 row_mask:0xf bank_mask:0xf
	v_min_i32_e32 v10, v11, v10
	s_nop 1
	v_mov_b32_dpp v11, v10 row_shr:4 row_mask:0xf bank_mask:0xe
	v_min_i32_e32 v10, v11, v10
	ds_read_u8 v11, v14 offset:4096
	s_waitcnt lgkmcnt(0)
	v_and_b32_e32 v11, 1, v11
	v_mov_b32_dpp v12, v10 row_shr:8 row_mask:0xf bank_mask:0xc
	v_min_i32_e32 v10, v12, v10
	ds_bpermute_b32 v10, v17, v10
	v_cmp_eq_u32_e32 vcc, 1, v11
	v_mov_b32_e32 v11, 0
	s_and_saveexec_b64 s[0:1], vcc
	s_cbranch_execz .LBB181_9
; %bb.19:                               ;   in Loop: Header=BB181_10 Depth=1
	v_add_u32_e32 v11, s23, v5
	v_ashrrev_i32_e32 v5, 31, v4
	v_lshl_add_u64 v[12:13], v[4:5], 2, s[8:9]
	global_store_dword v[12:13], v11, off
	s_and_saveexec_b64 s[18:19], s[12:13]
	s_cbranch_execz .LBB181_8
; %bb.20:                               ;   in Loop: Header=BB181_10 Depth=1
	ds_read2_b64 v[24:27], v18 offset1:1
	v_mul_lo_u32 v11, s25, v4
	v_mul_lo_u32 v5, s6, v5
	v_mad_u64_u32 v[12:13], s[20:21], s6, v4, 0
	v_add3_u32 v13, v13, v5, v11
	v_lshl_add_u64 v[12:13], v[12:13], 4, v[8:9]
	s_waitcnt lgkmcnt(0)
	global_store_dwordx4 v[12:13], v[24:27], off
	s_branch .LBB181_8
.LBB181_21:
	s_endpgm
	.section	.rodata,"a",@progbits
	.p2align	6, 0x0
	.amdhsa_kernel _ZN9rocsparseL44csr2gebsr_wavefront_per_row_multipass_kernelILi256ELi2ELi16ELi32E21rocsparse_complex_numIdEEEv20rocsparse_direction_iiiiii21rocsparse_index_base_PKT3_PKiS9_S4_PS5_PiSB_
		.amdhsa_group_segment_fixed_size 4104
		.amdhsa_private_segment_fixed_size 0
		.amdhsa_kernarg_size 88
		.amdhsa_user_sgpr_count 2
		.amdhsa_user_sgpr_dispatch_ptr 0
		.amdhsa_user_sgpr_queue_ptr 0
		.amdhsa_user_sgpr_kernarg_segment_ptr 1
		.amdhsa_user_sgpr_dispatch_id 0
		.amdhsa_user_sgpr_kernarg_preload_length 0
		.amdhsa_user_sgpr_kernarg_preload_offset 0
		.amdhsa_user_sgpr_private_segment_size 0
		.amdhsa_uses_dynamic_stack 0
		.amdhsa_enable_private_segment 0
		.amdhsa_system_sgpr_workgroup_id_x 1
		.amdhsa_system_sgpr_workgroup_id_y 0
		.amdhsa_system_sgpr_workgroup_id_z 0
		.amdhsa_system_sgpr_workgroup_info 0
		.amdhsa_system_vgpr_workitem_id 0
		.amdhsa_next_free_vgpr 32
		.amdhsa_next_free_sgpr 28
		.amdhsa_accum_offset 32
		.amdhsa_reserve_vcc 1
		.amdhsa_float_round_mode_32 0
		.amdhsa_float_round_mode_16_64 0
		.amdhsa_float_denorm_mode_32 3
		.amdhsa_float_denorm_mode_16_64 3
		.amdhsa_dx10_clamp 1
		.amdhsa_ieee_mode 1
		.amdhsa_fp16_overflow 0
		.amdhsa_tg_split 0
		.amdhsa_exception_fp_ieee_invalid_op 0
		.amdhsa_exception_fp_denorm_src 0
		.amdhsa_exception_fp_ieee_div_zero 0
		.amdhsa_exception_fp_ieee_overflow 0
		.amdhsa_exception_fp_ieee_underflow 0
		.amdhsa_exception_fp_ieee_inexact 0
		.amdhsa_exception_int_div_zero 0
	.end_amdhsa_kernel
	.section	.text._ZN9rocsparseL44csr2gebsr_wavefront_per_row_multipass_kernelILi256ELi2ELi16ELi32E21rocsparse_complex_numIdEEEv20rocsparse_direction_iiiiii21rocsparse_index_base_PKT3_PKiS9_S4_PS5_PiSB_,"axG",@progbits,_ZN9rocsparseL44csr2gebsr_wavefront_per_row_multipass_kernelILi256ELi2ELi16ELi32E21rocsparse_complex_numIdEEEv20rocsparse_direction_iiiiii21rocsparse_index_base_PKT3_PKiS9_S4_PS5_PiSB_,comdat
.Lfunc_end181:
	.size	_ZN9rocsparseL44csr2gebsr_wavefront_per_row_multipass_kernelILi256ELi2ELi16ELi32E21rocsparse_complex_numIdEEEv20rocsparse_direction_iiiiii21rocsparse_index_base_PKT3_PKiS9_S4_PS5_PiSB_, .Lfunc_end181-_ZN9rocsparseL44csr2gebsr_wavefront_per_row_multipass_kernelILi256ELi2ELi16ELi32E21rocsparse_complex_numIdEEEv20rocsparse_direction_iiiiii21rocsparse_index_base_PKT3_PKiS9_S4_PS5_PiSB_
                                        ; -- End function
	.section	.AMDGPU.csdata,"",@progbits
; Kernel info:
; codeLenInByte = 1216
; NumSgprs: 34
; NumVgprs: 32
; NumAgprs: 0
; TotalNumVgprs: 32
; ScratchSize: 0
; MemoryBound: 0
; FloatMode: 240
; IeeeMode: 1
; LDSByteSize: 4104 bytes/workgroup (compile time only)
; SGPRBlocks: 4
; VGPRBlocks: 3
; NumSGPRsForWavesPerEU: 34
; NumVGPRsForWavesPerEU: 32
; AccumOffset: 32
; Occupancy: 8
; WaveLimiterHint : 0
; COMPUTE_PGM_RSRC2:SCRATCH_EN: 0
; COMPUTE_PGM_RSRC2:USER_SGPR: 2
; COMPUTE_PGM_RSRC2:TRAP_HANDLER: 0
; COMPUTE_PGM_RSRC2:TGID_X_EN: 1
; COMPUTE_PGM_RSRC2:TGID_Y_EN: 0
; COMPUTE_PGM_RSRC2:TGID_Z_EN: 0
; COMPUTE_PGM_RSRC2:TIDIG_COMP_CNT: 0
; COMPUTE_PGM_RSRC3_GFX90A:ACCUM_OFFSET: 7
; COMPUTE_PGM_RSRC3_GFX90A:TG_SPLIT: 0
	.section	.text._ZN9rocsparseL44csr2gebsr_wavefront_per_row_multipass_kernelILi256ELi2ELi32ELi64E21rocsparse_complex_numIdEEEv20rocsparse_direction_iiiiii21rocsparse_index_base_PKT3_PKiS9_S4_PS5_PiSB_,"axG",@progbits,_ZN9rocsparseL44csr2gebsr_wavefront_per_row_multipass_kernelILi256ELi2ELi32ELi64E21rocsparse_complex_numIdEEEv20rocsparse_direction_iiiiii21rocsparse_index_base_PKT3_PKiS9_S4_PS5_PiSB_,comdat
	.globl	_ZN9rocsparseL44csr2gebsr_wavefront_per_row_multipass_kernelILi256ELi2ELi32ELi64E21rocsparse_complex_numIdEEEv20rocsparse_direction_iiiiii21rocsparse_index_base_PKT3_PKiS9_S4_PS5_PiSB_ ; -- Begin function _ZN9rocsparseL44csr2gebsr_wavefront_per_row_multipass_kernelILi256ELi2ELi32ELi64E21rocsparse_complex_numIdEEEv20rocsparse_direction_iiiiii21rocsparse_index_base_PKT3_PKiS9_S4_PS5_PiSB_
	.p2align	8
	.type	_ZN9rocsparseL44csr2gebsr_wavefront_per_row_multipass_kernelILi256ELi2ELi32ELi64E21rocsparse_complex_numIdEEEv20rocsparse_direction_iiiiii21rocsparse_index_base_PKT3_PKiS9_S4_PS5_PiSB_,@function
_ZN9rocsparseL44csr2gebsr_wavefront_per_row_multipass_kernelILi256ELi2ELi32ELi64E21rocsparse_complex_numIdEEEv20rocsparse_direction_iiiiii21rocsparse_index_base_PKT3_PKiS9_S4_PS5_PiSB_: ; @_ZN9rocsparseL44csr2gebsr_wavefront_per_row_multipass_kernelILi256ELi2ELi32ELi64E21rocsparse_complex_numIdEEEv20rocsparse_direction_iiiiii21rocsparse_index_base_PKT3_PKiS9_S4_PS5_PiSB_
; %bb.0:
	s_load_dwordx2 s[14:15], s[0:1], 0x0
	s_load_dwordx4 s[4:7], s[0:1], 0xc
	s_load_dword s24, s[0:1], 0x1c
	s_load_dwordx2 s[8:9], s[0:1], 0x28
	v_lshrrev_b32_e32 v14, 6, v0
	v_bfe_u32 v2, v0, 5, 1
	v_lshl_or_b32 v6, s2, 2, v14
	s_waitcnt lgkmcnt(0)
	v_mad_u64_u32 v[4:5], s[2:3], v6, s6, v[2:3]
	v_cmp_gt_i32_e64 s[2:3], s15, v4
	v_cmp_gt_i32_e32 vcc, s6, v2
	s_and_b64 s[2:3], vcc, s[2:3]
	v_mov_b32_e32 v15, 0
	v_mov_b32_e32 v10, 0
	s_and_saveexec_b64 s[10:11], s[2:3]
	s_cbranch_execz .LBB182_2
; %bb.1:
	v_ashrrev_i32_e32 v5, 31, v4
	v_lshl_add_u64 v[8:9], v[4:5], 2, s[8:9]
	global_load_dword v1, v[8:9], off
	s_waitcnt vmcnt(0)
	v_subrev_u32_e32 v10, s24, v1
.LBB182_2:
	s_or_b64 exec, exec, s[10:11]
	s_and_saveexec_b64 s[10:11], s[2:3]
	s_cbranch_execz .LBB182_4
; %bb.3:
	v_ashrrev_i32_e32 v5, 31, v4
	v_lshl_add_u64 v[4:5], v[4:5], 2, s[8:9]
	global_load_dword v1, v[4:5], off offset:4
	s_waitcnt vmcnt(0)
	v_subrev_u32_e32 v15, s24, v1
.LBB182_4:
	s_or_b64 exec, exec, s[10:11]
	s_load_dword s25, s[0:1], 0x38
	v_cmp_gt_i32_e64 s[2:3], s4, v6
	v_mov_b32_e32 v4, 0
	s_and_saveexec_b64 s[8:9], s[2:3]
	s_cbranch_execz .LBB182_6
; %bb.5:
	s_load_dwordx2 s[2:3], s[0:1], 0x48
	v_ashrrev_i32_e32 v7, 31, v6
	s_waitcnt lgkmcnt(0)
	v_lshl_add_u64 v[4:5], v[6:7], 2, s[2:3]
	global_load_dword v1, v[4:5], off
	s_waitcnt vmcnt(0)
	v_subrev_u32_e32 v4, s25, v1
.LBB182_6:
	s_or_b64 exec, exec, s[8:9]
	s_cmp_lt_i32 s5, 1
	s_cbranch_scc1 .LBB182_21
; %bb.7:
	v_and_b32_e32 v6, 31, v0
	v_and_b32_e32 v0, 0xc0, v0
	s_load_dwordx2 s[2:3], s[0:1], 0x20
	s_load_dwordx2 s[8:9], s[0:1], 0x50
	;; [unrolled: 1-line block ×4, first 2 shown]
	v_lshl_or_b32 v16, v2, 5, v0
	v_mbcnt_lo_u32_b32 v0, -1, 0
	v_mbcnt_hi_u32_b32 v0, -1, v0
	v_mov_b32_e32 v7, 0
	v_lshlrev_b32_e32 v5, 2, v0
	v_cmp_gt_u32_e64 s[0:1], s7, v6
	v_or_b32_e32 v0, v16, v6
	s_and_b64 s[12:13], vcc, s[0:1]
	v_lshlrev_b32_e32 v18, 4, v0
	v_mul_lo_u32 v0, v6, s6
	v_mov_b32_e32 v1, v7
	v_lshlrev_b32_e32 v8, 4, v2
	v_mul_lo_u32 v2, v2, s7
	s_cmp_eq_u32 s14, 0
	s_waitcnt lgkmcnt(0)
	v_lshl_add_u64 v[0:1], v[0:1], 4, s[16:17]
	v_mov_b32_e32 v9, v7
	v_ashrrev_i32_e32 v3, 31, v2
	v_lshl_add_u64 v[0:1], v[0:1], 0, v[8:9]
	v_lshl_add_u64 v[2:3], v[2:3], 4, s[16:17]
	v_lshlrev_b32_e32 v8, 4, v6
	s_cselect_b64 vcc, -1, 0
	s_abs_i32 s4, s7
	v_lshl_add_u64 v[2:3], v[2:3], 0, v[8:9]
	v_cvt_f32_u32_e32 v8, s4
	v_or_b32_e32 v17, 0x7c, v5
	v_or_b32_e32 v19, 0xfc, v5
	s_ashr_i32 s26, s7, 31
	v_rcp_iflag_f32_e32 v8, v8
	s_mul_hi_u32 s0, s7, s6
	s_mul_i32 s1, s26, s6
	s_add_i32 s27, s0, s1
	v_mul_f32_e32 v5, 0x4f7ffffe, v8
	v_cvt_u32_f32_e32 v5, v5
	s_sub_i32 s0, 0, s4
	v_cndmask_b32_e32 v8, v0, v2, vcc
	s_mul_i32 s6, s7, s6
	v_mul_lo_u32 v0, s0, v5
	v_mul_hi_u32 v0, v5, v0
	v_cndmask_b32_e32 v9, v1, v3, vcc
	v_add_u32_e32 v20, v5, v0
	s_mov_b64 s[14:15], 0
	v_mov_b32_e32 v0, v7
	v_mov_b32_e32 v1, v7
	;; [unrolled: 1-line block ×4, first 2 shown]
	s_mov_b64 s[16:17], 0x80
	s_mov_b64 s[18:19], 0x200
	v_mov_b32_e32 v21, 1
	v_mov_b32_e32 v5, v7
	s_branch .LBB182_10
.LBB182_8:                              ;   in Loop: Header=BB182_10 Depth=1
	s_or_b64 exec, exec, s[20:21]
	v_mov_b32_e32 v11, 1
.LBB182_9:                              ;   in Loop: Header=BB182_10 Depth=1
	s_or_b64 exec, exec, s[0:1]
	v_mov_b32_dpp v5, v22 row_shr:1 row_mask:0xf bank_mask:0xf
	v_min_i32_e32 v5, v5, v22
	v_add_u32_e32 v4, v11, v4
	s_waitcnt lgkmcnt(0)
	v_mov_b32_dpp v12, v5 row_shr:2 row_mask:0xf bank_mask:0xf
	v_min_i32_e32 v5, v12, v5
	s_nop 1
	v_mov_b32_dpp v12, v5 row_shr:4 row_mask:0xf bank_mask:0xe
	v_min_i32_e32 v5, v12, v5
	s_nop 1
	;; [unrolled: 3-line block ×3, first 2 shown]
	v_mov_b32_dpp v12, v5 row_bcast:15 row_mask:0xa bank_mask:0xf
	v_min_i32_e32 v5, v12, v5
	s_nop 1
	v_mov_b32_dpp v12, v5 row_bcast:31 row_mask:0xc bank_mask:0xf
	v_min_i32_e32 v5, v12, v5
	ds_bpermute_b32 v5, v19, v5
	s_waitcnt lgkmcnt(0)
	v_cmp_le_i32_e32 vcc, s5, v5
	s_or_b64 s[14:15], vcc, s[14:15]
	s_andn2_b64 exec, exec, s[14:15]
	s_cbranch_execz .LBB182_21
.LBB182_10:                             ; =>This Loop Header: Depth=1
                                        ;     Child Loop BB182_13 Depth 2
	v_add_u32_e32 v23, v10, v6
	v_cmp_lt_i32_e32 vcc, v23, v15
	v_mov_b32_e32 v22, s5
	v_mov_b32_e32 v25, v15
	ds_write_b8 v14, v7 offset:4096
	ds_write_b128 v18, v[0:3]
	s_waitcnt lgkmcnt(0)
	s_and_saveexec_b64 s[20:21], vcc
	s_cbranch_execz .LBB182_18
; %bb.11:                               ;   in Loop: Header=BB182_10 Depth=1
	v_ashrrev_i32_e32 v11, 31, v10
	v_lshl_add_u64 v[12:13], v[6:7], 0, v[10:11]
	v_mul_lo_u32 v24, v5, s7
	v_lshl_add_u64 v[10:11], v[12:13], 2, s[10:11]
	v_lshl_add_u64 v[12:13], v[12:13], 4, s[2:3]
	s_mov_b64 s[22:23], 0
	v_mov_b32_e32 v22, s5
	v_mov_b32_e32 v25, v15
	s_branch .LBB182_13
.LBB182_12:                             ;   in Loop: Header=BB182_13 Depth=2
	s_or_b64 exec, exec, s[0:1]
	v_add_u32_e32 v23, 32, v23
	v_cmp_ge_i32_e64 s[0:1], v23, v15
	s_xor_b64 s[28:29], vcc, -1
	s_or_b64 s[0:1], s[28:29], s[0:1]
	s_and_b64 s[0:1], exec, s[0:1]
	v_lshl_add_u64 v[10:11], v[10:11], 0, s[16:17]
	s_or_b64 s[22:23], s[0:1], s[22:23]
	v_lshl_add_u64 v[12:13], v[12:13], 0, s[18:19]
	s_andn2_b64 exec, exec, s[22:23]
	s_cbranch_execz .LBB182_17
.LBB182_13:                             ;   Parent Loop BB182_10 Depth=1
                                        ; =>  This Inner Loop Header: Depth=2
	global_load_dword v26, v[10:11], off
	s_waitcnt vmcnt(0)
	v_subrev_u32_e32 v26, s24, v26
	v_sub_u32_e32 v28, 0, v26
	v_max_i32_e32 v28, v26, v28
	v_mul_hi_u32 v29, v28, v20
	v_mul_lo_u32 v30, v29, s4
	v_sub_u32_e32 v28, v28, v30
	v_add_u32_e32 v31, 1, v29
	v_cmp_le_u32_e32 vcc, s4, v28
	v_subrev_u32_e32 v30, s4, v28
	v_ashrrev_i32_e32 v27, 31, v26
	v_cndmask_b32_e32 v29, v29, v31, vcc
	v_cndmask_b32_e32 v28, v28, v30, vcc
	v_add_u32_e32 v30, 1, v29
	v_cmp_le_u32_e32 vcc, s4, v28
	v_xor_b32_e32 v27, s26, v27
	s_nop 0
	v_cndmask_b32_e32 v28, v29, v30, vcc
	v_xor_b32_e32 v28, v28, v27
	v_sub_u32_e32 v28, v28, v27
	v_cmp_eq_u32_e32 vcc, v28, v5
	v_cmp_ne_u32_e64 s[0:1], v28, v5
	v_mov_b32_e32 v27, v25
	s_and_saveexec_b64 s[28:29], s[0:1]
	s_xor_b64 s[0:1], exec, s[28:29]
; %bb.14:                               ;   in Loop: Header=BB182_13 Depth=2
	v_min_i32_e32 v22, v28, v22
                                        ; implicit-def: $vgpr26
                                        ; implicit-def: $vgpr27
; %bb.15:                               ;   in Loop: Header=BB182_13 Depth=2
	s_or_saveexec_b64 s[0:1], s[0:1]
	v_mov_b32_e32 v25, v23
	s_xor_b64 exec, exec, s[0:1]
	s_cbranch_execz .LBB182_12
; %bb.16:                               ;   in Loop: Header=BB182_13 Depth=2
	global_load_dwordx4 v[28:31], v[12:13], off
	v_sub_u32_e32 v25, v26, v24
	v_add_lshl_u32 v25, v16, v25, 4
	ds_write_b8 v14, v21 offset:4096
	s_waitcnt vmcnt(0)
	ds_write2_b64 v25, v[28:29], v[30:31] offset1:1
	v_mov_b32_e32 v25, v27
	s_branch .LBB182_12
.LBB182_17:                             ;   in Loop: Header=BB182_10 Depth=1
	s_or_b64 exec, exec, s[22:23]
.LBB182_18:                             ;   in Loop: Header=BB182_10 Depth=1
	s_or_b64 exec, exec, s[20:21]
	v_mov_b32_dpp v10, v25 row_shr:1 row_mask:0xf bank_mask:0xf
	v_min_i32_e32 v10, v10, v25
	s_waitcnt lgkmcnt(0)
	s_nop 0
	v_mov_b32_dpp v11, v10 row_shr:2 row_mask:0xf bank_mask:0xf
	v_min_i32_e32 v10, v11, v10
	s_nop 1
	v_mov_b32_dpp v11, v10 row_shr:4 row_mask:0xf bank_mask:0xe
	v_min_i32_e32 v10, v11, v10
	;; [unrolled: 3-line block ×3, first 2 shown]
	ds_read_u8 v11, v14 offset:4096
	s_waitcnt lgkmcnt(0)
	v_and_b32_e32 v11, 1, v11
	v_mov_b32_dpp v12, v10 row_bcast:15 row_mask:0xa bank_mask:0xf
	v_min_i32_e32 v10, v12, v10
	ds_bpermute_b32 v10, v17, v10
	v_cmp_eq_u32_e32 vcc, 1, v11
	v_mov_b32_e32 v11, 0
	s_and_saveexec_b64 s[0:1], vcc
	s_cbranch_execz .LBB182_9
; %bb.19:                               ;   in Loop: Header=BB182_10 Depth=1
	v_add_u32_e32 v11, s25, v5
	v_ashrrev_i32_e32 v5, 31, v4
	v_lshl_add_u64 v[12:13], v[4:5], 2, s[8:9]
	global_store_dword v[12:13], v11, off
	s_and_saveexec_b64 s[20:21], s[12:13]
	s_cbranch_execz .LBB182_8
; %bb.20:                               ;   in Loop: Header=BB182_10 Depth=1
	ds_read2_b64 v[24:27], v18 offset1:1
	v_mul_lo_u32 v11, s27, v4
	v_mul_lo_u32 v5, s6, v5
	v_mad_u64_u32 v[12:13], s[22:23], s6, v4, 0
	v_add3_u32 v13, v13, v5, v11
	v_lshl_add_u64 v[12:13], v[12:13], 4, v[8:9]
	s_waitcnt lgkmcnt(0)
	global_store_dwordx4 v[12:13], v[24:27], off
	s_branch .LBB182_8
.LBB182_21:
	s_endpgm
	.section	.rodata,"a",@progbits
	.p2align	6, 0x0
	.amdhsa_kernel _ZN9rocsparseL44csr2gebsr_wavefront_per_row_multipass_kernelILi256ELi2ELi32ELi64E21rocsparse_complex_numIdEEEv20rocsparse_direction_iiiiii21rocsparse_index_base_PKT3_PKiS9_S4_PS5_PiSB_
		.amdhsa_group_segment_fixed_size 4104
		.amdhsa_private_segment_fixed_size 0
		.amdhsa_kernarg_size 88
		.amdhsa_user_sgpr_count 2
		.amdhsa_user_sgpr_dispatch_ptr 0
		.amdhsa_user_sgpr_queue_ptr 0
		.amdhsa_user_sgpr_kernarg_segment_ptr 1
		.amdhsa_user_sgpr_dispatch_id 0
		.amdhsa_user_sgpr_kernarg_preload_length 0
		.amdhsa_user_sgpr_kernarg_preload_offset 0
		.amdhsa_user_sgpr_private_segment_size 0
		.amdhsa_uses_dynamic_stack 0
		.amdhsa_enable_private_segment 0
		.amdhsa_system_sgpr_workgroup_id_x 1
		.amdhsa_system_sgpr_workgroup_id_y 0
		.amdhsa_system_sgpr_workgroup_id_z 0
		.amdhsa_system_sgpr_workgroup_info 0
		.amdhsa_system_vgpr_workitem_id 0
		.amdhsa_next_free_vgpr 32
		.amdhsa_next_free_sgpr 30
		.amdhsa_accum_offset 32
		.amdhsa_reserve_vcc 1
		.amdhsa_float_round_mode_32 0
		.amdhsa_float_round_mode_16_64 0
		.amdhsa_float_denorm_mode_32 3
		.amdhsa_float_denorm_mode_16_64 3
		.amdhsa_dx10_clamp 1
		.amdhsa_ieee_mode 1
		.amdhsa_fp16_overflow 0
		.amdhsa_tg_split 0
		.amdhsa_exception_fp_ieee_invalid_op 0
		.amdhsa_exception_fp_denorm_src 0
		.amdhsa_exception_fp_ieee_div_zero 0
		.amdhsa_exception_fp_ieee_overflow 0
		.amdhsa_exception_fp_ieee_underflow 0
		.amdhsa_exception_fp_ieee_inexact 0
		.amdhsa_exception_int_div_zero 0
	.end_amdhsa_kernel
	.section	.text._ZN9rocsparseL44csr2gebsr_wavefront_per_row_multipass_kernelILi256ELi2ELi32ELi64E21rocsparse_complex_numIdEEEv20rocsparse_direction_iiiiii21rocsparse_index_base_PKT3_PKiS9_S4_PS5_PiSB_,"axG",@progbits,_ZN9rocsparseL44csr2gebsr_wavefront_per_row_multipass_kernelILi256ELi2ELi32ELi64E21rocsparse_complex_numIdEEEv20rocsparse_direction_iiiiii21rocsparse_index_base_PKT3_PKiS9_S4_PS5_PiSB_,comdat
.Lfunc_end182:
	.size	_ZN9rocsparseL44csr2gebsr_wavefront_per_row_multipass_kernelILi256ELi2ELi32ELi64E21rocsparse_complex_numIdEEEv20rocsparse_direction_iiiiii21rocsparse_index_base_PKT3_PKiS9_S4_PS5_PiSB_, .Lfunc_end182-_ZN9rocsparseL44csr2gebsr_wavefront_per_row_multipass_kernelILi256ELi2ELi32ELi64E21rocsparse_complex_numIdEEEv20rocsparse_direction_iiiiii21rocsparse_index_base_PKT3_PKiS9_S4_PS5_PiSB_
                                        ; -- End function
	.section	.AMDGPU.csdata,"",@progbits
; Kernel info:
; codeLenInByte = 1264
; NumSgprs: 36
; NumVgprs: 32
; NumAgprs: 0
; TotalNumVgprs: 32
; ScratchSize: 0
; MemoryBound: 0
; FloatMode: 240
; IeeeMode: 1
; LDSByteSize: 4104 bytes/workgroup (compile time only)
; SGPRBlocks: 4
; VGPRBlocks: 3
; NumSGPRsForWavesPerEU: 36
; NumVGPRsForWavesPerEU: 32
; AccumOffset: 32
; Occupancy: 8
; WaveLimiterHint : 0
; COMPUTE_PGM_RSRC2:SCRATCH_EN: 0
; COMPUTE_PGM_RSRC2:USER_SGPR: 2
; COMPUTE_PGM_RSRC2:TRAP_HANDLER: 0
; COMPUTE_PGM_RSRC2:TGID_X_EN: 1
; COMPUTE_PGM_RSRC2:TGID_Y_EN: 0
; COMPUTE_PGM_RSRC2:TGID_Z_EN: 0
; COMPUTE_PGM_RSRC2:TIDIG_COMP_CNT: 0
; COMPUTE_PGM_RSRC3_GFX90A:ACCUM_OFFSET: 7
; COMPUTE_PGM_RSRC3_GFX90A:TG_SPLIT: 0
	.section	.text._ZN9rocsparseL44csr2gebsr_wavefront_per_row_multipass_kernelILi256ELi2ELi32ELi32E21rocsparse_complex_numIdEEEv20rocsparse_direction_iiiiii21rocsparse_index_base_PKT3_PKiS9_S4_PS5_PiSB_,"axG",@progbits,_ZN9rocsparseL44csr2gebsr_wavefront_per_row_multipass_kernelILi256ELi2ELi32ELi32E21rocsparse_complex_numIdEEEv20rocsparse_direction_iiiiii21rocsparse_index_base_PKT3_PKiS9_S4_PS5_PiSB_,comdat
	.globl	_ZN9rocsparseL44csr2gebsr_wavefront_per_row_multipass_kernelILi256ELi2ELi32ELi32E21rocsparse_complex_numIdEEEv20rocsparse_direction_iiiiii21rocsparse_index_base_PKT3_PKiS9_S4_PS5_PiSB_ ; -- Begin function _ZN9rocsparseL44csr2gebsr_wavefront_per_row_multipass_kernelILi256ELi2ELi32ELi32E21rocsparse_complex_numIdEEEv20rocsparse_direction_iiiiii21rocsparse_index_base_PKT3_PKiS9_S4_PS5_PiSB_
	.p2align	8
	.type	_ZN9rocsparseL44csr2gebsr_wavefront_per_row_multipass_kernelILi256ELi2ELi32ELi32E21rocsparse_complex_numIdEEEv20rocsparse_direction_iiiiii21rocsparse_index_base_PKT3_PKiS9_S4_PS5_PiSB_,@function
_ZN9rocsparseL44csr2gebsr_wavefront_per_row_multipass_kernelILi256ELi2ELi32ELi32E21rocsparse_complex_numIdEEEv20rocsparse_direction_iiiiii21rocsparse_index_base_PKT3_PKiS9_S4_PS5_PiSB_: ; @_ZN9rocsparseL44csr2gebsr_wavefront_per_row_multipass_kernelILi256ELi2ELi32ELi32E21rocsparse_complex_numIdEEEv20rocsparse_direction_iiiiii21rocsparse_index_base_PKT3_PKiS9_S4_PS5_PiSB_
; %bb.0:
	s_load_dwordx2 s[14:15], s[0:1], 0x0
	s_load_dwordx4 s[4:7], s[0:1], 0xc
	s_load_dword s26, s[0:1], 0x1c
	s_load_dwordx2 s[8:9], s[0:1], 0x28
	v_lshrrev_b32_e32 v20, 5, v0
	v_bfe_u32 v2, v0, 4, 1
	v_lshl_or_b32 v6, s2, 3, v20
	s_waitcnt lgkmcnt(0)
	v_mad_u64_u32 v[4:5], s[2:3], v6, s6, v[2:3]
	v_cmp_gt_i32_e64 s[2:3], s15, v4
	v_cmp_gt_i32_e32 vcc, s6, v2
	s_and_b64 s[2:3], vcc, s[2:3]
	v_mov_b32_e32 v21, 0
	v_mov_b32_e32 v18, 0
	s_and_saveexec_b64 s[10:11], s[2:3]
	s_cbranch_execz .LBB183_2
; %bb.1:
	v_ashrrev_i32_e32 v5, 31, v4
	v_lshl_add_u64 v[8:9], v[4:5], 2, s[8:9]
	global_load_dword v1, v[8:9], off
	s_waitcnt vmcnt(0)
	v_subrev_u32_e32 v18, s26, v1
.LBB183_2:
	s_or_b64 exec, exec, s[10:11]
	s_and_saveexec_b64 s[10:11], s[2:3]
	s_cbranch_execz .LBB183_4
; %bb.3:
	v_ashrrev_i32_e32 v5, 31, v4
	v_lshl_add_u64 v[4:5], v[4:5], 2, s[8:9]
	global_load_dword v1, v[4:5], off offset:4
	s_waitcnt vmcnt(0)
	v_subrev_u32_e32 v21, s26, v1
.LBB183_4:
	s_or_b64 exec, exec, s[10:11]
	s_load_dword s27, s[0:1], 0x38
	v_cmp_gt_i32_e64 s[2:3], s4, v6
	v_mov_b32_e32 v4, 0
	s_and_saveexec_b64 s[8:9], s[2:3]
	s_cbranch_execz .LBB183_6
; %bb.5:
	s_load_dwordx2 s[2:3], s[0:1], 0x48
	v_ashrrev_i32_e32 v7, 31, v6
	s_waitcnt lgkmcnt(0)
	v_lshl_add_u64 v[4:5], v[6:7], 2, s[2:3]
	global_load_dword v1, v[4:5], off
	s_waitcnt vmcnt(0)
	v_subrev_u32_e32 v4, s27, v1
.LBB183_6:
	s_or_b64 exec, exec, s[8:9]
	s_cmp_lt_i32 s5, 1
	s_cbranch_scc1 .LBB183_32
; %bb.7:
	v_and_b32_e32 v22, 15, v0
	v_lshlrev_b32_e32 v0, 6, v20
	s_load_dwordx2 s[8:9], s[0:1], 0x20
	s_load_dwordx2 s[10:11], s[0:1], 0x50
	;; [unrolled: 1-line block ×4, first 2 shown]
	v_lshl_or_b32 v23, v2, 5, v0
	v_mbcnt_lo_u32_b32 v0, -1, 0
	v_mbcnt_hi_u32_b32 v0, -1, v0
	v_lshlrev_b32_e32 v3, 2, v0
	v_mul_lo_u32 v0, v2, s7
	v_mov_b32_e32 v7, 0
	s_cmp_lg_u32 s14, 0
	v_lshlrev_b32_e32 v6, 4, v2
	v_ashrrev_i32_e32 v1, 31, v0
	s_cselect_b64 s[14:15], -1, 0
	s_waitcnt lgkmcnt(0)
	v_lshl_add_u64 v[8:9], s[2:3], 0, v[6:7]
	v_lshl_add_u64 v[0:1], v[0:1], 4, s[2:3]
	v_lshlrev_b32_e32 v6, 4, v22
	s_abs_i32 s30, s7
	v_lshl_add_u64 v[10:11], v[0:1], 0, v[6:7]
	v_cvt_f32_u32_e32 v0, s30
	s_ashr_i32 s4, s7, 31
	s_mul_hi_u32 s0, s7, s6
	s_mul_i32 s1, s4, s6
	v_rcp_iflag_f32_e32 v0, v0
	s_add_i32 s28, s0, s1
	v_cmp_gt_u32_e64 s[0:1], s7, v22
	v_or_b32_e32 v1, 16, v22
	v_mul_f32_e32 v0, 0x4f7ffffe, v0
	v_cvt_u32_f32_e32 v0, v0
	s_and_b64 s[16:17], s[0:1], vcc
	s_sub_i32 s0, 0, s30
	v_or_b32_e32 v5, v23, v22
	v_cmp_gt_u32_e64 s[2:3], s7, v1
	v_mul_lo_u32 v1, s0, v0
	v_lshlrev_b32_e32 v26, 4, v5
	v_mul_lo_u32 v6, v22, s6
	v_mul_hi_u32 v1, v0, v1
	v_or_b32_e32 v24, 60, v3
	s_mul_i32 s29, s7, s6
	v_or_b32_e32 v25, 0x7c, v3
	v_or_b32_e32 v27, 0x100, v26
	v_lshl_add_u32 v12, s6, 4, v6
	v_mov_b32_e32 v13, v7
	s_and_b64 s[2:3], vcc, s[2:3]
	v_add_u32_e32 v28, v0, v1
	v_or_b32_e32 v29, -16, v22
	s_mov_b64 s[18:19], 0
	v_mov_b32_e32 v0, v7
	v_mov_b32_e32 v1, v7
	;; [unrolled: 1-line block ×4, first 2 shown]
	s_mov_b64 s[20:21], 0x100
	v_mov_b32_e32 v30, 1
	v_mov_b32_e32 v5, v7
	s_branch .LBB183_11
.LBB183_8:                              ;   in Loop: Header=BB183_11 Depth=1
	v_mov_b32_e32 v19, s6
.LBB183_9:                              ;   in Loop: Header=BB183_11 Depth=1
	s_or_b64 exec, exec, s[22:23]
.LBB183_10:                             ;   in Loop: Header=BB183_11 Depth=1
	s_or_b64 exec, exec, s[0:1]
	v_mov_b32_dpp v5, v31 row_shr:1 row_mask:0xf bank_mask:0xf
	v_min_i32_e32 v5, v5, v31
	v_add_u32_e32 v4, v19, v4
	s_waitcnt lgkmcnt(0)
	v_mov_b32_dpp v14, v5 row_shr:2 row_mask:0xf bank_mask:0xf
	v_min_i32_e32 v5, v14, v5
	s_nop 1
	v_mov_b32_dpp v14, v5 row_shr:4 row_mask:0xf bank_mask:0xe
	v_min_i32_e32 v5, v14, v5
	s_nop 1
	;; [unrolled: 3-line block ×3, first 2 shown]
	v_mov_b32_dpp v14, v5 row_bcast:15 row_mask:0xa bank_mask:0xf
	v_min_i32_e32 v5, v14, v5
	ds_bpermute_b32 v5, v25, v5
	s_waitcnt lgkmcnt(0)
	v_cmp_le_i32_e32 vcc, s5, v5
	s_or_b64 s[18:19], vcc, s[18:19]
	s_andn2_b64 exec, exec, s[18:19]
	s_cbranch_execz .LBB183_32
.LBB183_11:                             ; =>This Loop Header: Depth=1
                                        ;     Child Loop BB183_12 Depth 2
                                        ;     Child Loop BB183_16 Depth 2
	s_mov_b64 s[0:1], 0
	v_mov_b32_e32 v14, v26
	v_mov_b32_e32 v15, v29
	ds_write_b8 v20, v7 offset:8192
.LBB183_12:                             ;   Parent Loop BB183_11 Depth=1
                                        ; =>  This Inner Loop Header: Depth=2
	v_add_co_u32_e32 v15, vcc, 16, v15
	s_xor_b64 s[22:23], vcc, -1
	s_and_b64 s[22:23], exec, s[22:23]
	ds_write_b128 v14, v[0:3]
	s_or_b64 s[0:1], s[22:23], s[0:1]
	v_add_u32_e32 v14, 0x100, v14
	s_andn2_b64 exec, exec, s[0:1]
	s_cbranch_execnz .LBB183_12
; %bb.13:                               ;   in Loop: Header=BB183_11 Depth=1
	s_or_b64 exec, exec, s[0:1]
	v_add_u32_e32 v14, v18, v22
	v_cmp_lt_i32_e32 vcc, v14, v21
	v_mov_b32_e32 v31, s5
	v_mov_b32_e32 v15, v21
	s_waitcnt lgkmcnt(0)
	s_and_saveexec_b64 s[22:23], vcc
	s_cbranch_execz .LBB183_21
; %bb.14:                               ;   in Loop: Header=BB183_11 Depth=1
	v_ashrrev_i32_e32 v15, 31, v14
	v_mul_lo_u32 v32, v5, s7
	v_lshl_add_u64 v[16:17], v[14:15], 2, s[12:13]
	v_lshl_add_u64 v[18:19], v[14:15], 4, s[8:9]
	s_mov_b64 s[24:25], 0
	v_mov_b32_e32 v31, s5
	v_mov_b32_e32 v15, v21
	s_branch .LBB183_16
.LBB183_15:                             ;   in Loop: Header=BB183_16 Depth=2
	s_or_b64 exec, exec, s[0:1]
	v_add_u32_e32 v14, 16, v14
	v_cmp_ge_i32_e64 s[0:1], v14, v21
	s_xor_b64 s[34:35], vcc, -1
	s_or_b64 s[0:1], s[34:35], s[0:1]
	s_and_b64 s[0:1], exec, s[0:1]
	v_lshl_add_u64 v[16:17], v[16:17], 0, 64
	s_or_b64 s[24:25], s[0:1], s[24:25]
	v_lshl_add_u64 v[18:19], v[18:19], 0, s[20:21]
	s_andn2_b64 exec, exec, s[24:25]
	s_cbranch_execz .LBB183_20
.LBB183_16:                             ;   Parent Loop BB183_11 Depth=1
                                        ; =>  This Inner Loop Header: Depth=2
	global_load_dword v33, v[16:17], off
	s_waitcnt vmcnt(0)
	v_subrev_u32_e32 v33, s26, v33
	v_sub_u32_e32 v35, 0, v33
	v_max_i32_e32 v35, v33, v35
	v_mul_hi_u32 v36, v35, v28
	v_mul_lo_u32 v37, v36, s30
	v_sub_u32_e32 v35, v35, v37
	v_add_u32_e32 v38, 1, v36
	v_cmp_le_u32_e32 vcc, s30, v35
	v_subrev_u32_e32 v37, s30, v35
	v_ashrrev_i32_e32 v34, 31, v33
	v_cndmask_b32_e32 v36, v36, v38, vcc
	v_cndmask_b32_e32 v35, v35, v37, vcc
	v_add_u32_e32 v37, 1, v36
	v_cmp_le_u32_e32 vcc, s30, v35
	v_xor_b32_e32 v34, s4, v34
	s_nop 0
	v_cndmask_b32_e32 v35, v36, v37, vcc
	v_xor_b32_e32 v35, v35, v34
	v_sub_u32_e32 v35, v35, v34
	v_cmp_eq_u32_e32 vcc, v35, v5
	v_cmp_ne_u32_e64 s[0:1], v35, v5
	v_mov_b32_e32 v34, v15
	s_and_saveexec_b64 s[34:35], s[0:1]
	s_xor_b64 s[0:1], exec, s[34:35]
; %bb.17:                               ;   in Loop: Header=BB183_16 Depth=2
	v_min_i32_e32 v31, v35, v31
                                        ; implicit-def: $vgpr33
                                        ; implicit-def: $vgpr34
; %bb.18:                               ;   in Loop: Header=BB183_16 Depth=2
	s_or_saveexec_b64 s[0:1], s[0:1]
	v_mov_b32_e32 v15, v14
	s_xor_b64 exec, exec, s[0:1]
	s_cbranch_execz .LBB183_15
; %bb.19:                               ;   in Loop: Header=BB183_16 Depth=2
	global_load_dwordx4 v[36:39], v[18:19], off
	v_sub_u32_e32 v15, v33, v32
	v_add_lshl_u32 v15, v23, v15, 4
	ds_write_b8 v20, v30 offset:8192
	s_waitcnt vmcnt(0)
	ds_write2_b64 v15, v[36:37], v[38:39] offset1:1
	v_mov_b32_e32 v15, v34
	s_branch .LBB183_15
.LBB183_20:                             ;   in Loop: Header=BB183_11 Depth=1
	s_or_b64 exec, exec, s[24:25]
.LBB183_21:                             ;   in Loop: Header=BB183_11 Depth=1
	s_or_b64 exec, exec, s[22:23]
	v_mov_b32_dpp v14, v15 row_shr:1 row_mask:0xf bank_mask:0xf
	v_min_i32_e32 v14, v14, v15
	s_waitcnt lgkmcnt(0)
	v_mov_b32_e32 v19, 0
	v_mov_b32_dpp v15, v14 row_shr:2 row_mask:0xf bank_mask:0xf
	v_min_i32_e32 v14, v15, v14
	s_nop 1
	v_mov_b32_dpp v15, v14 row_shr:4 row_mask:0xf bank_mask:0xe
	v_min_i32_e32 v14, v15, v14
	ds_read_u8 v15, v20 offset:8192
	s_nop 0
	v_mov_b32_dpp v16, v14 row_shr:8 row_mask:0xf bank_mask:0xc
	v_min_i32_e32 v14, v16, v14
	ds_bpermute_b32 v18, v24, v14
	s_waitcnt lgkmcnt(1)
	v_and_b32_e32 v14, 1, v15
	v_cmp_eq_u32_e32 vcc, 1, v14
	s_and_saveexec_b64 s[0:1], vcc
	s_cbranch_execz .LBB183_10
; %bb.22:                               ;   in Loop: Header=BB183_11 Depth=1
	v_add_u32_e32 v16, s27, v5
	v_ashrrev_i32_e32 v5, 31, v4
	v_lshl_add_u64 v[14:15], v[4:5], 2, s[10:11]
	global_store_dword v[14:15], v16, off
	v_mul_lo_u32 v16, s28, v4
	v_mul_lo_u32 v5, s29, v5
	v_mad_u64_u32 v[14:15], s[22:23], s29, v4, 0
	v_add3_u32 v15, v15, v5, v16
	v_lshlrev_b64 v[14:15], 4, v[14:15]
	v_lshl_add_u64 v[16:17], v[8:9], 0, v[14:15]
	v_lshl_add_u64 v[14:15], v[10:11], 0, v[14:15]
	s_and_saveexec_b64 s[22:23], s[16:17]
	s_cbranch_execz .LBB183_26
; %bb.23:                               ;   in Loop: Header=BB183_11 Depth=1
	s_and_b64 vcc, exec, s[14:15]
	s_cbranch_vccz .LBB183_29
; %bb.24:                               ;   in Loop: Header=BB183_11 Depth=1
	ds_read2_b64 v[32:35], v26 offset1:1
	v_lshl_add_u64 v[36:37], v[6:7], 4, v[16:17]
	s_waitcnt lgkmcnt(0)
	global_store_dwordx4 v[36:37], v[32:35], off
	s_cbranch_execnz .LBB183_26
.LBB183_25:                             ;   in Loop: Header=BB183_11 Depth=1
	ds_read2_b64 v[32:35], v26 offset1:1
	s_waitcnt lgkmcnt(0)
	global_store_dwordx4 v[14:15], v[32:35], off
.LBB183_26:                             ;   in Loop: Header=BB183_11 Depth=1
	s_or_b64 exec, exec, s[22:23]
	v_mov_b32_e32 v19, 1
	s_and_saveexec_b64 s[22:23], s[2:3]
	s_cbranch_execz .LBB183_9
; %bb.27:                               ;   in Loop: Header=BB183_11 Depth=1
	s_andn2_b64 vcc, exec, s[14:15]
	s_cbranch_vccnz .LBB183_30
; %bb.28:                               ;   in Loop: Header=BB183_11 Depth=1
	ds_read2_b64 v[32:35], v27 offset1:1
	v_lshl_add_u64 v[16:17], v[12:13], 4, v[16:17]
	s_mov_b32 s6, 1
	s_waitcnt lgkmcnt(0)
	global_store_dwordx4 v[16:17], v[32:35], off
	s_cbranch_execnz .LBB183_8
	s_branch .LBB183_31
.LBB183_29:                             ;   in Loop: Header=BB183_11 Depth=1
	s_branch .LBB183_25
.LBB183_30:                             ;   in Loop: Header=BB183_11 Depth=1
                                        ; implicit-def: $sgpr6
.LBB183_31:                             ;   in Loop: Header=BB183_11 Depth=1
	ds_read2_b64 v[32:35], v27 offset1:1
	s_mov_b32 s6, 1
	s_waitcnt lgkmcnt(0)
	global_store_dwordx4 v[14:15], v[32:35], off offset:256
	s_branch .LBB183_8
.LBB183_32:
	s_endpgm
	.section	.rodata,"a",@progbits
	.p2align	6, 0x0
	.amdhsa_kernel _ZN9rocsparseL44csr2gebsr_wavefront_per_row_multipass_kernelILi256ELi2ELi32ELi32E21rocsparse_complex_numIdEEEv20rocsparse_direction_iiiiii21rocsparse_index_base_PKT3_PKiS9_S4_PS5_PiSB_
		.amdhsa_group_segment_fixed_size 8200
		.amdhsa_private_segment_fixed_size 0
		.amdhsa_kernarg_size 88
		.amdhsa_user_sgpr_count 2
		.amdhsa_user_sgpr_dispatch_ptr 0
		.amdhsa_user_sgpr_queue_ptr 0
		.amdhsa_user_sgpr_kernarg_segment_ptr 1
		.amdhsa_user_sgpr_dispatch_id 0
		.amdhsa_user_sgpr_kernarg_preload_length 0
		.amdhsa_user_sgpr_kernarg_preload_offset 0
		.amdhsa_user_sgpr_private_segment_size 0
		.amdhsa_uses_dynamic_stack 0
		.amdhsa_enable_private_segment 0
		.amdhsa_system_sgpr_workgroup_id_x 1
		.amdhsa_system_sgpr_workgroup_id_y 0
		.amdhsa_system_sgpr_workgroup_id_z 0
		.amdhsa_system_sgpr_workgroup_info 0
		.amdhsa_system_vgpr_workitem_id 0
		.amdhsa_next_free_vgpr 40
		.amdhsa_next_free_sgpr 36
		.amdhsa_accum_offset 40
		.amdhsa_reserve_vcc 1
		.amdhsa_float_round_mode_32 0
		.amdhsa_float_round_mode_16_64 0
		.amdhsa_float_denorm_mode_32 3
		.amdhsa_float_denorm_mode_16_64 3
		.amdhsa_dx10_clamp 1
		.amdhsa_ieee_mode 1
		.amdhsa_fp16_overflow 0
		.amdhsa_tg_split 0
		.amdhsa_exception_fp_ieee_invalid_op 0
		.amdhsa_exception_fp_denorm_src 0
		.amdhsa_exception_fp_ieee_div_zero 0
		.amdhsa_exception_fp_ieee_overflow 0
		.amdhsa_exception_fp_ieee_underflow 0
		.amdhsa_exception_fp_ieee_inexact 0
		.amdhsa_exception_int_div_zero 0
	.end_amdhsa_kernel
	.section	.text._ZN9rocsparseL44csr2gebsr_wavefront_per_row_multipass_kernelILi256ELi2ELi32ELi32E21rocsparse_complex_numIdEEEv20rocsparse_direction_iiiiii21rocsparse_index_base_PKT3_PKiS9_S4_PS5_PiSB_,"axG",@progbits,_ZN9rocsparseL44csr2gebsr_wavefront_per_row_multipass_kernelILi256ELi2ELi32ELi32E21rocsparse_complex_numIdEEEv20rocsparse_direction_iiiiii21rocsparse_index_base_PKT3_PKiS9_S4_PS5_PiSB_,comdat
.Lfunc_end183:
	.size	_ZN9rocsparseL44csr2gebsr_wavefront_per_row_multipass_kernelILi256ELi2ELi32ELi32E21rocsparse_complex_numIdEEEv20rocsparse_direction_iiiiii21rocsparse_index_base_PKT3_PKiS9_S4_PS5_PiSB_, .Lfunc_end183-_ZN9rocsparseL44csr2gebsr_wavefront_per_row_multipass_kernelILi256ELi2ELi32ELi32E21rocsparse_complex_numIdEEEv20rocsparse_direction_iiiiii21rocsparse_index_base_PKT3_PKiS9_S4_PS5_PiSB_
                                        ; -- End function
	.section	.AMDGPU.csdata,"",@progbits
; Kernel info:
; codeLenInByte = 1420
; NumSgprs: 42
; NumVgprs: 40
; NumAgprs: 0
; TotalNumVgprs: 40
; ScratchSize: 0
; MemoryBound: 0
; FloatMode: 240
; IeeeMode: 1
; LDSByteSize: 8200 bytes/workgroup (compile time only)
; SGPRBlocks: 5
; VGPRBlocks: 4
; NumSGPRsForWavesPerEU: 42
; NumVGPRsForWavesPerEU: 40
; AccumOffset: 40
; Occupancy: 7
; WaveLimiterHint : 0
; COMPUTE_PGM_RSRC2:SCRATCH_EN: 0
; COMPUTE_PGM_RSRC2:USER_SGPR: 2
; COMPUTE_PGM_RSRC2:TRAP_HANDLER: 0
; COMPUTE_PGM_RSRC2:TGID_X_EN: 1
; COMPUTE_PGM_RSRC2:TGID_Y_EN: 0
; COMPUTE_PGM_RSRC2:TGID_Z_EN: 0
; COMPUTE_PGM_RSRC2:TIDIG_COMP_CNT: 0
; COMPUTE_PGM_RSRC3_GFX90A:ACCUM_OFFSET: 9
; COMPUTE_PGM_RSRC3_GFX90A:TG_SPLIT: 0
	.section	.text._ZN9rocsparseL44csr2gebsr_wavefront_per_row_multipass_kernelILi256ELi2ELi64ELi64E21rocsparse_complex_numIdEEEv20rocsparse_direction_iiiiii21rocsparse_index_base_PKT3_PKiS9_S4_PS5_PiSB_,"axG",@progbits,_ZN9rocsparseL44csr2gebsr_wavefront_per_row_multipass_kernelILi256ELi2ELi64ELi64E21rocsparse_complex_numIdEEEv20rocsparse_direction_iiiiii21rocsparse_index_base_PKT3_PKiS9_S4_PS5_PiSB_,comdat
	.globl	_ZN9rocsparseL44csr2gebsr_wavefront_per_row_multipass_kernelILi256ELi2ELi64ELi64E21rocsparse_complex_numIdEEEv20rocsparse_direction_iiiiii21rocsparse_index_base_PKT3_PKiS9_S4_PS5_PiSB_ ; -- Begin function _ZN9rocsparseL44csr2gebsr_wavefront_per_row_multipass_kernelILi256ELi2ELi64ELi64E21rocsparse_complex_numIdEEEv20rocsparse_direction_iiiiii21rocsparse_index_base_PKT3_PKiS9_S4_PS5_PiSB_
	.p2align	8
	.type	_ZN9rocsparseL44csr2gebsr_wavefront_per_row_multipass_kernelILi256ELi2ELi64ELi64E21rocsparse_complex_numIdEEEv20rocsparse_direction_iiiiii21rocsparse_index_base_PKT3_PKiS9_S4_PS5_PiSB_,@function
_ZN9rocsparseL44csr2gebsr_wavefront_per_row_multipass_kernelILi256ELi2ELi64ELi64E21rocsparse_complex_numIdEEEv20rocsparse_direction_iiiiii21rocsparse_index_base_PKT3_PKiS9_S4_PS5_PiSB_: ; @_ZN9rocsparseL44csr2gebsr_wavefront_per_row_multipass_kernelILi256ELi2ELi64ELi64E21rocsparse_complex_numIdEEEv20rocsparse_direction_iiiiii21rocsparse_index_base_PKT3_PKiS9_S4_PS5_PiSB_
; %bb.0:
	s_load_dwordx2 s[14:15], s[0:1], 0x0
	s_load_dwordx4 s[4:7], s[0:1], 0xc
	s_load_dword s28, s[0:1], 0x1c
	s_load_dwordx2 s[8:9], s[0:1], 0x28
	v_lshrrev_b32_e32 v20, 6, v0
	v_bfe_u32 v2, v0, 5, 1
	v_lshl_or_b32 v6, s2, 2, v20
	s_waitcnt lgkmcnt(0)
	v_mad_u64_u32 v[4:5], s[2:3], v6, s6, v[2:3]
	v_cmp_gt_i32_e64 s[2:3], s15, v4
	v_cmp_gt_i32_e32 vcc, s6, v2
	s_and_b64 s[2:3], vcc, s[2:3]
	v_mov_b32_e32 v21, 0
	v_mov_b32_e32 v18, 0
	s_and_saveexec_b64 s[10:11], s[2:3]
	s_cbranch_execz .LBB184_2
; %bb.1:
	v_ashrrev_i32_e32 v5, 31, v4
	v_lshl_add_u64 v[8:9], v[4:5], 2, s[8:9]
	global_load_dword v1, v[8:9], off
	s_waitcnt vmcnt(0)
	v_subrev_u32_e32 v18, s28, v1
.LBB184_2:
	s_or_b64 exec, exec, s[10:11]
	s_and_saveexec_b64 s[10:11], s[2:3]
	s_cbranch_execz .LBB184_4
; %bb.3:
	v_ashrrev_i32_e32 v5, 31, v4
	v_lshl_add_u64 v[4:5], v[4:5], 2, s[8:9]
	global_load_dword v1, v[4:5], off offset:4
	s_waitcnt vmcnt(0)
	v_subrev_u32_e32 v21, s28, v1
.LBB184_4:
	s_or_b64 exec, exec, s[10:11]
	s_load_dword s29, s[0:1], 0x38
	v_cmp_gt_i32_e64 s[2:3], s4, v6
	v_mov_b32_e32 v4, 0
	s_and_saveexec_b64 s[8:9], s[2:3]
	s_cbranch_execz .LBB184_6
; %bb.5:
	s_load_dwordx2 s[2:3], s[0:1], 0x48
	v_ashrrev_i32_e32 v7, 31, v6
	s_waitcnt lgkmcnt(0)
	v_lshl_add_u64 v[4:5], v[6:7], 2, s[2:3]
	global_load_dword v1, v[4:5], off
	s_waitcnt vmcnt(0)
	v_subrev_u32_e32 v4, s29, v1
.LBB184_6:
	s_or_b64 exec, exec, s[8:9]
	s_cmp_lt_i32 s5, 1
	s_cbranch_scc1 .LBB184_32
; %bb.7:
	v_and_b32_e32 v22, 31, v0
	v_lshlrev_b32_e32 v0, 7, v20
	s_load_dwordx2 s[8:9], s[0:1], 0x20
	s_load_dwordx2 s[10:11], s[0:1], 0x50
	s_load_dwordx2 s[2:3], s[0:1], 0x40
	s_load_dwordx2 s[12:13], s[0:1], 0x30
	v_lshl_or_b32 v23, v2, 6, v0
	v_mbcnt_lo_u32_b32 v0, -1, 0
	v_mbcnt_hi_u32_b32 v0, -1, v0
	v_lshlrev_b32_e32 v3, 2, v0
	v_mul_lo_u32 v0, v2, s7
	v_mov_b32_e32 v7, 0
	s_cmp_lg_u32 s14, 0
	v_lshlrev_b32_e32 v6, 4, v2
	v_ashrrev_i32_e32 v1, 31, v0
	s_cselect_b64 s[14:15], -1, 0
	s_waitcnt lgkmcnt(0)
	v_lshl_add_u64 v[8:9], s[2:3], 0, v[6:7]
	v_lshl_add_u64 v[0:1], v[0:1], 4, s[2:3]
	v_lshlrev_b32_e32 v6, 4, v22
	s_abs_i32 s33, s7
	v_lshl_add_u64 v[10:11], v[0:1], 0, v[6:7]
	v_cvt_f32_u32_e32 v0, s33
	s_ashr_i32 s4, s7, 31
	s_mul_hi_u32 s0, s7, s6
	s_mul_i32 s1, s4, s6
	v_rcp_iflag_f32_e32 v0, v0
	s_add_i32 s30, s0, s1
	v_cmp_gt_u32_e64 s[0:1], s7, v22
	v_or_b32_e32 v1, 32, v22
	v_mul_f32_e32 v0, 0x4f7ffffe, v0
	v_cvt_u32_f32_e32 v0, v0
	s_and_b64 s[16:17], s[0:1], vcc
	s_sub_i32 s0, 0, s33
	v_or_b32_e32 v5, v23, v22
	v_cmp_gt_u32_e64 s[2:3], s7, v1
	v_mul_lo_u32 v1, s0, v0
	v_lshlrev_b32_e32 v26, 4, v5
	v_mul_lo_u32 v6, v22, s6
	v_mul_hi_u32 v1, v0, v1
	v_or_b32_e32 v24, 0x7c, v3
	s_mul_i32 s31, s7, s6
	v_or_b32_e32 v25, 0xfc, v3
	v_or_b32_e32 v27, 0x200, v26
	v_lshl_add_u32 v12, s6, 5, v6
	v_mov_b32_e32 v13, v7
	s_and_b64 s[2:3], vcc, s[2:3]
	v_add_u32_e32 v28, v0, v1
	v_or_b32_e32 v29, 0xffffffe0, v22
	s_mov_b64 s[18:19], 0
	v_mov_b32_e32 v0, v7
	v_mov_b32_e32 v1, v7
	v_mov_b32_e32 v2, v7
	v_mov_b32_e32 v3, v7
	s_mov_b64 s[20:21], 0x80
	s_mov_b64 s[22:23], 0x200
	v_mov_b32_e32 v30, 1
	v_mov_b32_e32 v5, v7
	s_branch .LBB184_11
.LBB184_8:                              ;   in Loop: Header=BB184_11 Depth=1
	v_mov_b32_e32 v19, s6
.LBB184_9:                              ;   in Loop: Header=BB184_11 Depth=1
	s_or_b64 exec, exec, s[24:25]
.LBB184_10:                             ;   in Loop: Header=BB184_11 Depth=1
	s_or_b64 exec, exec, s[0:1]
	v_mov_b32_dpp v5, v31 row_shr:1 row_mask:0xf bank_mask:0xf
	v_min_i32_e32 v5, v5, v31
	v_add_u32_e32 v4, v19, v4
	s_waitcnt lgkmcnt(0)
	v_mov_b32_dpp v14, v5 row_shr:2 row_mask:0xf bank_mask:0xf
	v_min_i32_e32 v5, v14, v5
	s_nop 1
	v_mov_b32_dpp v14, v5 row_shr:4 row_mask:0xf bank_mask:0xe
	v_min_i32_e32 v5, v14, v5
	s_nop 1
	;; [unrolled: 3-line block ×3, first 2 shown]
	v_mov_b32_dpp v14, v5 row_bcast:15 row_mask:0xa bank_mask:0xf
	v_min_i32_e32 v5, v14, v5
	s_nop 1
	v_mov_b32_dpp v14, v5 row_bcast:31 row_mask:0xc bank_mask:0xf
	v_min_i32_e32 v5, v14, v5
	ds_bpermute_b32 v5, v25, v5
	s_waitcnt lgkmcnt(0)
	v_cmp_le_i32_e32 vcc, s5, v5
	s_or_b64 s[18:19], vcc, s[18:19]
	s_andn2_b64 exec, exec, s[18:19]
	s_cbranch_execz .LBB184_32
.LBB184_11:                             ; =>This Loop Header: Depth=1
                                        ;     Child Loop BB184_12 Depth 2
                                        ;     Child Loop BB184_16 Depth 2
	s_mov_b64 s[0:1], 0
	v_mov_b32_e32 v14, v26
	v_mov_b32_e32 v15, v29
	ds_write_b8 v20, v7 offset:8192
.LBB184_12:                             ;   Parent Loop BB184_11 Depth=1
                                        ; =>  This Inner Loop Header: Depth=2
	v_add_co_u32_e32 v15, vcc, 32, v15
	s_xor_b64 s[24:25], vcc, -1
	s_and_b64 s[24:25], exec, s[24:25]
	ds_write_b128 v14, v[0:3]
	s_or_b64 s[0:1], s[24:25], s[0:1]
	v_add_u32_e32 v14, 0x200, v14
	s_andn2_b64 exec, exec, s[0:1]
	s_cbranch_execnz .LBB184_12
; %bb.13:                               ;   in Loop: Header=BB184_11 Depth=1
	s_or_b64 exec, exec, s[0:1]
	v_add_u32_e32 v14, v18, v22
	v_cmp_lt_i32_e32 vcc, v14, v21
	v_mov_b32_e32 v31, s5
	v_mov_b32_e32 v15, v21
	s_waitcnt lgkmcnt(0)
	s_and_saveexec_b64 s[24:25], vcc
	s_cbranch_execz .LBB184_21
; %bb.14:                               ;   in Loop: Header=BB184_11 Depth=1
	v_ashrrev_i32_e32 v15, 31, v14
	v_mul_lo_u32 v32, v5, s7
	v_lshl_add_u64 v[16:17], v[14:15], 2, s[12:13]
	v_lshl_add_u64 v[18:19], v[14:15], 4, s[8:9]
	s_mov_b64 s[26:27], 0
	v_mov_b32_e32 v31, s5
	v_mov_b32_e32 v15, v21
	s_branch .LBB184_16
.LBB184_15:                             ;   in Loop: Header=BB184_16 Depth=2
	s_or_b64 exec, exec, s[0:1]
	v_add_u32_e32 v14, 32, v14
	v_cmp_ge_i32_e64 s[0:1], v14, v21
	s_xor_b64 s[34:35], vcc, -1
	s_or_b64 s[0:1], s[34:35], s[0:1]
	s_and_b64 s[0:1], exec, s[0:1]
	v_lshl_add_u64 v[16:17], v[16:17], 0, s[20:21]
	s_or_b64 s[26:27], s[0:1], s[26:27]
	v_lshl_add_u64 v[18:19], v[18:19], 0, s[22:23]
	s_andn2_b64 exec, exec, s[26:27]
	s_cbranch_execz .LBB184_20
.LBB184_16:                             ;   Parent Loop BB184_11 Depth=1
                                        ; =>  This Inner Loop Header: Depth=2
	global_load_dword v33, v[16:17], off
	s_waitcnt vmcnt(0)
	v_subrev_u32_e32 v33, s28, v33
	v_sub_u32_e32 v35, 0, v33
	v_max_i32_e32 v35, v33, v35
	v_mul_hi_u32 v36, v35, v28
	v_mul_lo_u32 v37, v36, s33
	v_sub_u32_e32 v35, v35, v37
	v_add_u32_e32 v38, 1, v36
	v_cmp_le_u32_e32 vcc, s33, v35
	v_subrev_u32_e32 v37, s33, v35
	v_ashrrev_i32_e32 v34, 31, v33
	v_cndmask_b32_e32 v36, v36, v38, vcc
	v_cndmask_b32_e32 v35, v35, v37, vcc
	v_add_u32_e32 v37, 1, v36
	v_cmp_le_u32_e32 vcc, s33, v35
	v_xor_b32_e32 v34, s4, v34
	s_nop 0
	v_cndmask_b32_e32 v35, v36, v37, vcc
	v_xor_b32_e32 v35, v35, v34
	v_sub_u32_e32 v35, v35, v34
	v_cmp_eq_u32_e32 vcc, v35, v5
	v_cmp_ne_u32_e64 s[0:1], v35, v5
	v_mov_b32_e32 v34, v15
	s_and_saveexec_b64 s[34:35], s[0:1]
	s_xor_b64 s[0:1], exec, s[34:35]
; %bb.17:                               ;   in Loop: Header=BB184_16 Depth=2
	v_min_i32_e32 v31, v35, v31
                                        ; implicit-def: $vgpr33
                                        ; implicit-def: $vgpr34
; %bb.18:                               ;   in Loop: Header=BB184_16 Depth=2
	s_or_saveexec_b64 s[0:1], s[0:1]
	v_mov_b32_e32 v15, v14
	s_xor_b64 exec, exec, s[0:1]
	s_cbranch_execz .LBB184_15
; %bb.19:                               ;   in Loop: Header=BB184_16 Depth=2
	global_load_dwordx4 v[36:39], v[18:19], off
	v_sub_u32_e32 v15, v33, v32
	v_add_lshl_u32 v15, v23, v15, 4
	ds_write_b8 v20, v30 offset:8192
	s_waitcnt vmcnt(0)
	ds_write2_b64 v15, v[36:37], v[38:39] offset1:1
	v_mov_b32_e32 v15, v34
	s_branch .LBB184_15
.LBB184_20:                             ;   in Loop: Header=BB184_11 Depth=1
	s_or_b64 exec, exec, s[26:27]
.LBB184_21:                             ;   in Loop: Header=BB184_11 Depth=1
	s_or_b64 exec, exec, s[24:25]
	v_mov_b32_dpp v14, v15 row_shr:1 row_mask:0xf bank_mask:0xf
	v_min_i32_e32 v14, v14, v15
	s_waitcnt lgkmcnt(0)
	v_mov_b32_e32 v19, 0
	v_mov_b32_dpp v15, v14 row_shr:2 row_mask:0xf bank_mask:0xf
	v_min_i32_e32 v14, v15, v14
	s_nop 1
	v_mov_b32_dpp v15, v14 row_shr:4 row_mask:0xf bank_mask:0xe
	v_min_i32_e32 v14, v15, v14
	s_nop 1
	v_mov_b32_dpp v15, v14 row_shr:8 row_mask:0xf bank_mask:0xc
	v_min_i32_e32 v14, v15, v14
	ds_read_u8 v15, v20 offset:8192
	s_nop 0
	v_mov_b32_dpp v16, v14 row_bcast:15 row_mask:0xa bank_mask:0xf
	v_min_i32_e32 v14, v16, v14
	ds_bpermute_b32 v18, v24, v14
	s_waitcnt lgkmcnt(1)
	v_and_b32_e32 v14, 1, v15
	v_cmp_eq_u32_e32 vcc, 1, v14
	s_and_saveexec_b64 s[0:1], vcc
	s_cbranch_execz .LBB184_10
; %bb.22:                               ;   in Loop: Header=BB184_11 Depth=1
	v_add_u32_e32 v16, s29, v5
	v_ashrrev_i32_e32 v5, 31, v4
	v_lshl_add_u64 v[14:15], v[4:5], 2, s[10:11]
	global_store_dword v[14:15], v16, off
	v_mul_lo_u32 v16, s30, v4
	v_mul_lo_u32 v5, s31, v5
	v_mad_u64_u32 v[14:15], s[24:25], s31, v4, 0
	v_add3_u32 v15, v15, v5, v16
	v_lshlrev_b64 v[14:15], 4, v[14:15]
	v_lshl_add_u64 v[16:17], v[8:9], 0, v[14:15]
	v_lshl_add_u64 v[14:15], v[10:11], 0, v[14:15]
	s_and_saveexec_b64 s[24:25], s[16:17]
	s_cbranch_execz .LBB184_26
; %bb.23:                               ;   in Loop: Header=BB184_11 Depth=1
	s_and_b64 vcc, exec, s[14:15]
	s_cbranch_vccz .LBB184_29
; %bb.24:                               ;   in Loop: Header=BB184_11 Depth=1
	ds_read2_b64 v[32:35], v26 offset1:1
	v_lshl_add_u64 v[36:37], v[6:7], 4, v[16:17]
	s_waitcnt lgkmcnt(0)
	global_store_dwordx4 v[36:37], v[32:35], off
	s_cbranch_execnz .LBB184_26
.LBB184_25:                             ;   in Loop: Header=BB184_11 Depth=1
	ds_read2_b64 v[32:35], v26 offset1:1
	s_waitcnt lgkmcnt(0)
	global_store_dwordx4 v[14:15], v[32:35], off
.LBB184_26:                             ;   in Loop: Header=BB184_11 Depth=1
	s_or_b64 exec, exec, s[24:25]
	v_mov_b32_e32 v19, 1
	s_and_saveexec_b64 s[24:25], s[2:3]
	s_cbranch_execz .LBB184_9
; %bb.27:                               ;   in Loop: Header=BB184_11 Depth=1
	s_andn2_b64 vcc, exec, s[14:15]
	s_cbranch_vccnz .LBB184_30
; %bb.28:                               ;   in Loop: Header=BB184_11 Depth=1
	ds_read2_b64 v[32:35], v27 offset1:1
	v_lshl_add_u64 v[16:17], v[12:13], 4, v[16:17]
	s_mov_b32 s6, 1
	s_waitcnt lgkmcnt(0)
	global_store_dwordx4 v[16:17], v[32:35], off
	s_cbranch_execnz .LBB184_8
	s_branch .LBB184_31
.LBB184_29:                             ;   in Loop: Header=BB184_11 Depth=1
	s_branch .LBB184_25
.LBB184_30:                             ;   in Loop: Header=BB184_11 Depth=1
                                        ; implicit-def: $sgpr6
.LBB184_31:                             ;   in Loop: Header=BB184_11 Depth=1
	ds_read2_b64 v[32:35], v27 offset1:1
	s_mov_b32 s6, 1
	s_waitcnt lgkmcnt(0)
	global_store_dwordx4 v[14:15], v[32:35], off offset:512
	s_branch .LBB184_8
.LBB184_32:
	s_endpgm
	.section	.rodata,"a",@progbits
	.p2align	6, 0x0
	.amdhsa_kernel _ZN9rocsparseL44csr2gebsr_wavefront_per_row_multipass_kernelILi256ELi2ELi64ELi64E21rocsparse_complex_numIdEEEv20rocsparse_direction_iiiiii21rocsparse_index_base_PKT3_PKiS9_S4_PS5_PiSB_
		.amdhsa_group_segment_fixed_size 8200
		.amdhsa_private_segment_fixed_size 0
		.amdhsa_kernarg_size 88
		.amdhsa_user_sgpr_count 2
		.amdhsa_user_sgpr_dispatch_ptr 0
		.amdhsa_user_sgpr_queue_ptr 0
		.amdhsa_user_sgpr_kernarg_segment_ptr 1
		.amdhsa_user_sgpr_dispatch_id 0
		.amdhsa_user_sgpr_kernarg_preload_length 0
		.amdhsa_user_sgpr_kernarg_preload_offset 0
		.amdhsa_user_sgpr_private_segment_size 0
		.amdhsa_uses_dynamic_stack 0
		.amdhsa_enable_private_segment 0
		.amdhsa_system_sgpr_workgroup_id_x 1
		.amdhsa_system_sgpr_workgroup_id_y 0
		.amdhsa_system_sgpr_workgroup_id_z 0
		.amdhsa_system_sgpr_workgroup_info 0
		.amdhsa_system_vgpr_workitem_id 0
		.amdhsa_next_free_vgpr 40
		.amdhsa_next_free_sgpr 36
		.amdhsa_accum_offset 40
		.amdhsa_reserve_vcc 1
		.amdhsa_float_round_mode_32 0
		.amdhsa_float_round_mode_16_64 0
		.amdhsa_float_denorm_mode_32 3
		.amdhsa_float_denorm_mode_16_64 3
		.amdhsa_dx10_clamp 1
		.amdhsa_ieee_mode 1
		.amdhsa_fp16_overflow 0
		.amdhsa_tg_split 0
		.amdhsa_exception_fp_ieee_invalid_op 0
		.amdhsa_exception_fp_denorm_src 0
		.amdhsa_exception_fp_ieee_div_zero 0
		.amdhsa_exception_fp_ieee_overflow 0
		.amdhsa_exception_fp_ieee_underflow 0
		.amdhsa_exception_fp_ieee_inexact 0
		.amdhsa_exception_int_div_zero 0
	.end_amdhsa_kernel
	.section	.text._ZN9rocsparseL44csr2gebsr_wavefront_per_row_multipass_kernelILi256ELi2ELi64ELi64E21rocsparse_complex_numIdEEEv20rocsparse_direction_iiiiii21rocsparse_index_base_PKT3_PKiS9_S4_PS5_PiSB_,"axG",@progbits,_ZN9rocsparseL44csr2gebsr_wavefront_per_row_multipass_kernelILi256ELi2ELi64ELi64E21rocsparse_complex_numIdEEEv20rocsparse_direction_iiiiii21rocsparse_index_base_PKT3_PKiS9_S4_PS5_PiSB_,comdat
.Lfunc_end184:
	.size	_ZN9rocsparseL44csr2gebsr_wavefront_per_row_multipass_kernelILi256ELi2ELi64ELi64E21rocsparse_complex_numIdEEEv20rocsparse_direction_iiiiii21rocsparse_index_base_PKT3_PKiS9_S4_PS5_PiSB_, .Lfunc_end184-_ZN9rocsparseL44csr2gebsr_wavefront_per_row_multipass_kernelILi256ELi2ELi64ELi64E21rocsparse_complex_numIdEEEv20rocsparse_direction_iiiiii21rocsparse_index_base_PKT3_PKiS9_S4_PS5_PiSB_
                                        ; -- End function
	.section	.AMDGPU.csdata,"",@progbits
; Kernel info:
; codeLenInByte = 1468
; NumSgprs: 42
; NumVgprs: 40
; NumAgprs: 0
; TotalNumVgprs: 40
; ScratchSize: 0
; MemoryBound: 0
; FloatMode: 240
; IeeeMode: 1
; LDSByteSize: 8200 bytes/workgroup (compile time only)
; SGPRBlocks: 5
; VGPRBlocks: 4
; NumSGPRsForWavesPerEU: 42
; NumVGPRsForWavesPerEU: 40
; AccumOffset: 40
; Occupancy: 7
; WaveLimiterHint : 0
; COMPUTE_PGM_RSRC2:SCRATCH_EN: 0
; COMPUTE_PGM_RSRC2:USER_SGPR: 2
; COMPUTE_PGM_RSRC2:TRAP_HANDLER: 0
; COMPUTE_PGM_RSRC2:TGID_X_EN: 1
; COMPUTE_PGM_RSRC2:TGID_Y_EN: 0
; COMPUTE_PGM_RSRC2:TGID_Z_EN: 0
; COMPUTE_PGM_RSRC2:TIDIG_COMP_CNT: 0
; COMPUTE_PGM_RSRC3_GFX90A:ACCUM_OFFSET: 9
; COMPUTE_PGM_RSRC3_GFX90A:TG_SPLIT: 0
	.section	.text._ZN9rocsparseL44csr2gebsr_wavefront_per_row_multipass_kernelILi256ELi2ELi64ELi32E21rocsparse_complex_numIdEEEv20rocsparse_direction_iiiiii21rocsparse_index_base_PKT3_PKiS9_S4_PS5_PiSB_,"axG",@progbits,_ZN9rocsparseL44csr2gebsr_wavefront_per_row_multipass_kernelILi256ELi2ELi64ELi32E21rocsparse_complex_numIdEEEv20rocsparse_direction_iiiiii21rocsparse_index_base_PKT3_PKiS9_S4_PS5_PiSB_,comdat
	.globl	_ZN9rocsparseL44csr2gebsr_wavefront_per_row_multipass_kernelILi256ELi2ELi64ELi32E21rocsparse_complex_numIdEEEv20rocsparse_direction_iiiiii21rocsparse_index_base_PKT3_PKiS9_S4_PS5_PiSB_ ; -- Begin function _ZN9rocsparseL44csr2gebsr_wavefront_per_row_multipass_kernelILi256ELi2ELi64ELi32E21rocsparse_complex_numIdEEEv20rocsparse_direction_iiiiii21rocsparse_index_base_PKT3_PKiS9_S4_PS5_PiSB_
	.p2align	8
	.type	_ZN9rocsparseL44csr2gebsr_wavefront_per_row_multipass_kernelILi256ELi2ELi64ELi32E21rocsparse_complex_numIdEEEv20rocsparse_direction_iiiiii21rocsparse_index_base_PKT3_PKiS9_S4_PS5_PiSB_,@function
_ZN9rocsparseL44csr2gebsr_wavefront_per_row_multipass_kernelILi256ELi2ELi64ELi32E21rocsparse_complex_numIdEEEv20rocsparse_direction_iiiiii21rocsparse_index_base_PKT3_PKiS9_S4_PS5_PiSB_: ; @_ZN9rocsparseL44csr2gebsr_wavefront_per_row_multipass_kernelILi256ELi2ELi64ELi32E21rocsparse_complex_numIdEEEv20rocsparse_direction_iiiiii21rocsparse_index_base_PKT3_PKiS9_S4_PS5_PiSB_
; %bb.0:
	s_load_dwordx2 s[4:5], s[0:1], 0x0
	s_load_dwordx4 s[8:11], s[0:1], 0xc
	s_load_dword s33, s[0:1], 0x1c
	s_load_dwordx2 s[6:7], s[0:1], 0x28
	v_lshrrev_b32_e32 v24, 5, v0
	v_bfe_u32 v2, v0, 4, 1
	v_lshl_or_b32 v6, s2, 3, v24
	s_waitcnt lgkmcnt(0)
	v_mad_u64_u32 v[4:5], s[2:3], v6, s10, v[2:3]
	v_cmp_gt_i32_e64 s[2:3], s5, v4
	v_cmp_gt_i32_e32 vcc, s10, v2
	s_and_b64 s[2:3], vcc, s[2:3]
	v_mov_b32_e32 v25, 0
	v_mov_b32_e32 v22, 0
	s_and_saveexec_b64 s[12:13], s[2:3]
	s_cbranch_execz .LBB185_2
; %bb.1:
	v_ashrrev_i32_e32 v5, 31, v4
	v_lshl_add_u64 v[8:9], v[4:5], 2, s[6:7]
	global_load_dword v1, v[8:9], off
	s_waitcnt vmcnt(0)
	v_subrev_u32_e32 v22, s33, v1
.LBB185_2:
	s_or_b64 exec, exec, s[12:13]
	s_and_saveexec_b64 s[12:13], s[2:3]
	s_cbranch_execz .LBB185_4
; %bb.3:
	v_ashrrev_i32_e32 v5, 31, v4
	v_lshl_add_u64 v[4:5], v[4:5], 2, s[6:7]
	global_load_dword v1, v[4:5], off offset:4
	s_waitcnt vmcnt(0)
	v_subrev_u32_e32 v25, s33, v1
.LBB185_4:
	s_or_b64 exec, exec, s[12:13]
	s_load_dword s34, s[0:1], 0x38
	v_cmp_gt_i32_e64 s[2:3], s8, v6
	v_mov_b32_e32 v4, 0
	s_and_saveexec_b64 s[6:7], s[2:3]
	s_cbranch_execz .LBB185_6
; %bb.5:
	s_load_dwordx2 s[2:3], s[0:1], 0x48
	v_ashrrev_i32_e32 v7, 31, v6
	s_waitcnt lgkmcnt(0)
	v_lshl_add_u64 v[4:5], v[6:7], 2, s[2:3]
	global_load_dword v1, v[4:5], off
	s_waitcnt vmcnt(0)
	v_subrev_u32_e32 v4, s34, v1
.LBB185_6:
	s_or_b64 exec, exec, s[6:7]
	s_cmp_lt_i32 s9, 1
	s_cbranch_scc1 .LBB185_42
; %bb.7:
	v_and_b32_e32 v26, 15, v0
	v_lshlrev_b32_e32 v0, 7, v24
	s_load_dwordx2 s[12:13], s[0:1], 0x20
	s_load_dwordx2 s[14:15], s[0:1], 0x50
	;; [unrolled: 1-line block ×4, first 2 shown]
	v_lshl_or_b32 v27, v2, 6, v0
	v_mbcnt_lo_u32_b32 v0, -1, 0
	v_mbcnt_hi_u32_b32 v0, -1, v0
	v_lshlrev_b32_e32 v3, 2, v0
	v_mul_lo_u32 v0, v2, s11
	v_mov_b32_e32 v7, 0
	s_cmp_lg_u32 s4, 0
	v_lshlrev_b32_e32 v6, 4, v2
	v_ashrrev_i32_e32 v1, 31, v0
	s_cselect_b64 s[18:19], -1, 0
	s_ashr_i32 s8, s11, 31
	s_waitcnt lgkmcnt(0)
	v_lshl_add_u64 v[8:9], s[2:3], 0, v[6:7]
	v_lshl_add_u64 v[0:1], v[0:1], 4, s[2:3]
	v_lshlrev_b32_e32 v6, 4, v26
	s_mul_hi_u32 s0, s11, s10
	s_mul_i32 s1, s8, s10
	s_mul_i32 s36, s11, s10
	v_lshl_add_u64 v[10:11], v[0:1], 0, v[6:7]
	v_mul_lo_u32 v6, v26, s10
	s_lshl_b32 s20, s10, 4
	s_abs_i32 s10, s11
	v_cvt_f32_u32_e32 v1, s10
	v_or_b32_e32 v0, 16, v26
	v_cmp_gt_u32_e64 s[2:3], s11, v0
	v_or_b32_e32 v0, 32, v26
	v_cmp_gt_u32_e64 s[4:5], s11, v0
	;; [unrolled: 2-line block ×3, first 2 shown]
	v_rcp_iflag_f32_e32 v0, v1
	v_add_u32_e32 v12, s20, v6
	s_add_i32 s35, s0, s1
	v_cmp_gt_u32_e64 s[0:1], s11, v26
	v_mul_f32_e32 v0, 0x4f7ffffe, v0
	v_cvt_u32_f32_e32 v0, v0
	v_add_u32_e32 v14, s20, v12
	v_add_u32_e32 v16, s20, v14
	s_and_b64 s[20:21], s[0:1], vcc
	s_sub_i32 s0, 0, s10
	v_or_b32_e32 v5, v27, v26
	v_mul_lo_u32 v1, s0, v0
	v_lshlrev_b32_e32 v30, 4, v5
	v_mul_hi_u32 v1, v0, v1
	v_cndmask_b32_e64 v5, 0, 1, s[18:19]
	v_or_b32_e32 v28, 60, v3
	v_or_b32_e32 v29, 0x7c, v3
	;; [unrolled: 1-line block ×3, first 2 shown]
	v_mov_b32_e32 v13, v7
	v_or_b32_e32 v32, 0x200, v30
	v_mov_b32_e32 v15, v7
	v_or_b32_e32 v33, 0x300, v30
	v_mov_b32_e32 v17, v7
	s_and_b64 s[22:23], vcc, s[2:3]
	s_and_b64 s[4:5], vcc, s[4:5]
	;; [unrolled: 1-line block ×3, first 2 shown]
	v_add_u32_e32 v34, v0, v1
	v_or_b32_e32 v35, -16, v26
	s_mov_b64 s[24:25], 0
	v_mov_b32_e32 v0, v7
	v_mov_b32_e32 v1, v7
	;; [unrolled: 1-line block ×4, first 2 shown]
	s_mov_b64 s[26:27], 0x100
	v_cmp_ne_u32_e64 s[0:1], 1, v5
	v_mov_b32_e32 v36, 1
	v_mov_b32_e32 v5, v7
	s_branch .LBB185_11
.LBB185_8:                              ;   in Loop: Header=BB185_11 Depth=1
	v_mov_b32_e32 v23, s37
.LBB185_9:                              ;   in Loop: Header=BB185_11 Depth=1
	s_or_b64 exec, exec, s[28:29]
.LBB185_10:                             ;   in Loop: Header=BB185_11 Depth=1
	s_or_b64 exec, exec, s[2:3]
	v_mov_b32_dpp v5, v37 row_shr:1 row_mask:0xf bank_mask:0xf
	v_min_i32_e32 v5, v5, v37
	v_add_u32_e32 v4, v23, v4
	s_waitcnt lgkmcnt(0)
	v_mov_b32_dpp v18, v5 row_shr:2 row_mask:0xf bank_mask:0xf
	v_min_i32_e32 v5, v18, v5
	s_nop 1
	v_mov_b32_dpp v18, v5 row_shr:4 row_mask:0xf bank_mask:0xe
	v_min_i32_e32 v5, v18, v5
	s_nop 1
	;; [unrolled: 3-line block ×3, first 2 shown]
	v_mov_b32_dpp v18, v5 row_bcast:15 row_mask:0xa bank_mask:0xf
	v_min_i32_e32 v5, v18, v5
	ds_bpermute_b32 v5, v29, v5
	s_waitcnt lgkmcnt(0)
	v_cmp_le_i32_e32 vcc, s9, v5
	s_or_b64 s[24:25], vcc, s[24:25]
	s_andn2_b64 exec, exec, s[24:25]
	s_cbranch_execz .LBB185_42
.LBB185_11:                             ; =>This Loop Header: Depth=1
                                        ;     Child Loop BB185_12 Depth 2
                                        ;     Child Loop BB185_16 Depth 2
	s_mov_b64 s[2:3], 0
	v_mov_b32_e32 v18, v30
	v_mov_b32_e32 v19, v35
	ds_write_b8 v24, v7 offset:16384
.LBB185_12:                             ;   Parent Loop BB185_11 Depth=1
                                        ; =>  This Inner Loop Header: Depth=2
	v_add_u32_e32 v19, 16, v19
	v_cmp_lt_u32_e32 vcc, 47, v19
	ds_write_b128 v18, v[0:3]
	s_or_b64 s[2:3], vcc, s[2:3]
	v_add_u32_e32 v18, 0x100, v18
	s_andn2_b64 exec, exec, s[2:3]
	s_cbranch_execnz .LBB185_12
; %bb.13:                               ;   in Loop: Header=BB185_11 Depth=1
	s_or_b64 exec, exec, s[2:3]
	v_add_u32_e32 v18, v22, v26
	v_cmp_lt_i32_e32 vcc, v18, v25
	v_mov_b32_e32 v37, s9
	v_mov_b32_e32 v19, v25
	s_waitcnt lgkmcnt(0)
	s_and_saveexec_b64 s[28:29], vcc
	s_cbranch_execz .LBB185_21
; %bb.14:                               ;   in Loop: Header=BB185_11 Depth=1
	v_ashrrev_i32_e32 v19, 31, v18
	v_mul_lo_u32 v38, v5, s11
	v_lshl_add_u64 v[20:21], v[18:19], 2, s[16:17]
	v_lshl_add_u64 v[22:23], v[18:19], 4, s[12:13]
	s_mov_b64 s[30:31], 0
	v_mov_b32_e32 v37, s9
	v_mov_b32_e32 v19, v25
	s_branch .LBB185_16
.LBB185_15:                             ;   in Loop: Header=BB185_16 Depth=2
	s_or_b64 exec, exec, s[2:3]
	v_add_u32_e32 v18, 16, v18
	v_cmp_ge_i32_e64 s[2:3], v18, v25
	s_xor_b64 s[38:39], vcc, -1
	s_or_b64 s[2:3], s[38:39], s[2:3]
	s_and_b64 s[2:3], exec, s[2:3]
	v_lshl_add_u64 v[20:21], v[20:21], 0, 64
	s_or_b64 s[30:31], s[2:3], s[30:31]
	v_lshl_add_u64 v[22:23], v[22:23], 0, s[26:27]
	s_andn2_b64 exec, exec, s[30:31]
	s_cbranch_execz .LBB185_20
.LBB185_16:                             ;   Parent Loop BB185_11 Depth=1
                                        ; =>  This Inner Loop Header: Depth=2
	global_load_dword v39, v[20:21], off
	s_waitcnt vmcnt(0)
	v_subrev_u32_e32 v39, s33, v39
	v_sub_u32_e32 v41, 0, v39
	v_max_i32_e32 v41, v39, v41
	v_mul_hi_u32 v42, v41, v34
	v_mul_lo_u32 v43, v42, s10
	v_sub_u32_e32 v41, v41, v43
	v_add_u32_e32 v44, 1, v42
	v_cmp_le_u32_e32 vcc, s10, v41
	v_subrev_u32_e32 v43, s10, v41
	v_ashrrev_i32_e32 v40, 31, v39
	v_cndmask_b32_e32 v42, v42, v44, vcc
	v_cndmask_b32_e32 v41, v41, v43, vcc
	v_add_u32_e32 v43, 1, v42
	v_cmp_le_u32_e32 vcc, s10, v41
	v_xor_b32_e32 v40, s8, v40
	s_nop 0
	v_cndmask_b32_e32 v41, v42, v43, vcc
	v_xor_b32_e32 v41, v41, v40
	v_sub_u32_e32 v41, v41, v40
	v_cmp_eq_u32_e32 vcc, v41, v5
	v_cmp_ne_u32_e64 s[2:3], v41, v5
	v_mov_b32_e32 v40, v19
	s_and_saveexec_b64 s[38:39], s[2:3]
	s_xor_b64 s[2:3], exec, s[38:39]
; %bb.17:                               ;   in Loop: Header=BB185_16 Depth=2
	v_min_i32_e32 v37, v41, v37
                                        ; implicit-def: $vgpr39
                                        ; implicit-def: $vgpr40
; %bb.18:                               ;   in Loop: Header=BB185_16 Depth=2
	s_or_saveexec_b64 s[2:3], s[2:3]
	v_mov_b32_e32 v19, v18
	s_xor_b64 exec, exec, s[2:3]
	s_cbranch_execz .LBB185_15
; %bb.19:                               ;   in Loop: Header=BB185_16 Depth=2
	global_load_dwordx4 v[42:45], v[22:23], off
	v_sub_u32_e32 v19, v39, v38
	v_add_lshl_u32 v19, v27, v19, 4
	ds_write_b8 v24, v36 offset:16384
	s_waitcnt vmcnt(0)
	ds_write2_b64 v19, v[42:43], v[44:45] offset1:1
	v_mov_b32_e32 v19, v40
	s_branch .LBB185_15
.LBB185_20:                             ;   in Loop: Header=BB185_11 Depth=1
	s_or_b64 exec, exec, s[30:31]
.LBB185_21:                             ;   in Loop: Header=BB185_11 Depth=1
	s_or_b64 exec, exec, s[28:29]
	v_mov_b32_dpp v18, v19 row_shr:1 row_mask:0xf bank_mask:0xf
	v_min_i32_e32 v18, v18, v19
	s_waitcnt lgkmcnt(0)
	v_mov_b32_e32 v23, 0
	v_mov_b32_dpp v19, v18 row_shr:2 row_mask:0xf bank_mask:0xf
	v_min_i32_e32 v18, v19, v18
	s_nop 1
	v_mov_b32_dpp v19, v18 row_shr:4 row_mask:0xf bank_mask:0xe
	v_min_i32_e32 v18, v19, v18
	ds_read_u8 v19, v24 offset:16384
	s_nop 0
	v_mov_b32_dpp v20, v18 row_shr:8 row_mask:0xf bank_mask:0xc
	v_min_i32_e32 v18, v20, v18
	ds_bpermute_b32 v22, v28, v18
	s_waitcnt lgkmcnt(1)
	v_and_b32_e32 v18, 1, v19
	v_cmp_eq_u32_e32 vcc, 1, v18
	s_and_saveexec_b64 s[2:3], vcc
	s_cbranch_execz .LBB185_10
; %bb.22:                               ;   in Loop: Header=BB185_11 Depth=1
	v_add_u32_e32 v20, s34, v5
	v_ashrrev_i32_e32 v5, 31, v4
	v_lshl_add_u64 v[18:19], v[4:5], 2, s[14:15]
	global_store_dword v[18:19], v20, off
	v_mul_lo_u32 v20, s35, v4
	v_mul_lo_u32 v5, s36, v5
	v_mad_u64_u32 v[18:19], s[28:29], s36, v4, 0
	v_add3_u32 v19, v19, v5, v20
	v_lshlrev_b64 v[18:19], 4, v[18:19]
	v_lshl_add_u64 v[20:21], v[8:9], 0, v[18:19]
	v_lshl_add_u64 v[18:19], v[10:11], 0, v[18:19]
	s_and_saveexec_b64 s[28:29], s[20:21]
	s_cbranch_execz .LBB185_26
; %bb.23:                               ;   in Loop: Header=BB185_11 Depth=1
	s_and_b64 vcc, exec, s[18:19]
	s_cbranch_vccz .LBB185_37
; %bb.24:                               ;   in Loop: Header=BB185_11 Depth=1
	ds_read2_b64 v[38:41], v30 offset1:1
	v_lshl_add_u64 v[42:43], v[6:7], 4, v[20:21]
	s_waitcnt lgkmcnt(0)
	global_store_dwordx4 v[42:43], v[38:41], off
	s_cbranch_execnz .LBB185_26
.LBB185_25:                             ;   in Loop: Header=BB185_11 Depth=1
	ds_read2_b64 v[38:41], v30 offset1:1
	s_waitcnt lgkmcnt(0)
	global_store_dwordx4 v[18:19], v[38:41], off
.LBB185_26:                             ;   in Loop: Header=BB185_11 Depth=1
	s_or_b64 exec, exec, s[28:29]
	s_and_saveexec_b64 s[28:29], s[22:23]
	s_cbranch_execz .LBB185_30
; %bb.27:                               ;   in Loop: Header=BB185_11 Depth=1
	s_and_b64 vcc, exec, s[0:1]
	s_cbranch_vccnz .LBB185_38
; %bb.28:                               ;   in Loop: Header=BB185_11 Depth=1
	ds_read2_b64 v[38:41], v31 offset1:1
	v_lshl_add_u64 v[42:43], v[12:13], 4, v[20:21]
	s_waitcnt lgkmcnt(0)
	global_store_dwordx4 v[42:43], v[38:41], off
	s_cbranch_execnz .LBB185_30
.LBB185_29:                             ;   in Loop: Header=BB185_11 Depth=1
	ds_read2_b64 v[38:41], v31 offset1:1
	s_waitcnt lgkmcnt(0)
	global_store_dwordx4 v[18:19], v[38:41], off offset:256
.LBB185_30:                             ;   in Loop: Header=BB185_11 Depth=1
	s_or_b64 exec, exec, s[28:29]
	s_and_saveexec_b64 s[28:29], s[4:5]
	s_cbranch_execz .LBB185_34
; %bb.31:                               ;   in Loop: Header=BB185_11 Depth=1
	s_and_b64 vcc, exec, s[0:1]
	s_cbranch_vccnz .LBB185_39
; %bb.32:                               ;   in Loop: Header=BB185_11 Depth=1
	ds_read2_b64 v[38:41], v32 offset1:1
	v_lshl_add_u64 v[42:43], v[14:15], 4, v[20:21]
	s_waitcnt lgkmcnt(0)
	global_store_dwordx4 v[42:43], v[38:41], off
	s_cbranch_execnz .LBB185_34
.LBB185_33:                             ;   in Loop: Header=BB185_11 Depth=1
	ds_read2_b64 v[38:41], v32 offset1:1
	s_waitcnt lgkmcnt(0)
	global_store_dwordx4 v[18:19], v[38:41], off offset:512
.LBB185_34:                             ;   in Loop: Header=BB185_11 Depth=1
	s_or_b64 exec, exec, s[28:29]
	v_mov_b32_e32 v23, 1
	s_and_saveexec_b64 s[28:29], s[6:7]
	s_cbranch_execz .LBB185_9
; %bb.35:                               ;   in Loop: Header=BB185_11 Depth=1
	s_and_b64 vcc, exec, s[0:1]
	s_cbranch_vccnz .LBB185_40
; %bb.36:                               ;   in Loop: Header=BB185_11 Depth=1
	ds_read2_b64 v[38:41], v33 offset1:1
	v_lshl_add_u64 v[20:21], v[16:17], 4, v[20:21]
	s_mov_b32 s37, 1
	s_waitcnt lgkmcnt(0)
	global_store_dwordx4 v[20:21], v[38:41], off
	s_cbranch_execnz .LBB185_8
	s_branch .LBB185_41
.LBB185_37:                             ;   in Loop: Header=BB185_11 Depth=1
	s_branch .LBB185_25
.LBB185_38:                             ;   in Loop: Header=BB185_11 Depth=1
	s_branch .LBB185_29
.LBB185_39:                             ;   in Loop: Header=BB185_11 Depth=1
	s_branch .LBB185_33
.LBB185_40:                             ;   in Loop: Header=BB185_11 Depth=1
                                        ; implicit-def: $sgpr37
.LBB185_41:                             ;   in Loop: Header=BB185_11 Depth=1
	ds_read2_b64 v[38:41], v33 offset1:1
	s_mov_b32 s37, 1
	s_waitcnt lgkmcnt(0)
	global_store_dwordx4 v[18:19], v[38:41], off offset:768
	s_branch .LBB185_8
.LBB185_42:
	s_endpgm
	.section	.rodata,"a",@progbits
	.p2align	6, 0x0
	.amdhsa_kernel _ZN9rocsparseL44csr2gebsr_wavefront_per_row_multipass_kernelILi256ELi2ELi64ELi32E21rocsparse_complex_numIdEEEv20rocsparse_direction_iiiiii21rocsparse_index_base_PKT3_PKiS9_S4_PS5_PiSB_
		.amdhsa_group_segment_fixed_size 16392
		.amdhsa_private_segment_fixed_size 0
		.amdhsa_kernarg_size 88
		.amdhsa_user_sgpr_count 2
		.amdhsa_user_sgpr_dispatch_ptr 0
		.amdhsa_user_sgpr_queue_ptr 0
		.amdhsa_user_sgpr_kernarg_segment_ptr 1
		.amdhsa_user_sgpr_dispatch_id 0
		.amdhsa_user_sgpr_kernarg_preload_length 0
		.amdhsa_user_sgpr_kernarg_preload_offset 0
		.amdhsa_user_sgpr_private_segment_size 0
		.amdhsa_uses_dynamic_stack 0
		.amdhsa_enable_private_segment 0
		.amdhsa_system_sgpr_workgroup_id_x 1
		.amdhsa_system_sgpr_workgroup_id_y 0
		.amdhsa_system_sgpr_workgroup_id_z 0
		.amdhsa_system_sgpr_workgroup_info 0
		.amdhsa_system_vgpr_workitem_id 0
		.amdhsa_next_free_vgpr 46
		.amdhsa_next_free_sgpr 40
		.amdhsa_accum_offset 48
		.amdhsa_reserve_vcc 1
		.amdhsa_float_round_mode_32 0
		.amdhsa_float_round_mode_16_64 0
		.amdhsa_float_denorm_mode_32 3
		.amdhsa_float_denorm_mode_16_64 3
		.amdhsa_dx10_clamp 1
		.amdhsa_ieee_mode 1
		.amdhsa_fp16_overflow 0
		.amdhsa_tg_split 0
		.amdhsa_exception_fp_ieee_invalid_op 0
		.amdhsa_exception_fp_denorm_src 0
		.amdhsa_exception_fp_ieee_div_zero 0
		.amdhsa_exception_fp_ieee_overflow 0
		.amdhsa_exception_fp_ieee_underflow 0
		.amdhsa_exception_fp_ieee_inexact 0
		.amdhsa_exception_int_div_zero 0
	.end_amdhsa_kernel
	.section	.text._ZN9rocsparseL44csr2gebsr_wavefront_per_row_multipass_kernelILi256ELi2ELi64ELi32E21rocsparse_complex_numIdEEEv20rocsparse_direction_iiiiii21rocsparse_index_base_PKT3_PKiS9_S4_PS5_PiSB_,"axG",@progbits,_ZN9rocsparseL44csr2gebsr_wavefront_per_row_multipass_kernelILi256ELi2ELi64ELi32E21rocsparse_complex_numIdEEEv20rocsparse_direction_iiiiii21rocsparse_index_base_PKT3_PKiS9_S4_PS5_PiSB_,comdat
.Lfunc_end185:
	.size	_ZN9rocsparseL44csr2gebsr_wavefront_per_row_multipass_kernelILi256ELi2ELi64ELi32E21rocsparse_complex_numIdEEEv20rocsparse_direction_iiiiii21rocsparse_index_base_PKT3_PKiS9_S4_PS5_PiSB_, .Lfunc_end185-_ZN9rocsparseL44csr2gebsr_wavefront_per_row_multipass_kernelILi256ELi2ELi64ELi32E21rocsparse_complex_numIdEEEv20rocsparse_direction_iiiiii21rocsparse_index_base_PKT3_PKiS9_S4_PS5_PiSB_
                                        ; -- End function
	.section	.AMDGPU.csdata,"",@progbits
; Kernel info:
; codeLenInByte = 1648
; NumSgprs: 46
; NumVgprs: 46
; NumAgprs: 0
; TotalNumVgprs: 46
; ScratchSize: 0
; MemoryBound: 0
; FloatMode: 240
; IeeeMode: 1
; LDSByteSize: 16392 bytes/workgroup (compile time only)
; SGPRBlocks: 5
; VGPRBlocks: 5
; NumSGPRsForWavesPerEU: 46
; NumVGPRsForWavesPerEU: 46
; AccumOffset: 48
; Occupancy: 3
; WaveLimiterHint : 0
; COMPUTE_PGM_RSRC2:SCRATCH_EN: 0
; COMPUTE_PGM_RSRC2:USER_SGPR: 2
; COMPUTE_PGM_RSRC2:TRAP_HANDLER: 0
; COMPUTE_PGM_RSRC2:TGID_X_EN: 1
; COMPUTE_PGM_RSRC2:TGID_Y_EN: 0
; COMPUTE_PGM_RSRC2:TGID_Z_EN: 0
; COMPUTE_PGM_RSRC2:TIDIG_COMP_CNT: 0
; COMPUTE_PGM_RSRC3_GFX90A:ACCUM_OFFSET: 11
; COMPUTE_PGM_RSRC3_GFX90A:TG_SPLIT: 0
	.section	.text._ZN9rocsparseL44csr2gebsr_wavefront_per_row_multipass_kernelILi256ELi4ELi2ELi8E21rocsparse_complex_numIdEEEv20rocsparse_direction_iiiiii21rocsparse_index_base_PKT3_PKiS9_S4_PS5_PiSB_,"axG",@progbits,_ZN9rocsparseL44csr2gebsr_wavefront_per_row_multipass_kernelILi256ELi4ELi2ELi8E21rocsparse_complex_numIdEEEv20rocsparse_direction_iiiiii21rocsparse_index_base_PKT3_PKiS9_S4_PS5_PiSB_,comdat
	.globl	_ZN9rocsparseL44csr2gebsr_wavefront_per_row_multipass_kernelILi256ELi4ELi2ELi8E21rocsparse_complex_numIdEEEv20rocsparse_direction_iiiiii21rocsparse_index_base_PKT3_PKiS9_S4_PS5_PiSB_ ; -- Begin function _ZN9rocsparseL44csr2gebsr_wavefront_per_row_multipass_kernelILi256ELi4ELi2ELi8E21rocsparse_complex_numIdEEEv20rocsparse_direction_iiiiii21rocsparse_index_base_PKT3_PKiS9_S4_PS5_PiSB_
	.p2align	8
	.type	_ZN9rocsparseL44csr2gebsr_wavefront_per_row_multipass_kernelILi256ELi4ELi2ELi8E21rocsparse_complex_numIdEEEv20rocsparse_direction_iiiiii21rocsparse_index_base_PKT3_PKiS9_S4_PS5_PiSB_,@function
_ZN9rocsparseL44csr2gebsr_wavefront_per_row_multipass_kernelILi256ELi4ELi2ELi8E21rocsparse_complex_numIdEEEv20rocsparse_direction_iiiiii21rocsparse_index_base_PKT3_PKiS9_S4_PS5_PiSB_: ; @_ZN9rocsparseL44csr2gebsr_wavefront_per_row_multipass_kernelILi256ELi4ELi2ELi8E21rocsparse_complex_numIdEEEv20rocsparse_direction_iiiiii21rocsparse_index_base_PKT3_PKiS9_S4_PS5_PiSB_
; %bb.0:
	s_load_dwordx2 s[14:15], s[0:1], 0x0
	s_load_dwordx4 s[4:7], s[0:1], 0xc
	s_load_dword s20, s[0:1], 0x1c
	s_load_dwordx2 s[8:9], s[0:1], 0x28
	v_lshrrev_b32_e32 v14, 3, v0
	v_bfe_u32 v2, v0, 1, 2
	v_lshl_or_b32 v6, s2, 5, v14
	s_waitcnt lgkmcnt(0)
	v_mad_u64_u32 v[4:5], s[2:3], v6, s6, v[2:3]
	v_cmp_gt_i32_e64 s[2:3], s15, v4
	v_cmp_gt_i32_e32 vcc, s6, v2
	s_and_b64 s[2:3], vcc, s[2:3]
	v_mov_b32_e32 v15, 0
	v_mov_b32_e32 v10, 0
	s_and_saveexec_b64 s[10:11], s[2:3]
	s_cbranch_execz .LBB186_2
; %bb.1:
	v_ashrrev_i32_e32 v5, 31, v4
	v_lshl_add_u64 v[8:9], v[4:5], 2, s[8:9]
	global_load_dword v1, v[8:9], off
	s_waitcnt vmcnt(0)
	v_subrev_u32_e32 v10, s20, v1
.LBB186_2:
	s_or_b64 exec, exec, s[10:11]
	s_and_saveexec_b64 s[10:11], s[2:3]
	s_cbranch_execz .LBB186_4
; %bb.3:
	v_ashrrev_i32_e32 v5, 31, v4
	v_lshl_add_u64 v[4:5], v[4:5], 2, s[8:9]
	global_load_dword v1, v[4:5], off offset:4
	s_waitcnt vmcnt(0)
	v_subrev_u32_e32 v15, s20, v1
.LBB186_4:
	s_or_b64 exec, exec, s[10:11]
	s_load_dword s21, s[0:1], 0x38
	v_cmp_gt_i32_e64 s[2:3], s4, v6
	v_mov_b32_e32 v4, 0
	s_and_saveexec_b64 s[8:9], s[2:3]
	s_cbranch_execz .LBB186_6
; %bb.5:
	s_load_dwordx2 s[2:3], s[0:1], 0x48
	v_ashrrev_i32_e32 v7, 31, v6
	s_waitcnt lgkmcnt(0)
	v_lshl_add_u64 v[4:5], v[6:7], 2, s[2:3]
	global_load_dword v1, v[4:5], off
	s_waitcnt vmcnt(0)
	v_subrev_u32_e32 v4, s21, v1
.LBB186_6:
	s_or_b64 exec, exec, s[8:9]
	s_cmp_lt_i32 s5, 1
	s_cbranch_scc1 .LBB186_21
; %bb.7:
	v_and_b32_e32 v6, 1, v0
	v_and_b32_e32 v0, 0xf8, v0
	s_load_dwordx2 s[2:3], s[0:1], 0x20
	s_load_dwordx2 s[8:9], s[0:1], 0x50
	;; [unrolled: 1-line block ×4, first 2 shown]
	v_lshl_or_b32 v16, v2, 1, v0
	v_mbcnt_lo_u32_b32 v0, -1, 0
	v_mbcnt_hi_u32_b32 v0, -1, v0
	v_mov_b32_e32 v7, 0
	v_lshlrev_b32_e32 v5, 2, v0
	v_cmp_gt_u32_e64 s[0:1], s7, v6
	v_or_b32_e32 v0, v16, v6
	s_and_b64 s[12:13], vcc, s[0:1]
	v_lshlrev_b32_e32 v18, 4, v0
	v_mul_lo_u32 v0, v6, s6
	v_mov_b32_e32 v1, v7
	v_lshlrev_b32_e32 v8, 4, v2
	v_mul_lo_u32 v2, v2, s7
	s_cmp_eq_u32 s14, 0
	s_waitcnt lgkmcnt(0)
	v_lshl_add_u64 v[0:1], v[0:1], 4, s[16:17]
	v_mov_b32_e32 v9, v7
	v_ashrrev_i32_e32 v3, 31, v2
	v_lshl_add_u64 v[0:1], v[0:1], 0, v[8:9]
	v_lshl_add_u64 v[2:3], v[2:3], 4, s[16:17]
	v_lshlrev_b32_e32 v8, 4, v6
	s_cselect_b64 vcc, -1, 0
	s_abs_i32 s4, s7
	v_lshl_add_u64 v[2:3], v[2:3], 0, v[8:9]
	v_cvt_f32_u32_e32 v8, s4
	v_or_b32_e32 v17, 4, v5
	v_or_b32_e32 v19, 28, v5
	s_ashr_i32 s22, s7, 31
	v_rcp_iflag_f32_e32 v8, v8
	s_mul_hi_u32 s0, s7, s6
	s_mul_i32 s1, s22, s6
	s_add_i32 s23, s0, s1
	v_mul_f32_e32 v5, 0x4f7ffffe, v8
	v_cvt_u32_f32_e32 v5, v5
	s_sub_i32 s0, 0, s4
	v_cndmask_b32_e32 v8, v0, v2, vcc
	s_mul_i32 s6, s7, s6
	v_mul_lo_u32 v0, s0, v5
	v_mul_hi_u32 v0, v5, v0
	v_cndmask_b32_e32 v9, v1, v3, vcc
	v_add_u32_e32 v20, v5, v0
	s_mov_b64 s[14:15], 0
	v_mov_b32_e32 v0, v7
	v_mov_b32_e32 v1, v7
	;; [unrolled: 1-line block ×6, first 2 shown]
	s_branch .LBB186_10
.LBB186_8:                              ;   in Loop: Header=BB186_10 Depth=1
	s_or_b64 exec, exec, s[16:17]
	v_mov_b32_e32 v11, 1
.LBB186_9:                              ;   in Loop: Header=BB186_10 Depth=1
	s_or_b64 exec, exec, s[0:1]
	v_mov_b32_dpp v5, v22 row_shr:1 row_mask:0xf bank_mask:0xf
	v_min_i32_e32 v5, v5, v22
	v_add_u32_e32 v4, v11, v4
	s_waitcnt lgkmcnt(0)
	v_mov_b32_dpp v12, v5 row_shr:2 row_mask:0xf bank_mask:0xf
	v_min_i32_e32 v5, v12, v5
	s_nop 1
	v_mov_b32_dpp v12, v5 row_shr:4 row_mask:0xf bank_mask:0xe
	v_min_i32_e32 v5, v12, v5
	ds_bpermute_b32 v5, v19, v5
	s_waitcnt lgkmcnt(0)
	v_cmp_le_i32_e32 vcc, s5, v5
	s_or_b64 s[14:15], vcc, s[14:15]
	s_andn2_b64 exec, exec, s[14:15]
	s_cbranch_execz .LBB186_21
.LBB186_10:                             ; =>This Loop Header: Depth=1
                                        ;     Child Loop BB186_13 Depth 2
	v_add_u32_e32 v23, v10, v6
	v_cmp_lt_i32_e32 vcc, v23, v15
	v_mov_b32_e32 v22, s5
	v_mov_b32_e32 v25, v15
	ds_write_b8 v14, v7 offset:4096
	ds_write_b128 v18, v[0:3]
	s_waitcnt lgkmcnt(0)
	s_and_saveexec_b64 s[16:17], vcc
	s_cbranch_execz .LBB186_18
; %bb.11:                               ;   in Loop: Header=BB186_10 Depth=1
	v_ashrrev_i32_e32 v11, 31, v10
	v_lshl_add_u64 v[12:13], v[6:7], 0, v[10:11]
	v_mul_lo_u32 v24, v5, s7
	v_lshl_add_u64 v[10:11], v[12:13], 2, s[10:11]
	v_lshl_add_u64 v[12:13], v[12:13], 4, s[2:3]
	s_mov_b64 s[18:19], 0
	v_mov_b32_e32 v22, s5
	v_mov_b32_e32 v25, v15
	s_branch .LBB186_13
.LBB186_12:                             ;   in Loop: Header=BB186_13 Depth=2
	s_or_b64 exec, exec, s[0:1]
	v_add_u32_e32 v23, 2, v23
	v_cmp_ge_i32_e64 s[0:1], v23, v15
	s_xor_b64 s[24:25], vcc, -1
	s_or_b64 s[0:1], s[24:25], s[0:1]
	s_and_b64 s[0:1], exec, s[0:1]
	v_lshl_add_u64 v[10:11], v[10:11], 0, 8
	s_or_b64 s[18:19], s[0:1], s[18:19]
	v_lshl_add_u64 v[12:13], v[12:13], 0, 32
	s_andn2_b64 exec, exec, s[18:19]
	s_cbranch_execz .LBB186_17
.LBB186_13:                             ;   Parent Loop BB186_10 Depth=1
                                        ; =>  This Inner Loop Header: Depth=2
	global_load_dword v26, v[10:11], off
	s_waitcnt vmcnt(0)
	v_subrev_u32_e32 v26, s20, v26
	v_sub_u32_e32 v28, 0, v26
	v_max_i32_e32 v28, v26, v28
	v_mul_hi_u32 v29, v28, v20
	v_mul_lo_u32 v30, v29, s4
	v_sub_u32_e32 v28, v28, v30
	v_add_u32_e32 v31, 1, v29
	v_cmp_le_u32_e32 vcc, s4, v28
	v_subrev_u32_e32 v30, s4, v28
	v_ashrrev_i32_e32 v27, 31, v26
	v_cndmask_b32_e32 v29, v29, v31, vcc
	v_cndmask_b32_e32 v28, v28, v30, vcc
	v_add_u32_e32 v30, 1, v29
	v_cmp_le_u32_e32 vcc, s4, v28
	v_xor_b32_e32 v27, s22, v27
	s_nop 0
	v_cndmask_b32_e32 v28, v29, v30, vcc
	v_xor_b32_e32 v28, v28, v27
	v_sub_u32_e32 v28, v28, v27
	v_cmp_eq_u32_e32 vcc, v28, v5
	v_cmp_ne_u32_e64 s[0:1], v28, v5
	v_mov_b32_e32 v27, v25
	s_and_saveexec_b64 s[24:25], s[0:1]
	s_xor_b64 s[0:1], exec, s[24:25]
; %bb.14:                               ;   in Loop: Header=BB186_13 Depth=2
	v_min_i32_e32 v22, v28, v22
                                        ; implicit-def: $vgpr26
                                        ; implicit-def: $vgpr27
; %bb.15:                               ;   in Loop: Header=BB186_13 Depth=2
	s_or_saveexec_b64 s[0:1], s[0:1]
	v_mov_b32_e32 v25, v23
	s_xor_b64 exec, exec, s[0:1]
	s_cbranch_execz .LBB186_12
; %bb.16:                               ;   in Loop: Header=BB186_13 Depth=2
	global_load_dwordx4 v[28:31], v[12:13], off
	v_sub_u32_e32 v25, v26, v24
	v_add_lshl_u32 v25, v16, v25, 4
	ds_write_b8 v14, v21 offset:4096
	s_waitcnt vmcnt(0)
	ds_write2_b64 v25, v[28:29], v[30:31] offset1:1
	v_mov_b32_e32 v25, v27
	s_branch .LBB186_12
.LBB186_17:                             ;   in Loop: Header=BB186_10 Depth=1
	s_or_b64 exec, exec, s[18:19]
.LBB186_18:                             ;   in Loop: Header=BB186_10 Depth=1
	s_or_b64 exec, exec, s[16:17]
	s_waitcnt lgkmcnt(0)
	ds_read_u8 v11, v14 offset:4096
	v_mov_b32_dpp v10, v25 row_shr:1 row_mask:0xf bank_mask:0xf
	v_min_i32_e32 v10, v10, v25
	ds_bpermute_b32 v10, v17, v10
	s_waitcnt lgkmcnt(1)
	v_and_b32_e32 v11, 1, v11
	v_cmp_eq_u32_e32 vcc, 1, v11
	v_mov_b32_e32 v11, 0
	s_and_saveexec_b64 s[0:1], vcc
	s_cbranch_execz .LBB186_9
; %bb.19:                               ;   in Loop: Header=BB186_10 Depth=1
	v_add_u32_e32 v11, s21, v5
	v_ashrrev_i32_e32 v5, 31, v4
	v_lshl_add_u64 v[12:13], v[4:5], 2, s[8:9]
	global_store_dword v[12:13], v11, off
	s_and_saveexec_b64 s[16:17], s[12:13]
	s_cbranch_execz .LBB186_8
; %bb.20:                               ;   in Loop: Header=BB186_10 Depth=1
	ds_read2_b64 v[24:27], v18 offset1:1
	v_mul_lo_u32 v11, s23, v4
	v_mul_lo_u32 v5, s6, v5
	v_mad_u64_u32 v[12:13], s[18:19], s6, v4, 0
	v_add3_u32 v13, v13, v5, v11
	v_lshl_add_u64 v[12:13], v[12:13], 4, v[8:9]
	s_waitcnt lgkmcnt(0)
	global_store_dwordx4 v[12:13], v[24:27], off
	s_branch .LBB186_8
.LBB186_21:
	s_endpgm
	.section	.rodata,"a",@progbits
	.p2align	6, 0x0
	.amdhsa_kernel _ZN9rocsparseL44csr2gebsr_wavefront_per_row_multipass_kernelILi256ELi4ELi2ELi8E21rocsparse_complex_numIdEEEv20rocsparse_direction_iiiiii21rocsparse_index_base_PKT3_PKiS9_S4_PS5_PiSB_
		.amdhsa_group_segment_fixed_size 4128
		.amdhsa_private_segment_fixed_size 0
		.amdhsa_kernarg_size 88
		.amdhsa_user_sgpr_count 2
		.amdhsa_user_sgpr_dispatch_ptr 0
		.amdhsa_user_sgpr_queue_ptr 0
		.amdhsa_user_sgpr_kernarg_segment_ptr 1
		.amdhsa_user_sgpr_dispatch_id 0
		.amdhsa_user_sgpr_kernarg_preload_length 0
		.amdhsa_user_sgpr_kernarg_preload_offset 0
		.amdhsa_user_sgpr_private_segment_size 0
		.amdhsa_uses_dynamic_stack 0
		.amdhsa_enable_private_segment 0
		.amdhsa_system_sgpr_workgroup_id_x 1
		.amdhsa_system_sgpr_workgroup_id_y 0
		.amdhsa_system_sgpr_workgroup_id_z 0
		.amdhsa_system_sgpr_workgroup_info 0
		.amdhsa_system_vgpr_workitem_id 0
		.amdhsa_next_free_vgpr 32
		.amdhsa_next_free_sgpr 26
		.amdhsa_accum_offset 32
		.amdhsa_reserve_vcc 1
		.amdhsa_float_round_mode_32 0
		.amdhsa_float_round_mode_16_64 0
		.amdhsa_float_denorm_mode_32 3
		.amdhsa_float_denorm_mode_16_64 3
		.amdhsa_dx10_clamp 1
		.amdhsa_ieee_mode 1
		.amdhsa_fp16_overflow 0
		.amdhsa_tg_split 0
		.amdhsa_exception_fp_ieee_invalid_op 0
		.amdhsa_exception_fp_denorm_src 0
		.amdhsa_exception_fp_ieee_div_zero 0
		.amdhsa_exception_fp_ieee_overflow 0
		.amdhsa_exception_fp_ieee_underflow 0
		.amdhsa_exception_fp_ieee_inexact 0
		.amdhsa_exception_int_div_zero 0
	.end_amdhsa_kernel
	.section	.text._ZN9rocsparseL44csr2gebsr_wavefront_per_row_multipass_kernelILi256ELi4ELi2ELi8E21rocsparse_complex_numIdEEEv20rocsparse_direction_iiiiii21rocsparse_index_base_PKT3_PKiS9_S4_PS5_PiSB_,"axG",@progbits,_ZN9rocsparseL44csr2gebsr_wavefront_per_row_multipass_kernelILi256ELi4ELi2ELi8E21rocsparse_complex_numIdEEEv20rocsparse_direction_iiiiii21rocsparse_index_base_PKT3_PKiS9_S4_PS5_PiSB_,comdat
.Lfunc_end186:
	.size	_ZN9rocsparseL44csr2gebsr_wavefront_per_row_multipass_kernelILi256ELi4ELi2ELi8E21rocsparse_complex_numIdEEEv20rocsparse_direction_iiiiii21rocsparse_index_base_PKT3_PKiS9_S4_PS5_PiSB_, .Lfunc_end186-_ZN9rocsparseL44csr2gebsr_wavefront_per_row_multipass_kernelILi256ELi4ELi2ELi8E21rocsparse_complex_numIdEEEv20rocsparse_direction_iiiiii21rocsparse_index_base_PKT3_PKiS9_S4_PS5_PiSB_
                                        ; -- End function
	.section	.AMDGPU.csdata,"",@progbits
; Kernel info:
; codeLenInByte = 1132
; NumSgprs: 32
; NumVgprs: 32
; NumAgprs: 0
; TotalNumVgprs: 32
; ScratchSize: 0
; MemoryBound: 0
; FloatMode: 240
; IeeeMode: 1
; LDSByteSize: 4128 bytes/workgroup (compile time only)
; SGPRBlocks: 3
; VGPRBlocks: 3
; NumSGPRsForWavesPerEU: 32
; NumVGPRsForWavesPerEU: 32
; AccumOffset: 32
; Occupancy: 8
; WaveLimiterHint : 0
; COMPUTE_PGM_RSRC2:SCRATCH_EN: 0
; COMPUTE_PGM_RSRC2:USER_SGPR: 2
; COMPUTE_PGM_RSRC2:TRAP_HANDLER: 0
; COMPUTE_PGM_RSRC2:TGID_X_EN: 1
; COMPUTE_PGM_RSRC2:TGID_Y_EN: 0
; COMPUTE_PGM_RSRC2:TGID_Z_EN: 0
; COMPUTE_PGM_RSRC2:TIDIG_COMP_CNT: 0
; COMPUTE_PGM_RSRC3_GFX90A:ACCUM_OFFSET: 7
; COMPUTE_PGM_RSRC3_GFX90A:TG_SPLIT: 0
	.section	.text._ZN9rocsparseL44csr2gebsr_wavefront_per_row_multipass_kernelILi256ELi4ELi4ELi16E21rocsparse_complex_numIdEEEv20rocsparse_direction_iiiiii21rocsparse_index_base_PKT3_PKiS9_S4_PS5_PiSB_,"axG",@progbits,_ZN9rocsparseL44csr2gebsr_wavefront_per_row_multipass_kernelILi256ELi4ELi4ELi16E21rocsparse_complex_numIdEEEv20rocsparse_direction_iiiiii21rocsparse_index_base_PKT3_PKiS9_S4_PS5_PiSB_,comdat
	.globl	_ZN9rocsparseL44csr2gebsr_wavefront_per_row_multipass_kernelILi256ELi4ELi4ELi16E21rocsparse_complex_numIdEEEv20rocsparse_direction_iiiiii21rocsparse_index_base_PKT3_PKiS9_S4_PS5_PiSB_ ; -- Begin function _ZN9rocsparseL44csr2gebsr_wavefront_per_row_multipass_kernelILi256ELi4ELi4ELi16E21rocsparse_complex_numIdEEEv20rocsparse_direction_iiiiii21rocsparse_index_base_PKT3_PKiS9_S4_PS5_PiSB_
	.p2align	8
	.type	_ZN9rocsparseL44csr2gebsr_wavefront_per_row_multipass_kernelILi256ELi4ELi4ELi16E21rocsparse_complex_numIdEEEv20rocsparse_direction_iiiiii21rocsparse_index_base_PKT3_PKiS9_S4_PS5_PiSB_,@function
_ZN9rocsparseL44csr2gebsr_wavefront_per_row_multipass_kernelILi256ELi4ELi4ELi16E21rocsparse_complex_numIdEEEv20rocsparse_direction_iiiiii21rocsparse_index_base_PKT3_PKiS9_S4_PS5_PiSB_: ; @_ZN9rocsparseL44csr2gebsr_wavefront_per_row_multipass_kernelILi256ELi4ELi4ELi16E21rocsparse_complex_numIdEEEv20rocsparse_direction_iiiiii21rocsparse_index_base_PKT3_PKiS9_S4_PS5_PiSB_
; %bb.0:
	s_load_dwordx2 s[14:15], s[0:1], 0x0
	s_load_dwordx4 s[4:7], s[0:1], 0xc
	s_load_dword s20, s[0:1], 0x1c
	s_load_dwordx2 s[8:9], s[0:1], 0x28
	v_lshrrev_b32_e32 v14, 4, v0
	v_bfe_u32 v2, v0, 2, 2
	v_lshl_or_b32 v6, s2, 4, v14
	s_waitcnt lgkmcnt(0)
	v_mad_u64_u32 v[4:5], s[2:3], v6, s6, v[2:3]
	v_cmp_gt_i32_e64 s[2:3], s15, v4
	v_cmp_gt_i32_e32 vcc, s6, v2
	s_and_b64 s[2:3], vcc, s[2:3]
	v_mov_b32_e32 v15, 0
	v_mov_b32_e32 v10, 0
	s_and_saveexec_b64 s[10:11], s[2:3]
	s_cbranch_execz .LBB187_2
; %bb.1:
	v_ashrrev_i32_e32 v5, 31, v4
	v_lshl_add_u64 v[8:9], v[4:5], 2, s[8:9]
	global_load_dword v1, v[8:9], off
	s_waitcnt vmcnt(0)
	v_subrev_u32_e32 v10, s20, v1
.LBB187_2:
	s_or_b64 exec, exec, s[10:11]
	s_and_saveexec_b64 s[10:11], s[2:3]
	s_cbranch_execz .LBB187_4
; %bb.3:
	v_ashrrev_i32_e32 v5, 31, v4
	v_lshl_add_u64 v[4:5], v[4:5], 2, s[8:9]
	global_load_dword v1, v[4:5], off offset:4
	s_waitcnt vmcnt(0)
	v_subrev_u32_e32 v15, s20, v1
.LBB187_4:
	s_or_b64 exec, exec, s[10:11]
	s_load_dword s21, s[0:1], 0x38
	v_cmp_gt_i32_e64 s[2:3], s4, v6
	v_mov_b32_e32 v4, 0
	s_and_saveexec_b64 s[8:9], s[2:3]
	s_cbranch_execz .LBB187_6
; %bb.5:
	s_load_dwordx2 s[2:3], s[0:1], 0x48
	v_ashrrev_i32_e32 v7, 31, v6
	s_waitcnt lgkmcnt(0)
	v_lshl_add_u64 v[4:5], v[6:7], 2, s[2:3]
	global_load_dword v1, v[4:5], off
	s_waitcnt vmcnt(0)
	v_subrev_u32_e32 v4, s21, v1
.LBB187_6:
	s_or_b64 exec, exec, s[8:9]
	s_cmp_lt_i32 s5, 1
	s_cbranch_scc1 .LBB187_21
; %bb.7:
	v_and_b32_e32 v6, 3, v0
	v_and_b32_e32 v0, 0xf0, v0
	s_load_dwordx2 s[2:3], s[0:1], 0x20
	s_load_dwordx2 s[8:9], s[0:1], 0x50
	;; [unrolled: 1-line block ×4, first 2 shown]
	v_lshl_or_b32 v16, v2, 2, v0
	v_mbcnt_lo_u32_b32 v0, -1, 0
	v_mbcnt_hi_u32_b32 v0, -1, v0
	v_mov_b32_e32 v7, 0
	v_lshlrev_b32_e32 v5, 2, v0
	v_cmp_gt_u32_e64 s[0:1], s7, v6
	v_or_b32_e32 v0, v16, v6
	s_and_b64 s[12:13], vcc, s[0:1]
	v_lshlrev_b32_e32 v18, 4, v0
	v_mul_lo_u32 v0, v6, s6
	v_mov_b32_e32 v1, v7
	v_lshlrev_b32_e32 v8, 4, v2
	v_mul_lo_u32 v2, v2, s7
	s_cmp_eq_u32 s14, 0
	s_waitcnt lgkmcnt(0)
	v_lshl_add_u64 v[0:1], v[0:1], 4, s[16:17]
	v_mov_b32_e32 v9, v7
	v_ashrrev_i32_e32 v3, 31, v2
	v_lshl_add_u64 v[0:1], v[0:1], 0, v[8:9]
	v_lshl_add_u64 v[2:3], v[2:3], 4, s[16:17]
	v_lshlrev_b32_e32 v8, 4, v6
	s_cselect_b64 vcc, -1, 0
	s_abs_i32 s4, s7
	v_lshl_add_u64 v[2:3], v[2:3], 0, v[8:9]
	v_cvt_f32_u32_e32 v8, s4
	v_or_b32_e32 v17, 12, v5
	v_or_b32_e32 v19, 60, v5
	s_ashr_i32 s22, s7, 31
	v_rcp_iflag_f32_e32 v8, v8
	s_mul_hi_u32 s0, s7, s6
	s_mul_i32 s1, s22, s6
	s_add_i32 s23, s0, s1
	v_mul_f32_e32 v5, 0x4f7ffffe, v8
	v_cvt_u32_f32_e32 v5, v5
	s_sub_i32 s0, 0, s4
	v_cndmask_b32_e32 v8, v0, v2, vcc
	s_mul_i32 s6, s7, s6
	v_mul_lo_u32 v0, s0, v5
	v_mul_hi_u32 v0, v5, v0
	v_cndmask_b32_e32 v9, v1, v3, vcc
	v_add_u32_e32 v20, v5, v0
	s_mov_b64 s[14:15], 0
	v_mov_b32_e32 v0, v7
	v_mov_b32_e32 v1, v7
	;; [unrolled: 1-line block ×6, first 2 shown]
	s_branch .LBB187_10
.LBB187_8:                              ;   in Loop: Header=BB187_10 Depth=1
	s_or_b64 exec, exec, s[16:17]
	v_mov_b32_e32 v11, 1
.LBB187_9:                              ;   in Loop: Header=BB187_10 Depth=1
	s_or_b64 exec, exec, s[0:1]
	v_mov_b32_dpp v5, v22 row_shr:1 row_mask:0xf bank_mask:0xf
	v_min_i32_e32 v5, v5, v22
	v_add_u32_e32 v4, v11, v4
	s_waitcnt lgkmcnt(0)
	v_mov_b32_dpp v12, v5 row_shr:2 row_mask:0xf bank_mask:0xf
	v_min_i32_e32 v5, v12, v5
	s_nop 1
	v_mov_b32_dpp v12, v5 row_shr:4 row_mask:0xf bank_mask:0xe
	v_min_i32_e32 v5, v12, v5
	s_nop 1
	v_mov_b32_dpp v12, v5 row_shr:8 row_mask:0xf bank_mask:0xc
	v_min_i32_e32 v5, v12, v5
	ds_bpermute_b32 v5, v19, v5
	s_waitcnt lgkmcnt(0)
	v_cmp_le_i32_e32 vcc, s5, v5
	s_or_b64 s[14:15], vcc, s[14:15]
	s_andn2_b64 exec, exec, s[14:15]
	s_cbranch_execz .LBB187_21
.LBB187_10:                             ; =>This Loop Header: Depth=1
                                        ;     Child Loop BB187_13 Depth 2
	v_add_u32_e32 v23, v10, v6
	v_cmp_lt_i32_e32 vcc, v23, v15
	v_mov_b32_e32 v22, s5
	v_mov_b32_e32 v25, v15
	ds_write_b8 v14, v7 offset:4096
	ds_write_b128 v18, v[0:3]
	s_waitcnt lgkmcnt(0)
	s_and_saveexec_b64 s[16:17], vcc
	s_cbranch_execz .LBB187_18
; %bb.11:                               ;   in Loop: Header=BB187_10 Depth=1
	v_ashrrev_i32_e32 v11, 31, v10
	v_lshl_add_u64 v[12:13], v[6:7], 0, v[10:11]
	v_mul_lo_u32 v24, v5, s7
	v_lshl_add_u64 v[10:11], v[12:13], 2, s[10:11]
	v_lshl_add_u64 v[12:13], v[12:13], 4, s[2:3]
	s_mov_b64 s[18:19], 0
	v_mov_b32_e32 v22, s5
	v_mov_b32_e32 v25, v15
	s_branch .LBB187_13
.LBB187_12:                             ;   in Loop: Header=BB187_13 Depth=2
	s_or_b64 exec, exec, s[0:1]
	v_add_u32_e32 v23, 4, v23
	v_cmp_ge_i32_e64 s[0:1], v23, v15
	s_xor_b64 s[24:25], vcc, -1
	s_or_b64 s[0:1], s[24:25], s[0:1]
	s_and_b64 s[0:1], exec, s[0:1]
	v_lshl_add_u64 v[10:11], v[10:11], 0, 16
	s_or_b64 s[18:19], s[0:1], s[18:19]
	v_lshl_add_u64 v[12:13], v[12:13], 0, 64
	s_andn2_b64 exec, exec, s[18:19]
	s_cbranch_execz .LBB187_17
.LBB187_13:                             ;   Parent Loop BB187_10 Depth=1
                                        ; =>  This Inner Loop Header: Depth=2
	global_load_dword v26, v[10:11], off
	s_waitcnt vmcnt(0)
	v_subrev_u32_e32 v26, s20, v26
	v_sub_u32_e32 v28, 0, v26
	v_max_i32_e32 v28, v26, v28
	v_mul_hi_u32 v29, v28, v20
	v_mul_lo_u32 v30, v29, s4
	v_sub_u32_e32 v28, v28, v30
	v_add_u32_e32 v31, 1, v29
	v_cmp_le_u32_e32 vcc, s4, v28
	v_subrev_u32_e32 v30, s4, v28
	v_ashrrev_i32_e32 v27, 31, v26
	v_cndmask_b32_e32 v29, v29, v31, vcc
	v_cndmask_b32_e32 v28, v28, v30, vcc
	v_add_u32_e32 v30, 1, v29
	v_cmp_le_u32_e32 vcc, s4, v28
	v_xor_b32_e32 v27, s22, v27
	s_nop 0
	v_cndmask_b32_e32 v28, v29, v30, vcc
	v_xor_b32_e32 v28, v28, v27
	v_sub_u32_e32 v28, v28, v27
	v_cmp_eq_u32_e32 vcc, v28, v5
	v_cmp_ne_u32_e64 s[0:1], v28, v5
	v_mov_b32_e32 v27, v25
	s_and_saveexec_b64 s[24:25], s[0:1]
	s_xor_b64 s[0:1], exec, s[24:25]
; %bb.14:                               ;   in Loop: Header=BB187_13 Depth=2
	v_min_i32_e32 v22, v28, v22
                                        ; implicit-def: $vgpr26
                                        ; implicit-def: $vgpr27
; %bb.15:                               ;   in Loop: Header=BB187_13 Depth=2
	s_or_saveexec_b64 s[0:1], s[0:1]
	v_mov_b32_e32 v25, v23
	s_xor_b64 exec, exec, s[0:1]
	s_cbranch_execz .LBB187_12
; %bb.16:                               ;   in Loop: Header=BB187_13 Depth=2
	global_load_dwordx4 v[28:31], v[12:13], off
	v_sub_u32_e32 v25, v26, v24
	v_add_lshl_u32 v25, v16, v25, 4
	ds_write_b8 v14, v21 offset:4096
	s_waitcnt vmcnt(0)
	ds_write2_b64 v25, v[28:29], v[30:31] offset1:1
	v_mov_b32_e32 v25, v27
	s_branch .LBB187_12
.LBB187_17:                             ;   in Loop: Header=BB187_10 Depth=1
	s_or_b64 exec, exec, s[18:19]
.LBB187_18:                             ;   in Loop: Header=BB187_10 Depth=1
	s_or_b64 exec, exec, s[16:17]
	v_mov_b32_dpp v10, v25 row_shr:1 row_mask:0xf bank_mask:0xf
	v_min_i32_e32 v10, v10, v25
	s_waitcnt lgkmcnt(0)
	ds_read_u8 v11, v14 offset:4096
	v_mov_b32_dpp v12, v10 row_shr:2 row_mask:0xf bank_mask:0xf
	v_min_i32_e32 v10, v12, v10
	ds_bpermute_b32 v10, v17, v10
	s_waitcnt lgkmcnt(1)
	v_and_b32_e32 v11, 1, v11
	v_cmp_eq_u32_e32 vcc, 1, v11
	v_mov_b32_e32 v11, 0
	s_and_saveexec_b64 s[0:1], vcc
	s_cbranch_execz .LBB187_9
; %bb.19:                               ;   in Loop: Header=BB187_10 Depth=1
	v_add_u32_e32 v11, s21, v5
	v_ashrrev_i32_e32 v5, 31, v4
	v_lshl_add_u64 v[12:13], v[4:5], 2, s[8:9]
	global_store_dword v[12:13], v11, off
	s_and_saveexec_b64 s[16:17], s[12:13]
	s_cbranch_execz .LBB187_8
; %bb.20:                               ;   in Loop: Header=BB187_10 Depth=1
	ds_read2_b64 v[24:27], v18 offset1:1
	v_mul_lo_u32 v11, s23, v4
	v_mul_lo_u32 v5, s6, v5
	v_mad_u64_u32 v[12:13], s[18:19], s6, v4, 0
	v_add3_u32 v13, v13, v5, v11
	v_lshl_add_u64 v[12:13], v[12:13], 4, v[8:9]
	s_waitcnt lgkmcnt(0)
	global_store_dwordx4 v[12:13], v[24:27], off
	s_branch .LBB187_8
.LBB187_21:
	s_endpgm
	.section	.rodata,"a",@progbits
	.p2align	6, 0x0
	.amdhsa_kernel _ZN9rocsparseL44csr2gebsr_wavefront_per_row_multipass_kernelILi256ELi4ELi4ELi16E21rocsparse_complex_numIdEEEv20rocsparse_direction_iiiiii21rocsparse_index_base_PKT3_PKiS9_S4_PS5_PiSB_
		.amdhsa_group_segment_fixed_size 4112
		.amdhsa_private_segment_fixed_size 0
		.amdhsa_kernarg_size 88
		.amdhsa_user_sgpr_count 2
		.amdhsa_user_sgpr_dispatch_ptr 0
		.amdhsa_user_sgpr_queue_ptr 0
		.amdhsa_user_sgpr_kernarg_segment_ptr 1
		.amdhsa_user_sgpr_dispatch_id 0
		.amdhsa_user_sgpr_kernarg_preload_length 0
		.amdhsa_user_sgpr_kernarg_preload_offset 0
		.amdhsa_user_sgpr_private_segment_size 0
		.amdhsa_uses_dynamic_stack 0
		.amdhsa_enable_private_segment 0
		.amdhsa_system_sgpr_workgroup_id_x 1
		.amdhsa_system_sgpr_workgroup_id_y 0
		.amdhsa_system_sgpr_workgroup_id_z 0
		.amdhsa_system_sgpr_workgroup_info 0
		.amdhsa_system_vgpr_workitem_id 0
		.amdhsa_next_free_vgpr 32
		.amdhsa_next_free_sgpr 26
		.amdhsa_accum_offset 32
		.amdhsa_reserve_vcc 1
		.amdhsa_float_round_mode_32 0
		.amdhsa_float_round_mode_16_64 0
		.amdhsa_float_denorm_mode_32 3
		.amdhsa_float_denorm_mode_16_64 3
		.amdhsa_dx10_clamp 1
		.amdhsa_ieee_mode 1
		.amdhsa_fp16_overflow 0
		.amdhsa_tg_split 0
		.amdhsa_exception_fp_ieee_invalid_op 0
		.amdhsa_exception_fp_denorm_src 0
		.amdhsa_exception_fp_ieee_div_zero 0
		.amdhsa_exception_fp_ieee_overflow 0
		.amdhsa_exception_fp_ieee_underflow 0
		.amdhsa_exception_fp_ieee_inexact 0
		.amdhsa_exception_int_div_zero 0
	.end_amdhsa_kernel
	.section	.text._ZN9rocsparseL44csr2gebsr_wavefront_per_row_multipass_kernelILi256ELi4ELi4ELi16E21rocsparse_complex_numIdEEEv20rocsparse_direction_iiiiii21rocsparse_index_base_PKT3_PKiS9_S4_PS5_PiSB_,"axG",@progbits,_ZN9rocsparseL44csr2gebsr_wavefront_per_row_multipass_kernelILi256ELi4ELi4ELi16E21rocsparse_complex_numIdEEEv20rocsparse_direction_iiiiii21rocsparse_index_base_PKT3_PKiS9_S4_PS5_PiSB_,comdat
.Lfunc_end187:
	.size	_ZN9rocsparseL44csr2gebsr_wavefront_per_row_multipass_kernelILi256ELi4ELi4ELi16E21rocsparse_complex_numIdEEEv20rocsparse_direction_iiiiii21rocsparse_index_base_PKT3_PKiS9_S4_PS5_PiSB_, .Lfunc_end187-_ZN9rocsparseL44csr2gebsr_wavefront_per_row_multipass_kernelILi256ELi4ELi4ELi16E21rocsparse_complex_numIdEEEv20rocsparse_direction_iiiiii21rocsparse_index_base_PKT3_PKiS9_S4_PS5_PiSB_
                                        ; -- End function
	.section	.AMDGPU.csdata,"",@progbits
; Kernel info:
; codeLenInByte = 1160
; NumSgprs: 32
; NumVgprs: 32
; NumAgprs: 0
; TotalNumVgprs: 32
; ScratchSize: 0
; MemoryBound: 0
; FloatMode: 240
; IeeeMode: 1
; LDSByteSize: 4112 bytes/workgroup (compile time only)
; SGPRBlocks: 3
; VGPRBlocks: 3
; NumSGPRsForWavesPerEU: 32
; NumVGPRsForWavesPerEU: 32
; AccumOffset: 32
; Occupancy: 8
; WaveLimiterHint : 0
; COMPUTE_PGM_RSRC2:SCRATCH_EN: 0
; COMPUTE_PGM_RSRC2:USER_SGPR: 2
; COMPUTE_PGM_RSRC2:TRAP_HANDLER: 0
; COMPUTE_PGM_RSRC2:TGID_X_EN: 1
; COMPUTE_PGM_RSRC2:TGID_Y_EN: 0
; COMPUTE_PGM_RSRC2:TGID_Z_EN: 0
; COMPUTE_PGM_RSRC2:TIDIG_COMP_CNT: 0
; COMPUTE_PGM_RSRC3_GFX90A:ACCUM_OFFSET: 7
; COMPUTE_PGM_RSRC3_GFX90A:TG_SPLIT: 0
	.section	.text._ZN9rocsparseL44csr2gebsr_wavefront_per_row_multipass_kernelILi256ELi4ELi8ELi32E21rocsparse_complex_numIdEEEv20rocsparse_direction_iiiiii21rocsparse_index_base_PKT3_PKiS9_S4_PS5_PiSB_,"axG",@progbits,_ZN9rocsparseL44csr2gebsr_wavefront_per_row_multipass_kernelILi256ELi4ELi8ELi32E21rocsparse_complex_numIdEEEv20rocsparse_direction_iiiiii21rocsparse_index_base_PKT3_PKiS9_S4_PS5_PiSB_,comdat
	.globl	_ZN9rocsparseL44csr2gebsr_wavefront_per_row_multipass_kernelILi256ELi4ELi8ELi32E21rocsparse_complex_numIdEEEv20rocsparse_direction_iiiiii21rocsparse_index_base_PKT3_PKiS9_S4_PS5_PiSB_ ; -- Begin function _ZN9rocsparseL44csr2gebsr_wavefront_per_row_multipass_kernelILi256ELi4ELi8ELi32E21rocsparse_complex_numIdEEEv20rocsparse_direction_iiiiii21rocsparse_index_base_PKT3_PKiS9_S4_PS5_PiSB_
	.p2align	8
	.type	_ZN9rocsparseL44csr2gebsr_wavefront_per_row_multipass_kernelILi256ELi4ELi8ELi32E21rocsparse_complex_numIdEEEv20rocsparse_direction_iiiiii21rocsparse_index_base_PKT3_PKiS9_S4_PS5_PiSB_,@function
_ZN9rocsparseL44csr2gebsr_wavefront_per_row_multipass_kernelILi256ELi4ELi8ELi32E21rocsparse_complex_numIdEEEv20rocsparse_direction_iiiiii21rocsparse_index_base_PKT3_PKiS9_S4_PS5_PiSB_: ; @_ZN9rocsparseL44csr2gebsr_wavefront_per_row_multipass_kernelILi256ELi4ELi8ELi32E21rocsparse_complex_numIdEEEv20rocsparse_direction_iiiiii21rocsparse_index_base_PKT3_PKiS9_S4_PS5_PiSB_
; %bb.0:
	s_load_dwordx2 s[14:15], s[0:1], 0x0
	s_load_dwordx4 s[4:7], s[0:1], 0xc
	s_load_dword s22, s[0:1], 0x1c
	s_load_dwordx2 s[8:9], s[0:1], 0x28
	v_lshrrev_b32_e32 v14, 5, v0
	v_bfe_u32 v2, v0, 3, 2
	v_lshl_or_b32 v6, s2, 3, v14
	s_waitcnt lgkmcnt(0)
	v_mad_u64_u32 v[4:5], s[2:3], v6, s6, v[2:3]
	v_cmp_gt_i32_e64 s[2:3], s15, v4
	v_cmp_gt_i32_e32 vcc, s6, v2
	s_and_b64 s[2:3], vcc, s[2:3]
	v_mov_b32_e32 v15, 0
	v_mov_b32_e32 v10, 0
	s_and_saveexec_b64 s[10:11], s[2:3]
	s_cbranch_execz .LBB188_2
; %bb.1:
	v_ashrrev_i32_e32 v5, 31, v4
	v_lshl_add_u64 v[8:9], v[4:5], 2, s[8:9]
	global_load_dword v1, v[8:9], off
	s_waitcnt vmcnt(0)
	v_subrev_u32_e32 v10, s22, v1
.LBB188_2:
	s_or_b64 exec, exec, s[10:11]
	s_and_saveexec_b64 s[10:11], s[2:3]
	s_cbranch_execz .LBB188_4
; %bb.3:
	v_ashrrev_i32_e32 v5, 31, v4
	v_lshl_add_u64 v[4:5], v[4:5], 2, s[8:9]
	global_load_dword v1, v[4:5], off offset:4
	s_waitcnt vmcnt(0)
	v_subrev_u32_e32 v15, s22, v1
.LBB188_4:
	s_or_b64 exec, exec, s[10:11]
	s_load_dword s23, s[0:1], 0x38
	v_cmp_gt_i32_e64 s[2:3], s4, v6
	v_mov_b32_e32 v4, 0
	s_and_saveexec_b64 s[8:9], s[2:3]
	s_cbranch_execz .LBB188_6
; %bb.5:
	s_load_dwordx2 s[2:3], s[0:1], 0x48
	v_ashrrev_i32_e32 v7, 31, v6
	s_waitcnt lgkmcnt(0)
	v_lshl_add_u64 v[4:5], v[6:7], 2, s[2:3]
	global_load_dword v1, v[4:5], off
	s_waitcnt vmcnt(0)
	v_subrev_u32_e32 v4, s23, v1
.LBB188_6:
	s_or_b64 exec, exec, s[8:9]
	s_cmp_lt_i32 s5, 1
	s_cbranch_scc1 .LBB188_21
; %bb.7:
	v_and_b32_e32 v6, 7, v0
	v_and_b32_e32 v0, 0xe0, v0
	s_load_dwordx2 s[2:3], s[0:1], 0x20
	s_load_dwordx2 s[8:9], s[0:1], 0x50
	s_load_dwordx2 s[16:17], s[0:1], 0x40
	s_load_dwordx2 s[10:11], s[0:1], 0x30
	v_lshl_or_b32 v16, v2, 3, v0
	v_mbcnt_lo_u32_b32 v0, -1, 0
	v_mbcnt_hi_u32_b32 v0, -1, v0
	v_mov_b32_e32 v7, 0
	v_lshlrev_b32_e32 v5, 2, v0
	v_cmp_gt_u32_e64 s[0:1], s7, v6
	v_or_b32_e32 v0, v16, v6
	s_and_b64 s[12:13], vcc, s[0:1]
	v_lshlrev_b32_e32 v18, 4, v0
	v_mul_lo_u32 v0, v6, s6
	v_mov_b32_e32 v1, v7
	v_lshlrev_b32_e32 v8, 4, v2
	v_mul_lo_u32 v2, v2, s7
	s_cmp_eq_u32 s14, 0
	s_waitcnt lgkmcnt(0)
	v_lshl_add_u64 v[0:1], v[0:1], 4, s[16:17]
	v_mov_b32_e32 v9, v7
	v_ashrrev_i32_e32 v3, 31, v2
	v_lshl_add_u64 v[0:1], v[0:1], 0, v[8:9]
	v_lshl_add_u64 v[2:3], v[2:3], 4, s[16:17]
	v_lshlrev_b32_e32 v8, 4, v6
	s_cselect_b64 vcc, -1, 0
	s_abs_i32 s4, s7
	v_lshl_add_u64 v[2:3], v[2:3], 0, v[8:9]
	v_cvt_f32_u32_e32 v8, s4
	v_or_b32_e32 v17, 28, v5
	v_or_b32_e32 v19, 0x7c, v5
	s_ashr_i32 s24, s7, 31
	v_rcp_iflag_f32_e32 v8, v8
	s_mul_hi_u32 s0, s7, s6
	s_mul_i32 s1, s24, s6
	s_add_i32 s25, s0, s1
	v_mul_f32_e32 v5, 0x4f7ffffe, v8
	v_cvt_u32_f32_e32 v5, v5
	s_sub_i32 s0, 0, s4
	v_cndmask_b32_e32 v8, v0, v2, vcc
	s_mul_i32 s6, s7, s6
	v_mul_lo_u32 v0, s0, v5
	v_mul_hi_u32 v0, v5, v0
	v_cndmask_b32_e32 v9, v1, v3, vcc
	v_add_u32_e32 v20, v5, v0
	s_mov_b64 s[14:15], 0
	v_mov_b32_e32 v0, v7
	v_mov_b32_e32 v1, v7
	;; [unrolled: 1-line block ×4, first 2 shown]
	s_mov_b64 s[16:17], 0x80
	v_mov_b32_e32 v21, 1
	v_mov_b32_e32 v5, v7
	s_branch .LBB188_10
.LBB188_8:                              ;   in Loop: Header=BB188_10 Depth=1
	s_or_b64 exec, exec, s[18:19]
	v_mov_b32_e32 v11, 1
.LBB188_9:                              ;   in Loop: Header=BB188_10 Depth=1
	s_or_b64 exec, exec, s[0:1]
	v_mov_b32_dpp v5, v22 row_shr:1 row_mask:0xf bank_mask:0xf
	v_min_i32_e32 v5, v5, v22
	v_add_u32_e32 v4, v11, v4
	s_waitcnt lgkmcnt(0)
	v_mov_b32_dpp v12, v5 row_shr:2 row_mask:0xf bank_mask:0xf
	v_min_i32_e32 v5, v12, v5
	s_nop 1
	v_mov_b32_dpp v12, v5 row_shr:4 row_mask:0xf bank_mask:0xe
	v_min_i32_e32 v5, v12, v5
	s_nop 1
	;; [unrolled: 3-line block ×3, first 2 shown]
	v_mov_b32_dpp v12, v5 row_bcast:15 row_mask:0xa bank_mask:0xf
	v_min_i32_e32 v5, v12, v5
	ds_bpermute_b32 v5, v19, v5
	s_waitcnt lgkmcnt(0)
	v_cmp_le_i32_e32 vcc, s5, v5
	s_or_b64 s[14:15], vcc, s[14:15]
	s_andn2_b64 exec, exec, s[14:15]
	s_cbranch_execz .LBB188_21
.LBB188_10:                             ; =>This Loop Header: Depth=1
                                        ;     Child Loop BB188_13 Depth 2
	v_add_u32_e32 v23, v10, v6
	v_cmp_lt_i32_e32 vcc, v23, v15
	v_mov_b32_e32 v22, s5
	v_mov_b32_e32 v25, v15
	ds_write_b8 v14, v7 offset:4096
	ds_write_b128 v18, v[0:3]
	s_waitcnt lgkmcnt(0)
	s_and_saveexec_b64 s[18:19], vcc
	s_cbranch_execz .LBB188_18
; %bb.11:                               ;   in Loop: Header=BB188_10 Depth=1
	v_ashrrev_i32_e32 v11, 31, v10
	v_lshl_add_u64 v[12:13], v[6:7], 0, v[10:11]
	v_mul_lo_u32 v24, v5, s7
	v_lshl_add_u64 v[10:11], v[12:13], 2, s[10:11]
	v_lshl_add_u64 v[12:13], v[12:13], 4, s[2:3]
	s_mov_b64 s[20:21], 0
	v_mov_b32_e32 v22, s5
	v_mov_b32_e32 v25, v15
	s_branch .LBB188_13
.LBB188_12:                             ;   in Loop: Header=BB188_13 Depth=2
	s_or_b64 exec, exec, s[0:1]
	v_add_u32_e32 v23, 8, v23
	v_cmp_ge_i32_e64 s[0:1], v23, v15
	s_xor_b64 s[26:27], vcc, -1
	s_or_b64 s[0:1], s[26:27], s[0:1]
	s_and_b64 s[0:1], exec, s[0:1]
	v_lshl_add_u64 v[10:11], v[10:11], 0, 32
	s_or_b64 s[20:21], s[0:1], s[20:21]
	v_lshl_add_u64 v[12:13], v[12:13], 0, s[16:17]
	s_andn2_b64 exec, exec, s[20:21]
	s_cbranch_execz .LBB188_17
.LBB188_13:                             ;   Parent Loop BB188_10 Depth=1
                                        ; =>  This Inner Loop Header: Depth=2
	global_load_dword v26, v[10:11], off
	s_waitcnt vmcnt(0)
	v_subrev_u32_e32 v26, s22, v26
	v_sub_u32_e32 v28, 0, v26
	v_max_i32_e32 v28, v26, v28
	v_mul_hi_u32 v29, v28, v20
	v_mul_lo_u32 v30, v29, s4
	v_sub_u32_e32 v28, v28, v30
	v_add_u32_e32 v31, 1, v29
	v_cmp_le_u32_e32 vcc, s4, v28
	v_subrev_u32_e32 v30, s4, v28
	v_ashrrev_i32_e32 v27, 31, v26
	v_cndmask_b32_e32 v29, v29, v31, vcc
	v_cndmask_b32_e32 v28, v28, v30, vcc
	v_add_u32_e32 v30, 1, v29
	v_cmp_le_u32_e32 vcc, s4, v28
	v_xor_b32_e32 v27, s24, v27
	s_nop 0
	v_cndmask_b32_e32 v28, v29, v30, vcc
	v_xor_b32_e32 v28, v28, v27
	v_sub_u32_e32 v28, v28, v27
	v_cmp_eq_u32_e32 vcc, v28, v5
	v_cmp_ne_u32_e64 s[0:1], v28, v5
	v_mov_b32_e32 v27, v25
	s_and_saveexec_b64 s[26:27], s[0:1]
	s_xor_b64 s[0:1], exec, s[26:27]
; %bb.14:                               ;   in Loop: Header=BB188_13 Depth=2
	v_min_i32_e32 v22, v28, v22
                                        ; implicit-def: $vgpr26
                                        ; implicit-def: $vgpr27
; %bb.15:                               ;   in Loop: Header=BB188_13 Depth=2
	s_or_saveexec_b64 s[0:1], s[0:1]
	v_mov_b32_e32 v25, v23
	s_xor_b64 exec, exec, s[0:1]
	s_cbranch_execz .LBB188_12
; %bb.16:                               ;   in Loop: Header=BB188_13 Depth=2
	global_load_dwordx4 v[28:31], v[12:13], off
	v_sub_u32_e32 v25, v26, v24
	v_add_lshl_u32 v25, v16, v25, 4
	ds_write_b8 v14, v21 offset:4096
	s_waitcnt vmcnt(0)
	ds_write2_b64 v25, v[28:29], v[30:31] offset1:1
	v_mov_b32_e32 v25, v27
	s_branch .LBB188_12
.LBB188_17:                             ;   in Loop: Header=BB188_10 Depth=1
	s_or_b64 exec, exec, s[20:21]
.LBB188_18:                             ;   in Loop: Header=BB188_10 Depth=1
	s_or_b64 exec, exec, s[18:19]
	v_mov_b32_dpp v10, v25 row_shr:1 row_mask:0xf bank_mask:0xf
	v_min_i32_e32 v10, v10, v25
	s_waitcnt lgkmcnt(0)
	s_nop 0
	v_mov_b32_dpp v11, v10 row_shr:2 row_mask:0xf bank_mask:0xf
	v_min_i32_e32 v10, v11, v10
	ds_read_u8 v11, v14 offset:4096
	s_waitcnt lgkmcnt(0)
	v_and_b32_e32 v11, 1, v11
	v_mov_b32_dpp v12, v10 row_shr:4 row_mask:0xf bank_mask:0xe
	v_min_i32_e32 v10, v12, v10
	ds_bpermute_b32 v10, v17, v10
	v_cmp_eq_u32_e32 vcc, 1, v11
	v_mov_b32_e32 v11, 0
	s_and_saveexec_b64 s[0:1], vcc
	s_cbranch_execz .LBB188_9
; %bb.19:                               ;   in Loop: Header=BB188_10 Depth=1
	v_add_u32_e32 v11, s23, v5
	v_ashrrev_i32_e32 v5, 31, v4
	v_lshl_add_u64 v[12:13], v[4:5], 2, s[8:9]
	global_store_dword v[12:13], v11, off
	s_and_saveexec_b64 s[18:19], s[12:13]
	s_cbranch_execz .LBB188_8
; %bb.20:                               ;   in Loop: Header=BB188_10 Depth=1
	ds_read2_b64 v[24:27], v18 offset1:1
	v_mul_lo_u32 v11, s25, v4
	v_mul_lo_u32 v5, s6, v5
	v_mad_u64_u32 v[12:13], s[20:21], s6, v4, 0
	v_add3_u32 v13, v13, v5, v11
	v_lshl_add_u64 v[12:13], v[12:13], 4, v[8:9]
	s_waitcnt lgkmcnt(0)
	global_store_dwordx4 v[12:13], v[24:27], off
	s_branch .LBB188_8
.LBB188_21:
	s_endpgm
	.section	.rodata,"a",@progbits
	.p2align	6, 0x0
	.amdhsa_kernel _ZN9rocsparseL44csr2gebsr_wavefront_per_row_multipass_kernelILi256ELi4ELi8ELi32E21rocsparse_complex_numIdEEEv20rocsparse_direction_iiiiii21rocsparse_index_base_PKT3_PKiS9_S4_PS5_PiSB_
		.amdhsa_group_segment_fixed_size 4104
		.amdhsa_private_segment_fixed_size 0
		.amdhsa_kernarg_size 88
		.amdhsa_user_sgpr_count 2
		.amdhsa_user_sgpr_dispatch_ptr 0
		.amdhsa_user_sgpr_queue_ptr 0
		.amdhsa_user_sgpr_kernarg_segment_ptr 1
		.amdhsa_user_sgpr_dispatch_id 0
		.amdhsa_user_sgpr_kernarg_preload_length 0
		.amdhsa_user_sgpr_kernarg_preload_offset 0
		.amdhsa_user_sgpr_private_segment_size 0
		.amdhsa_uses_dynamic_stack 0
		.amdhsa_enable_private_segment 0
		.amdhsa_system_sgpr_workgroup_id_x 1
		.amdhsa_system_sgpr_workgroup_id_y 0
		.amdhsa_system_sgpr_workgroup_id_z 0
		.amdhsa_system_sgpr_workgroup_info 0
		.amdhsa_system_vgpr_workitem_id 0
		.amdhsa_next_free_vgpr 32
		.amdhsa_next_free_sgpr 28
		.amdhsa_accum_offset 32
		.amdhsa_reserve_vcc 1
		.amdhsa_float_round_mode_32 0
		.amdhsa_float_round_mode_16_64 0
		.amdhsa_float_denorm_mode_32 3
		.amdhsa_float_denorm_mode_16_64 3
		.amdhsa_dx10_clamp 1
		.amdhsa_ieee_mode 1
		.amdhsa_fp16_overflow 0
		.amdhsa_tg_split 0
		.amdhsa_exception_fp_ieee_invalid_op 0
		.amdhsa_exception_fp_denorm_src 0
		.amdhsa_exception_fp_ieee_div_zero 0
		.amdhsa_exception_fp_ieee_overflow 0
		.amdhsa_exception_fp_ieee_underflow 0
		.amdhsa_exception_fp_ieee_inexact 0
		.amdhsa_exception_int_div_zero 0
	.end_amdhsa_kernel
	.section	.text._ZN9rocsparseL44csr2gebsr_wavefront_per_row_multipass_kernelILi256ELi4ELi8ELi32E21rocsparse_complex_numIdEEEv20rocsparse_direction_iiiiii21rocsparse_index_base_PKT3_PKiS9_S4_PS5_PiSB_,"axG",@progbits,_ZN9rocsparseL44csr2gebsr_wavefront_per_row_multipass_kernelILi256ELi4ELi8ELi32E21rocsparse_complex_numIdEEEv20rocsparse_direction_iiiiii21rocsparse_index_base_PKT3_PKiS9_S4_PS5_PiSB_,comdat
.Lfunc_end188:
	.size	_ZN9rocsparseL44csr2gebsr_wavefront_per_row_multipass_kernelILi256ELi4ELi8ELi32E21rocsparse_complex_numIdEEEv20rocsparse_direction_iiiiii21rocsparse_index_base_PKT3_PKiS9_S4_PS5_PiSB_, .Lfunc_end188-_ZN9rocsparseL44csr2gebsr_wavefront_per_row_multipass_kernelILi256ELi4ELi8ELi32E21rocsparse_complex_numIdEEEv20rocsparse_direction_iiiiii21rocsparse_index_base_PKT3_PKiS9_S4_PS5_PiSB_
                                        ; -- End function
	.section	.AMDGPU.csdata,"",@progbits
; Kernel info:
; codeLenInByte = 1204
; NumSgprs: 34
; NumVgprs: 32
; NumAgprs: 0
; TotalNumVgprs: 32
; ScratchSize: 0
; MemoryBound: 0
; FloatMode: 240
; IeeeMode: 1
; LDSByteSize: 4104 bytes/workgroup (compile time only)
; SGPRBlocks: 4
; VGPRBlocks: 3
; NumSGPRsForWavesPerEU: 34
; NumVGPRsForWavesPerEU: 32
; AccumOffset: 32
; Occupancy: 8
; WaveLimiterHint : 0
; COMPUTE_PGM_RSRC2:SCRATCH_EN: 0
; COMPUTE_PGM_RSRC2:USER_SGPR: 2
; COMPUTE_PGM_RSRC2:TRAP_HANDLER: 0
; COMPUTE_PGM_RSRC2:TGID_X_EN: 1
; COMPUTE_PGM_RSRC2:TGID_Y_EN: 0
; COMPUTE_PGM_RSRC2:TGID_Z_EN: 0
; COMPUTE_PGM_RSRC2:TIDIG_COMP_CNT: 0
; COMPUTE_PGM_RSRC3_GFX90A:ACCUM_OFFSET: 7
; COMPUTE_PGM_RSRC3_GFX90A:TG_SPLIT: 0
	.section	.text._ZN9rocsparseL44csr2gebsr_wavefront_per_row_multipass_kernelILi256ELi4ELi16ELi64E21rocsparse_complex_numIdEEEv20rocsparse_direction_iiiiii21rocsparse_index_base_PKT3_PKiS9_S4_PS5_PiSB_,"axG",@progbits,_ZN9rocsparseL44csr2gebsr_wavefront_per_row_multipass_kernelILi256ELi4ELi16ELi64E21rocsparse_complex_numIdEEEv20rocsparse_direction_iiiiii21rocsparse_index_base_PKT3_PKiS9_S4_PS5_PiSB_,comdat
	.globl	_ZN9rocsparseL44csr2gebsr_wavefront_per_row_multipass_kernelILi256ELi4ELi16ELi64E21rocsparse_complex_numIdEEEv20rocsparse_direction_iiiiii21rocsparse_index_base_PKT3_PKiS9_S4_PS5_PiSB_ ; -- Begin function _ZN9rocsparseL44csr2gebsr_wavefront_per_row_multipass_kernelILi256ELi4ELi16ELi64E21rocsparse_complex_numIdEEEv20rocsparse_direction_iiiiii21rocsparse_index_base_PKT3_PKiS9_S4_PS5_PiSB_
	.p2align	8
	.type	_ZN9rocsparseL44csr2gebsr_wavefront_per_row_multipass_kernelILi256ELi4ELi16ELi64E21rocsparse_complex_numIdEEEv20rocsparse_direction_iiiiii21rocsparse_index_base_PKT3_PKiS9_S4_PS5_PiSB_,@function
_ZN9rocsparseL44csr2gebsr_wavefront_per_row_multipass_kernelILi256ELi4ELi16ELi64E21rocsparse_complex_numIdEEEv20rocsparse_direction_iiiiii21rocsparse_index_base_PKT3_PKiS9_S4_PS5_PiSB_: ; @_ZN9rocsparseL44csr2gebsr_wavefront_per_row_multipass_kernelILi256ELi4ELi16ELi64E21rocsparse_complex_numIdEEEv20rocsparse_direction_iiiiii21rocsparse_index_base_PKT3_PKiS9_S4_PS5_PiSB_
; %bb.0:
	s_load_dwordx2 s[14:15], s[0:1], 0x0
	s_load_dwordx4 s[4:7], s[0:1], 0xc
	s_load_dword s22, s[0:1], 0x1c
	s_load_dwordx2 s[8:9], s[0:1], 0x28
	v_lshrrev_b32_e32 v14, 6, v0
	v_bfe_u32 v2, v0, 4, 2
	v_lshl_or_b32 v6, s2, 2, v14
	s_waitcnt lgkmcnt(0)
	v_mad_u64_u32 v[4:5], s[2:3], v6, s6, v[2:3]
	v_cmp_gt_i32_e64 s[2:3], s15, v4
	v_cmp_gt_i32_e32 vcc, s6, v2
	s_and_b64 s[2:3], vcc, s[2:3]
	v_mov_b32_e32 v15, 0
	v_mov_b32_e32 v10, 0
	s_and_saveexec_b64 s[10:11], s[2:3]
	s_cbranch_execz .LBB189_2
; %bb.1:
	v_ashrrev_i32_e32 v5, 31, v4
	v_lshl_add_u64 v[8:9], v[4:5], 2, s[8:9]
	global_load_dword v1, v[8:9], off
	s_waitcnt vmcnt(0)
	v_subrev_u32_e32 v10, s22, v1
.LBB189_2:
	s_or_b64 exec, exec, s[10:11]
	s_and_saveexec_b64 s[10:11], s[2:3]
	s_cbranch_execz .LBB189_4
; %bb.3:
	v_ashrrev_i32_e32 v5, 31, v4
	v_lshl_add_u64 v[4:5], v[4:5], 2, s[8:9]
	global_load_dword v1, v[4:5], off offset:4
	s_waitcnt vmcnt(0)
	v_subrev_u32_e32 v15, s22, v1
.LBB189_4:
	s_or_b64 exec, exec, s[10:11]
	s_load_dword s23, s[0:1], 0x38
	v_cmp_gt_i32_e64 s[2:3], s4, v6
	v_mov_b32_e32 v4, 0
	s_and_saveexec_b64 s[8:9], s[2:3]
	s_cbranch_execz .LBB189_6
; %bb.5:
	s_load_dwordx2 s[2:3], s[0:1], 0x48
	v_ashrrev_i32_e32 v7, 31, v6
	s_waitcnt lgkmcnt(0)
	v_lshl_add_u64 v[4:5], v[6:7], 2, s[2:3]
	global_load_dword v1, v[4:5], off
	s_waitcnt vmcnt(0)
	v_subrev_u32_e32 v4, s23, v1
.LBB189_6:
	s_or_b64 exec, exec, s[8:9]
	s_cmp_lt_i32 s5, 1
	s_cbranch_scc1 .LBB189_21
; %bb.7:
	s_load_dwordx2 s[2:3], s[0:1], 0x20
	s_load_dwordx2 s[8:9], s[0:1], 0x50
	;; [unrolled: 1-line block ×4, first 2 shown]
	v_lshlrev_b32_e32 v8, 4, v2
	s_movk_i32 s0, 0xc0
	v_and_b32_e32 v6, 15, v0
	v_and_or_b32 v16, v0, s0, v8
	v_mbcnt_lo_u32_b32 v0, -1, 0
	v_mbcnt_hi_u32_b32 v0, -1, v0
	v_mov_b32_e32 v7, 0
	v_lshlrev_b32_e32 v5, 2, v0
	v_cmp_gt_u32_e64 s[0:1], s7, v6
	v_or_b32_e32 v0, v16, v6
	s_and_b64 s[12:13], vcc, s[0:1]
	v_lshlrev_b32_e32 v18, 4, v0
	v_mul_lo_u32 v0, v6, s6
	v_mov_b32_e32 v1, v7
	v_mul_lo_u32 v2, v2, s7
	s_cmp_eq_u32 s14, 0
	s_waitcnt lgkmcnt(0)
	v_lshl_add_u64 v[0:1], v[0:1], 4, s[16:17]
	v_mov_b32_e32 v9, v7
	v_ashrrev_i32_e32 v3, 31, v2
	v_lshl_add_u64 v[0:1], v[0:1], 0, v[8:9]
	v_lshl_add_u64 v[2:3], v[2:3], 4, s[16:17]
	v_lshlrev_b32_e32 v8, 4, v6
	s_cselect_b64 vcc, -1, 0
	s_abs_i32 s4, s7
	v_lshl_add_u64 v[2:3], v[2:3], 0, v[8:9]
	v_cvt_f32_u32_e32 v8, s4
	v_or_b32_e32 v17, 60, v5
	v_or_b32_e32 v19, 0xfc, v5
	s_ashr_i32 s24, s7, 31
	v_rcp_iflag_f32_e32 v8, v8
	s_mul_hi_u32 s0, s7, s6
	s_mul_i32 s1, s24, s6
	s_add_i32 s25, s0, s1
	v_mul_f32_e32 v5, 0x4f7ffffe, v8
	v_cvt_u32_f32_e32 v5, v5
	s_sub_i32 s0, 0, s4
	v_cndmask_b32_e32 v8, v0, v2, vcc
	s_mul_i32 s6, s7, s6
	v_mul_lo_u32 v0, s0, v5
	v_mul_hi_u32 v0, v5, v0
	v_cndmask_b32_e32 v9, v1, v3, vcc
	v_add_u32_e32 v20, v5, v0
	s_mov_b64 s[14:15], 0
	v_mov_b32_e32 v0, v7
	v_mov_b32_e32 v1, v7
	;; [unrolled: 1-line block ×4, first 2 shown]
	s_mov_b64 s[16:17], 0x100
	v_mov_b32_e32 v21, 1
	v_mov_b32_e32 v5, v7
	s_branch .LBB189_10
.LBB189_8:                              ;   in Loop: Header=BB189_10 Depth=1
	s_or_b64 exec, exec, s[18:19]
	v_mov_b32_e32 v11, 1
.LBB189_9:                              ;   in Loop: Header=BB189_10 Depth=1
	s_or_b64 exec, exec, s[0:1]
	v_mov_b32_dpp v5, v22 row_shr:1 row_mask:0xf bank_mask:0xf
	v_min_i32_e32 v5, v5, v22
	v_add_u32_e32 v4, v11, v4
	s_waitcnt lgkmcnt(0)
	v_mov_b32_dpp v12, v5 row_shr:2 row_mask:0xf bank_mask:0xf
	v_min_i32_e32 v5, v12, v5
	s_nop 1
	v_mov_b32_dpp v12, v5 row_shr:4 row_mask:0xf bank_mask:0xe
	v_min_i32_e32 v5, v12, v5
	s_nop 1
	;; [unrolled: 3-line block ×3, first 2 shown]
	v_mov_b32_dpp v12, v5 row_bcast:15 row_mask:0xa bank_mask:0xf
	v_min_i32_e32 v5, v12, v5
	s_nop 1
	v_mov_b32_dpp v12, v5 row_bcast:31 row_mask:0xc bank_mask:0xf
	v_min_i32_e32 v5, v12, v5
	ds_bpermute_b32 v5, v19, v5
	s_waitcnt lgkmcnt(0)
	v_cmp_le_i32_e32 vcc, s5, v5
	s_or_b64 s[14:15], vcc, s[14:15]
	s_andn2_b64 exec, exec, s[14:15]
	s_cbranch_execz .LBB189_21
.LBB189_10:                             ; =>This Loop Header: Depth=1
                                        ;     Child Loop BB189_13 Depth 2
	v_add_u32_e32 v23, v10, v6
	v_cmp_lt_i32_e32 vcc, v23, v15
	v_mov_b32_e32 v22, s5
	v_mov_b32_e32 v25, v15
	ds_write_b8 v14, v7 offset:4096
	ds_write_b128 v18, v[0:3]
	s_waitcnt lgkmcnt(0)
	s_and_saveexec_b64 s[18:19], vcc
	s_cbranch_execz .LBB189_18
; %bb.11:                               ;   in Loop: Header=BB189_10 Depth=1
	v_ashrrev_i32_e32 v11, 31, v10
	v_lshl_add_u64 v[12:13], v[6:7], 0, v[10:11]
	v_mul_lo_u32 v24, v5, s7
	v_lshl_add_u64 v[10:11], v[12:13], 2, s[10:11]
	v_lshl_add_u64 v[12:13], v[12:13], 4, s[2:3]
	s_mov_b64 s[20:21], 0
	v_mov_b32_e32 v22, s5
	v_mov_b32_e32 v25, v15
	s_branch .LBB189_13
.LBB189_12:                             ;   in Loop: Header=BB189_13 Depth=2
	s_or_b64 exec, exec, s[0:1]
	v_add_u32_e32 v23, 16, v23
	v_cmp_ge_i32_e64 s[0:1], v23, v15
	s_xor_b64 s[26:27], vcc, -1
	s_or_b64 s[0:1], s[26:27], s[0:1]
	s_and_b64 s[0:1], exec, s[0:1]
	v_lshl_add_u64 v[10:11], v[10:11], 0, 64
	s_or_b64 s[20:21], s[0:1], s[20:21]
	v_lshl_add_u64 v[12:13], v[12:13], 0, s[16:17]
	s_andn2_b64 exec, exec, s[20:21]
	s_cbranch_execz .LBB189_17
.LBB189_13:                             ;   Parent Loop BB189_10 Depth=1
                                        ; =>  This Inner Loop Header: Depth=2
	global_load_dword v26, v[10:11], off
	s_waitcnt vmcnt(0)
	v_subrev_u32_e32 v26, s22, v26
	v_sub_u32_e32 v28, 0, v26
	v_max_i32_e32 v28, v26, v28
	v_mul_hi_u32 v29, v28, v20
	v_mul_lo_u32 v30, v29, s4
	v_sub_u32_e32 v28, v28, v30
	v_add_u32_e32 v31, 1, v29
	v_cmp_le_u32_e32 vcc, s4, v28
	v_subrev_u32_e32 v30, s4, v28
	v_ashrrev_i32_e32 v27, 31, v26
	v_cndmask_b32_e32 v29, v29, v31, vcc
	v_cndmask_b32_e32 v28, v28, v30, vcc
	v_add_u32_e32 v30, 1, v29
	v_cmp_le_u32_e32 vcc, s4, v28
	v_xor_b32_e32 v27, s24, v27
	s_nop 0
	v_cndmask_b32_e32 v28, v29, v30, vcc
	v_xor_b32_e32 v28, v28, v27
	v_sub_u32_e32 v28, v28, v27
	v_cmp_eq_u32_e32 vcc, v28, v5
	v_cmp_ne_u32_e64 s[0:1], v28, v5
	v_mov_b32_e32 v27, v25
	s_and_saveexec_b64 s[26:27], s[0:1]
	s_xor_b64 s[0:1], exec, s[26:27]
; %bb.14:                               ;   in Loop: Header=BB189_13 Depth=2
	v_min_i32_e32 v22, v28, v22
                                        ; implicit-def: $vgpr26
                                        ; implicit-def: $vgpr27
; %bb.15:                               ;   in Loop: Header=BB189_13 Depth=2
	s_or_saveexec_b64 s[0:1], s[0:1]
	v_mov_b32_e32 v25, v23
	s_xor_b64 exec, exec, s[0:1]
	s_cbranch_execz .LBB189_12
; %bb.16:                               ;   in Loop: Header=BB189_13 Depth=2
	global_load_dwordx4 v[28:31], v[12:13], off
	v_sub_u32_e32 v25, v26, v24
	v_add_lshl_u32 v25, v16, v25, 4
	ds_write_b8 v14, v21 offset:4096
	s_waitcnt vmcnt(0)
	ds_write2_b64 v25, v[28:29], v[30:31] offset1:1
	v_mov_b32_e32 v25, v27
	s_branch .LBB189_12
.LBB189_17:                             ;   in Loop: Header=BB189_10 Depth=1
	s_or_b64 exec, exec, s[20:21]
.LBB189_18:                             ;   in Loop: Header=BB189_10 Depth=1
	s_or_b64 exec, exec, s[18:19]
	v_mov_b32_dpp v10, v25 row_shr:1 row_mask:0xf bank_mask:0xf
	v_min_i32_e32 v10, v10, v25
	s_waitcnt lgkmcnt(0)
	s_nop 0
	v_mov_b32_dpp v11, v10 row_shr:2 row_mask:0xf bank_mask:0xf
	v_min_i32_e32 v10, v11, v10
	s_nop 1
	v_mov_b32_dpp v11, v10 row_shr:4 row_mask:0xf bank_mask:0xe
	v_min_i32_e32 v10, v11, v10
	ds_read_u8 v11, v14 offset:4096
	s_waitcnt lgkmcnt(0)
	v_and_b32_e32 v11, 1, v11
	v_mov_b32_dpp v12, v10 row_shr:8 row_mask:0xf bank_mask:0xc
	v_min_i32_e32 v10, v12, v10
	ds_bpermute_b32 v10, v17, v10
	v_cmp_eq_u32_e32 vcc, 1, v11
	v_mov_b32_e32 v11, 0
	s_and_saveexec_b64 s[0:1], vcc
	s_cbranch_execz .LBB189_9
; %bb.19:                               ;   in Loop: Header=BB189_10 Depth=1
	v_add_u32_e32 v11, s23, v5
	v_ashrrev_i32_e32 v5, 31, v4
	v_lshl_add_u64 v[12:13], v[4:5], 2, s[8:9]
	global_store_dword v[12:13], v11, off
	s_and_saveexec_b64 s[18:19], s[12:13]
	s_cbranch_execz .LBB189_8
; %bb.20:                               ;   in Loop: Header=BB189_10 Depth=1
	ds_read2_b64 v[24:27], v18 offset1:1
	v_mul_lo_u32 v11, s25, v4
	v_mul_lo_u32 v5, s6, v5
	v_mad_u64_u32 v[12:13], s[20:21], s6, v4, 0
	v_add3_u32 v13, v13, v5, v11
	v_lshl_add_u64 v[12:13], v[12:13], 4, v[8:9]
	s_waitcnt lgkmcnt(0)
	global_store_dwordx4 v[12:13], v[24:27], off
	s_branch .LBB189_8
.LBB189_21:
	s_endpgm
	.section	.rodata,"a",@progbits
	.p2align	6, 0x0
	.amdhsa_kernel _ZN9rocsparseL44csr2gebsr_wavefront_per_row_multipass_kernelILi256ELi4ELi16ELi64E21rocsparse_complex_numIdEEEv20rocsparse_direction_iiiiii21rocsparse_index_base_PKT3_PKiS9_S4_PS5_PiSB_
		.amdhsa_group_segment_fixed_size 4104
		.amdhsa_private_segment_fixed_size 0
		.amdhsa_kernarg_size 88
		.amdhsa_user_sgpr_count 2
		.amdhsa_user_sgpr_dispatch_ptr 0
		.amdhsa_user_sgpr_queue_ptr 0
		.amdhsa_user_sgpr_kernarg_segment_ptr 1
		.amdhsa_user_sgpr_dispatch_id 0
		.amdhsa_user_sgpr_kernarg_preload_length 0
		.amdhsa_user_sgpr_kernarg_preload_offset 0
		.amdhsa_user_sgpr_private_segment_size 0
		.amdhsa_uses_dynamic_stack 0
		.amdhsa_enable_private_segment 0
		.amdhsa_system_sgpr_workgroup_id_x 1
		.amdhsa_system_sgpr_workgroup_id_y 0
		.amdhsa_system_sgpr_workgroup_id_z 0
		.amdhsa_system_sgpr_workgroup_info 0
		.amdhsa_system_vgpr_workitem_id 0
		.amdhsa_next_free_vgpr 32
		.amdhsa_next_free_sgpr 28
		.amdhsa_accum_offset 32
		.amdhsa_reserve_vcc 1
		.amdhsa_float_round_mode_32 0
		.amdhsa_float_round_mode_16_64 0
		.amdhsa_float_denorm_mode_32 3
		.amdhsa_float_denorm_mode_16_64 3
		.amdhsa_dx10_clamp 1
		.amdhsa_ieee_mode 1
		.amdhsa_fp16_overflow 0
		.amdhsa_tg_split 0
		.amdhsa_exception_fp_ieee_invalid_op 0
		.amdhsa_exception_fp_denorm_src 0
		.amdhsa_exception_fp_ieee_div_zero 0
		.amdhsa_exception_fp_ieee_overflow 0
		.amdhsa_exception_fp_ieee_underflow 0
		.amdhsa_exception_fp_ieee_inexact 0
		.amdhsa_exception_int_div_zero 0
	.end_amdhsa_kernel
	.section	.text._ZN9rocsparseL44csr2gebsr_wavefront_per_row_multipass_kernelILi256ELi4ELi16ELi64E21rocsparse_complex_numIdEEEv20rocsparse_direction_iiiiii21rocsparse_index_base_PKT3_PKiS9_S4_PS5_PiSB_,"axG",@progbits,_ZN9rocsparseL44csr2gebsr_wavefront_per_row_multipass_kernelILi256ELi4ELi16ELi64E21rocsparse_complex_numIdEEEv20rocsparse_direction_iiiiii21rocsparse_index_base_PKT3_PKiS9_S4_PS5_PiSB_,comdat
.Lfunc_end189:
	.size	_ZN9rocsparseL44csr2gebsr_wavefront_per_row_multipass_kernelILi256ELi4ELi16ELi64E21rocsparse_complex_numIdEEEv20rocsparse_direction_iiiiii21rocsparse_index_base_PKT3_PKiS9_S4_PS5_PiSB_, .Lfunc_end189-_ZN9rocsparseL44csr2gebsr_wavefront_per_row_multipass_kernelILi256ELi4ELi16ELi64E21rocsparse_complex_numIdEEEv20rocsparse_direction_iiiiii21rocsparse_index_base_PKT3_PKiS9_S4_PS5_PiSB_
                                        ; -- End function
	.section	.AMDGPU.csdata,"",@progbits
; Kernel info:
; codeLenInByte = 1232
; NumSgprs: 34
; NumVgprs: 32
; NumAgprs: 0
; TotalNumVgprs: 32
; ScratchSize: 0
; MemoryBound: 0
; FloatMode: 240
; IeeeMode: 1
; LDSByteSize: 4104 bytes/workgroup (compile time only)
; SGPRBlocks: 4
; VGPRBlocks: 3
; NumSGPRsForWavesPerEU: 34
; NumVGPRsForWavesPerEU: 32
; AccumOffset: 32
; Occupancy: 8
; WaveLimiterHint : 0
; COMPUTE_PGM_RSRC2:SCRATCH_EN: 0
; COMPUTE_PGM_RSRC2:USER_SGPR: 2
; COMPUTE_PGM_RSRC2:TRAP_HANDLER: 0
; COMPUTE_PGM_RSRC2:TGID_X_EN: 1
; COMPUTE_PGM_RSRC2:TGID_Y_EN: 0
; COMPUTE_PGM_RSRC2:TGID_Z_EN: 0
; COMPUTE_PGM_RSRC2:TIDIG_COMP_CNT: 0
; COMPUTE_PGM_RSRC3_GFX90A:ACCUM_OFFSET: 7
; COMPUTE_PGM_RSRC3_GFX90A:TG_SPLIT: 0
	.section	.text._ZN9rocsparseL44csr2gebsr_wavefront_per_row_multipass_kernelILi256ELi4ELi16ELi32E21rocsparse_complex_numIdEEEv20rocsparse_direction_iiiiii21rocsparse_index_base_PKT3_PKiS9_S4_PS5_PiSB_,"axG",@progbits,_ZN9rocsparseL44csr2gebsr_wavefront_per_row_multipass_kernelILi256ELi4ELi16ELi32E21rocsparse_complex_numIdEEEv20rocsparse_direction_iiiiii21rocsparse_index_base_PKT3_PKiS9_S4_PS5_PiSB_,comdat
	.globl	_ZN9rocsparseL44csr2gebsr_wavefront_per_row_multipass_kernelILi256ELi4ELi16ELi32E21rocsparse_complex_numIdEEEv20rocsparse_direction_iiiiii21rocsparse_index_base_PKT3_PKiS9_S4_PS5_PiSB_ ; -- Begin function _ZN9rocsparseL44csr2gebsr_wavefront_per_row_multipass_kernelILi256ELi4ELi16ELi32E21rocsparse_complex_numIdEEEv20rocsparse_direction_iiiiii21rocsparse_index_base_PKT3_PKiS9_S4_PS5_PiSB_
	.p2align	8
	.type	_ZN9rocsparseL44csr2gebsr_wavefront_per_row_multipass_kernelILi256ELi4ELi16ELi32E21rocsparse_complex_numIdEEEv20rocsparse_direction_iiiiii21rocsparse_index_base_PKT3_PKiS9_S4_PS5_PiSB_,@function
_ZN9rocsparseL44csr2gebsr_wavefront_per_row_multipass_kernelILi256ELi4ELi16ELi32E21rocsparse_complex_numIdEEEv20rocsparse_direction_iiiiii21rocsparse_index_base_PKT3_PKiS9_S4_PS5_PiSB_: ; @_ZN9rocsparseL44csr2gebsr_wavefront_per_row_multipass_kernelILi256ELi4ELi16ELi32E21rocsparse_complex_numIdEEEv20rocsparse_direction_iiiiii21rocsparse_index_base_PKT3_PKiS9_S4_PS5_PiSB_
; %bb.0:
	s_load_dwordx2 s[14:15], s[0:1], 0x0
	s_load_dwordx4 s[4:7], s[0:1], 0xc
	s_load_dword s26, s[0:1], 0x1c
	s_load_dwordx2 s[8:9], s[0:1], 0x28
	v_lshrrev_b32_e32 v20, 5, v0
	v_bfe_u32 v2, v0, 3, 2
	v_lshl_or_b32 v6, s2, 3, v20
	s_waitcnt lgkmcnt(0)
	v_mad_u64_u32 v[4:5], s[2:3], v6, s6, v[2:3]
	v_cmp_gt_i32_e64 s[2:3], s15, v4
	v_cmp_gt_i32_e32 vcc, s6, v2
	s_and_b64 s[2:3], vcc, s[2:3]
	v_mov_b32_e32 v21, 0
	v_mov_b32_e32 v18, 0
	s_and_saveexec_b64 s[10:11], s[2:3]
	s_cbranch_execz .LBB190_2
; %bb.1:
	v_ashrrev_i32_e32 v5, 31, v4
	v_lshl_add_u64 v[8:9], v[4:5], 2, s[8:9]
	global_load_dword v1, v[8:9], off
	s_waitcnt vmcnt(0)
	v_subrev_u32_e32 v18, s26, v1
.LBB190_2:
	s_or_b64 exec, exec, s[10:11]
	s_and_saveexec_b64 s[10:11], s[2:3]
	s_cbranch_execz .LBB190_4
; %bb.3:
	v_ashrrev_i32_e32 v5, 31, v4
	v_lshl_add_u64 v[4:5], v[4:5], 2, s[8:9]
	global_load_dword v1, v[4:5], off offset:4
	s_waitcnt vmcnt(0)
	v_subrev_u32_e32 v21, s26, v1
.LBB190_4:
	s_or_b64 exec, exec, s[10:11]
	s_load_dword s27, s[0:1], 0x38
	v_cmp_gt_i32_e64 s[2:3], s4, v6
	v_mov_b32_e32 v4, 0
	s_and_saveexec_b64 s[8:9], s[2:3]
	s_cbranch_execz .LBB190_6
; %bb.5:
	s_load_dwordx2 s[2:3], s[0:1], 0x48
	v_ashrrev_i32_e32 v7, 31, v6
	s_waitcnt lgkmcnt(0)
	v_lshl_add_u64 v[4:5], v[6:7], 2, s[2:3]
	global_load_dword v1, v[4:5], off
	s_waitcnt vmcnt(0)
	v_subrev_u32_e32 v4, s27, v1
.LBB190_6:
	s_or_b64 exec, exec, s[8:9]
	s_cmp_lt_i32 s5, 1
	s_cbranch_scc1 .LBB190_32
; %bb.7:
	s_load_dwordx2 s[8:9], s[0:1], 0x20
	s_load_dwordx2 s[10:11], s[0:1], 0x50
	;; [unrolled: 1-line block ×4, first 2 shown]
	v_and_b32_e32 v22, 7, v0
	v_mbcnt_lo_u32_b32 v0, -1, 0
	v_mbcnt_hi_u32_b32 v0, -1, v0
	v_lshlrev_b32_e32 v3, 2, v0
	v_mul_lo_u32 v0, v2, s7
	v_lshlrev_b32_e32 v6, 4, v2
	v_mov_b32_e32 v7, 0
	s_cmp_lg_u32 s14, 0
	v_ashrrev_i32_e32 v1, 31, v0
	v_lshl_or_b32 v23, v20, 6, v6
	s_cselect_b64 s[14:15], -1, 0
	s_waitcnt lgkmcnt(0)
	v_lshl_add_u64 v[8:9], s[2:3], 0, v[6:7]
	v_lshl_add_u64 v[0:1], v[0:1], 4, s[2:3]
	v_lshlrev_b32_e32 v6, 4, v22
	s_abs_i32 s30, s7
	v_lshl_add_u64 v[10:11], v[0:1], 0, v[6:7]
	v_cvt_f32_u32_e32 v0, s30
	s_ashr_i32 s4, s7, 31
	s_mul_hi_u32 s0, s7, s6
	s_mul_i32 s1, s4, s6
	v_rcp_iflag_f32_e32 v0, v0
	s_add_i32 s28, s0, s1
	v_cmp_gt_u32_e64 s[0:1], s7, v22
	v_or_b32_e32 v1, 8, v22
	v_mul_f32_e32 v0, 0x4f7ffffe, v0
	v_cvt_u32_f32_e32 v0, v0
	s_and_b64 s[16:17], s[0:1], vcc
	s_sub_i32 s0, 0, s30
	v_or_b32_e32 v5, v23, v22
	v_cmp_gt_u32_e64 s[2:3], s7, v1
	v_mul_lo_u32 v1, s0, v0
	v_lshlrev_b32_e32 v26, 4, v5
	v_mul_lo_u32 v6, v22, s6
	v_mul_hi_u32 v1, v0, v1
	v_or_b32_e32 v24, 28, v3
	s_mul_i32 s29, s7, s6
	v_or_b32_e32 v25, 0x7c, v3
	v_or_b32_e32 v27, 0x80, v26
	v_lshl_add_u32 v12, s6, 3, v6
	v_mov_b32_e32 v13, v7
	s_and_b64 s[2:3], vcc, s[2:3]
	v_add_u32_e32 v28, v0, v1
	v_or_b32_e32 v29, -8, v22
	s_mov_b64 s[18:19], 0
	v_mov_b32_e32 v0, v7
	v_mov_b32_e32 v1, v7
	;; [unrolled: 1-line block ×4, first 2 shown]
	s_mov_b64 s[20:21], 0x80
	v_mov_b32_e32 v30, 1
	v_mov_b32_e32 v5, v7
	s_branch .LBB190_11
.LBB190_8:                              ;   in Loop: Header=BB190_11 Depth=1
	v_mov_b32_e32 v19, s6
.LBB190_9:                              ;   in Loop: Header=BB190_11 Depth=1
	s_or_b64 exec, exec, s[22:23]
.LBB190_10:                             ;   in Loop: Header=BB190_11 Depth=1
	s_or_b64 exec, exec, s[0:1]
	v_mov_b32_dpp v5, v31 row_shr:1 row_mask:0xf bank_mask:0xf
	v_min_i32_e32 v5, v5, v31
	v_add_u32_e32 v4, v19, v4
	s_waitcnt lgkmcnt(0)
	v_mov_b32_dpp v14, v5 row_shr:2 row_mask:0xf bank_mask:0xf
	v_min_i32_e32 v5, v14, v5
	s_nop 1
	v_mov_b32_dpp v14, v5 row_shr:4 row_mask:0xf bank_mask:0xe
	v_min_i32_e32 v5, v14, v5
	s_nop 1
	;; [unrolled: 3-line block ×3, first 2 shown]
	v_mov_b32_dpp v14, v5 row_bcast:15 row_mask:0xa bank_mask:0xf
	v_min_i32_e32 v5, v14, v5
	ds_bpermute_b32 v5, v25, v5
	s_waitcnt lgkmcnt(0)
	v_cmp_le_i32_e32 vcc, s5, v5
	s_or_b64 s[18:19], vcc, s[18:19]
	s_andn2_b64 exec, exec, s[18:19]
	s_cbranch_execz .LBB190_32
.LBB190_11:                             ; =>This Loop Header: Depth=1
                                        ;     Child Loop BB190_12 Depth 2
                                        ;     Child Loop BB190_16 Depth 2
	s_mov_b64 s[0:1], 0
	v_mov_b32_e32 v14, v26
	v_mov_b32_e32 v15, v29
	ds_write_b8 v20, v7 offset:8192
.LBB190_12:                             ;   Parent Loop BB190_11 Depth=1
                                        ; =>  This Inner Loop Header: Depth=2
	v_add_co_u32_e32 v15, vcc, 8, v15
	s_xor_b64 s[22:23], vcc, -1
	s_and_b64 s[22:23], exec, s[22:23]
	ds_write_b128 v14, v[0:3]
	s_or_b64 s[0:1], s[22:23], s[0:1]
	v_add_u32_e32 v14, 0x80, v14
	s_andn2_b64 exec, exec, s[0:1]
	s_cbranch_execnz .LBB190_12
; %bb.13:                               ;   in Loop: Header=BB190_11 Depth=1
	s_or_b64 exec, exec, s[0:1]
	v_add_u32_e32 v14, v18, v22
	v_cmp_lt_i32_e32 vcc, v14, v21
	v_mov_b32_e32 v31, s5
	v_mov_b32_e32 v15, v21
	s_waitcnt lgkmcnt(0)
	s_and_saveexec_b64 s[22:23], vcc
	s_cbranch_execz .LBB190_21
; %bb.14:                               ;   in Loop: Header=BB190_11 Depth=1
	v_ashrrev_i32_e32 v15, 31, v14
	v_mul_lo_u32 v32, v5, s7
	v_lshl_add_u64 v[16:17], v[14:15], 2, s[12:13]
	v_lshl_add_u64 v[18:19], v[14:15], 4, s[8:9]
	s_mov_b64 s[24:25], 0
	v_mov_b32_e32 v31, s5
	v_mov_b32_e32 v15, v21
	s_branch .LBB190_16
.LBB190_15:                             ;   in Loop: Header=BB190_16 Depth=2
	s_or_b64 exec, exec, s[0:1]
	v_add_u32_e32 v14, 8, v14
	v_cmp_ge_i32_e64 s[0:1], v14, v21
	s_xor_b64 s[34:35], vcc, -1
	s_or_b64 s[0:1], s[34:35], s[0:1]
	s_and_b64 s[0:1], exec, s[0:1]
	v_lshl_add_u64 v[16:17], v[16:17], 0, 32
	s_or_b64 s[24:25], s[0:1], s[24:25]
	v_lshl_add_u64 v[18:19], v[18:19], 0, s[20:21]
	s_andn2_b64 exec, exec, s[24:25]
	s_cbranch_execz .LBB190_20
.LBB190_16:                             ;   Parent Loop BB190_11 Depth=1
                                        ; =>  This Inner Loop Header: Depth=2
	global_load_dword v33, v[16:17], off
	s_waitcnt vmcnt(0)
	v_subrev_u32_e32 v33, s26, v33
	v_sub_u32_e32 v35, 0, v33
	v_max_i32_e32 v35, v33, v35
	v_mul_hi_u32 v36, v35, v28
	v_mul_lo_u32 v37, v36, s30
	v_sub_u32_e32 v35, v35, v37
	v_add_u32_e32 v38, 1, v36
	v_cmp_le_u32_e32 vcc, s30, v35
	v_subrev_u32_e32 v37, s30, v35
	v_ashrrev_i32_e32 v34, 31, v33
	v_cndmask_b32_e32 v36, v36, v38, vcc
	v_cndmask_b32_e32 v35, v35, v37, vcc
	v_add_u32_e32 v37, 1, v36
	v_cmp_le_u32_e32 vcc, s30, v35
	v_xor_b32_e32 v34, s4, v34
	s_nop 0
	v_cndmask_b32_e32 v35, v36, v37, vcc
	v_xor_b32_e32 v35, v35, v34
	v_sub_u32_e32 v35, v35, v34
	v_cmp_eq_u32_e32 vcc, v35, v5
	v_cmp_ne_u32_e64 s[0:1], v35, v5
	v_mov_b32_e32 v34, v15
	s_and_saveexec_b64 s[34:35], s[0:1]
	s_xor_b64 s[0:1], exec, s[34:35]
; %bb.17:                               ;   in Loop: Header=BB190_16 Depth=2
	v_min_i32_e32 v31, v35, v31
                                        ; implicit-def: $vgpr33
                                        ; implicit-def: $vgpr34
; %bb.18:                               ;   in Loop: Header=BB190_16 Depth=2
	s_or_saveexec_b64 s[0:1], s[0:1]
	v_mov_b32_e32 v15, v14
	s_xor_b64 exec, exec, s[0:1]
	s_cbranch_execz .LBB190_15
; %bb.19:                               ;   in Loop: Header=BB190_16 Depth=2
	global_load_dwordx4 v[36:39], v[18:19], off
	v_sub_u32_e32 v15, v33, v32
	v_add_lshl_u32 v15, v23, v15, 4
	ds_write_b8 v20, v30 offset:8192
	s_waitcnt vmcnt(0)
	ds_write2_b64 v15, v[36:37], v[38:39] offset1:1
	v_mov_b32_e32 v15, v34
	s_branch .LBB190_15
.LBB190_20:                             ;   in Loop: Header=BB190_11 Depth=1
	s_or_b64 exec, exec, s[24:25]
.LBB190_21:                             ;   in Loop: Header=BB190_11 Depth=1
	s_or_b64 exec, exec, s[22:23]
	v_mov_b32_dpp v14, v15 row_shr:1 row_mask:0xf bank_mask:0xf
	v_min_i32_e32 v14, v14, v15
	s_waitcnt lgkmcnt(0)
	v_mov_b32_e32 v19, 0
	v_mov_b32_dpp v15, v14 row_shr:2 row_mask:0xf bank_mask:0xf
	v_min_i32_e32 v14, v15, v14
	ds_read_u8 v15, v20 offset:8192
	s_nop 0
	v_mov_b32_dpp v16, v14 row_shr:4 row_mask:0xf bank_mask:0xe
	v_min_i32_e32 v14, v16, v14
	ds_bpermute_b32 v18, v24, v14
	s_waitcnt lgkmcnt(1)
	v_and_b32_e32 v14, 1, v15
	v_cmp_eq_u32_e32 vcc, 1, v14
	s_and_saveexec_b64 s[0:1], vcc
	s_cbranch_execz .LBB190_10
; %bb.22:                               ;   in Loop: Header=BB190_11 Depth=1
	v_add_u32_e32 v16, s27, v5
	v_ashrrev_i32_e32 v5, 31, v4
	v_lshl_add_u64 v[14:15], v[4:5], 2, s[10:11]
	global_store_dword v[14:15], v16, off
	v_mul_lo_u32 v16, s28, v4
	v_mul_lo_u32 v5, s29, v5
	v_mad_u64_u32 v[14:15], s[22:23], s29, v4, 0
	v_add3_u32 v15, v15, v5, v16
	v_lshlrev_b64 v[14:15], 4, v[14:15]
	v_lshl_add_u64 v[16:17], v[8:9], 0, v[14:15]
	v_lshl_add_u64 v[14:15], v[10:11], 0, v[14:15]
	s_and_saveexec_b64 s[22:23], s[16:17]
	s_cbranch_execz .LBB190_26
; %bb.23:                               ;   in Loop: Header=BB190_11 Depth=1
	s_and_b64 vcc, exec, s[14:15]
	s_cbranch_vccz .LBB190_29
; %bb.24:                               ;   in Loop: Header=BB190_11 Depth=1
	ds_read2_b64 v[32:35], v26 offset1:1
	v_lshl_add_u64 v[36:37], v[6:7], 4, v[16:17]
	s_waitcnt lgkmcnt(0)
	global_store_dwordx4 v[36:37], v[32:35], off
	s_cbranch_execnz .LBB190_26
.LBB190_25:                             ;   in Loop: Header=BB190_11 Depth=1
	ds_read2_b64 v[32:35], v26 offset1:1
	s_waitcnt lgkmcnt(0)
	global_store_dwordx4 v[14:15], v[32:35], off
.LBB190_26:                             ;   in Loop: Header=BB190_11 Depth=1
	s_or_b64 exec, exec, s[22:23]
	v_mov_b32_e32 v19, 1
	s_and_saveexec_b64 s[22:23], s[2:3]
	s_cbranch_execz .LBB190_9
; %bb.27:                               ;   in Loop: Header=BB190_11 Depth=1
	s_andn2_b64 vcc, exec, s[14:15]
	s_cbranch_vccnz .LBB190_30
; %bb.28:                               ;   in Loop: Header=BB190_11 Depth=1
	ds_read2_b64 v[32:35], v27 offset1:1
	v_lshl_add_u64 v[16:17], v[12:13], 4, v[16:17]
	s_mov_b32 s6, 1
	s_waitcnt lgkmcnt(0)
	global_store_dwordx4 v[16:17], v[32:35], off
	s_cbranch_execnz .LBB190_8
	s_branch .LBB190_31
.LBB190_29:                             ;   in Loop: Header=BB190_11 Depth=1
	s_branch .LBB190_25
.LBB190_30:                             ;   in Loop: Header=BB190_11 Depth=1
                                        ; implicit-def: $sgpr6
.LBB190_31:                             ;   in Loop: Header=BB190_11 Depth=1
	ds_read2_b64 v[32:35], v27 offset1:1
	s_mov_b32 s6, 1
	s_waitcnt lgkmcnt(0)
	global_store_dwordx4 v[14:15], v[32:35], off offset:128
	s_branch .LBB190_8
.LBB190_32:
	s_endpgm
	.section	.rodata,"a",@progbits
	.p2align	6, 0x0
	.amdhsa_kernel _ZN9rocsparseL44csr2gebsr_wavefront_per_row_multipass_kernelILi256ELi4ELi16ELi32E21rocsparse_complex_numIdEEEv20rocsparse_direction_iiiiii21rocsparse_index_base_PKT3_PKiS9_S4_PS5_PiSB_
		.amdhsa_group_segment_fixed_size 8200
		.amdhsa_private_segment_fixed_size 0
		.amdhsa_kernarg_size 88
		.amdhsa_user_sgpr_count 2
		.amdhsa_user_sgpr_dispatch_ptr 0
		.amdhsa_user_sgpr_queue_ptr 0
		.amdhsa_user_sgpr_kernarg_segment_ptr 1
		.amdhsa_user_sgpr_dispatch_id 0
		.amdhsa_user_sgpr_kernarg_preload_length 0
		.amdhsa_user_sgpr_kernarg_preload_offset 0
		.amdhsa_user_sgpr_private_segment_size 0
		.amdhsa_uses_dynamic_stack 0
		.amdhsa_enable_private_segment 0
		.amdhsa_system_sgpr_workgroup_id_x 1
		.amdhsa_system_sgpr_workgroup_id_y 0
		.amdhsa_system_sgpr_workgroup_id_z 0
		.amdhsa_system_sgpr_workgroup_info 0
		.amdhsa_system_vgpr_workitem_id 0
		.amdhsa_next_free_vgpr 40
		.amdhsa_next_free_sgpr 36
		.amdhsa_accum_offset 40
		.amdhsa_reserve_vcc 1
		.amdhsa_float_round_mode_32 0
		.amdhsa_float_round_mode_16_64 0
		.amdhsa_float_denorm_mode_32 3
		.amdhsa_float_denorm_mode_16_64 3
		.amdhsa_dx10_clamp 1
		.amdhsa_ieee_mode 1
		.amdhsa_fp16_overflow 0
		.amdhsa_tg_split 0
		.amdhsa_exception_fp_ieee_invalid_op 0
		.amdhsa_exception_fp_denorm_src 0
		.amdhsa_exception_fp_ieee_div_zero 0
		.amdhsa_exception_fp_ieee_overflow 0
		.amdhsa_exception_fp_ieee_underflow 0
		.amdhsa_exception_fp_ieee_inexact 0
		.amdhsa_exception_int_div_zero 0
	.end_amdhsa_kernel
	.section	.text._ZN9rocsparseL44csr2gebsr_wavefront_per_row_multipass_kernelILi256ELi4ELi16ELi32E21rocsparse_complex_numIdEEEv20rocsparse_direction_iiiiii21rocsparse_index_base_PKT3_PKiS9_S4_PS5_PiSB_,"axG",@progbits,_ZN9rocsparseL44csr2gebsr_wavefront_per_row_multipass_kernelILi256ELi4ELi16ELi32E21rocsparse_complex_numIdEEEv20rocsparse_direction_iiiiii21rocsparse_index_base_PKT3_PKiS9_S4_PS5_PiSB_,comdat
.Lfunc_end190:
	.size	_ZN9rocsparseL44csr2gebsr_wavefront_per_row_multipass_kernelILi256ELi4ELi16ELi32E21rocsparse_complex_numIdEEEv20rocsparse_direction_iiiiii21rocsparse_index_base_PKT3_PKiS9_S4_PS5_PiSB_, .Lfunc_end190-_ZN9rocsparseL44csr2gebsr_wavefront_per_row_multipass_kernelILi256ELi4ELi16ELi32E21rocsparse_complex_numIdEEEv20rocsparse_direction_iiiiii21rocsparse_index_base_PKT3_PKiS9_S4_PS5_PiSB_
                                        ; -- End function
	.section	.AMDGPU.csdata,"",@progbits
; Kernel info:
; codeLenInByte = 1400
; NumSgprs: 42
; NumVgprs: 40
; NumAgprs: 0
; TotalNumVgprs: 40
; ScratchSize: 0
; MemoryBound: 0
; FloatMode: 240
; IeeeMode: 1
; LDSByteSize: 8200 bytes/workgroup (compile time only)
; SGPRBlocks: 5
; VGPRBlocks: 4
; NumSGPRsForWavesPerEU: 42
; NumVGPRsForWavesPerEU: 40
; AccumOffset: 40
; Occupancy: 7
; WaveLimiterHint : 0
; COMPUTE_PGM_RSRC2:SCRATCH_EN: 0
; COMPUTE_PGM_RSRC2:USER_SGPR: 2
; COMPUTE_PGM_RSRC2:TRAP_HANDLER: 0
; COMPUTE_PGM_RSRC2:TGID_X_EN: 1
; COMPUTE_PGM_RSRC2:TGID_Y_EN: 0
; COMPUTE_PGM_RSRC2:TGID_Z_EN: 0
; COMPUTE_PGM_RSRC2:TIDIG_COMP_CNT: 0
; COMPUTE_PGM_RSRC3_GFX90A:ACCUM_OFFSET: 9
; COMPUTE_PGM_RSRC3_GFX90A:TG_SPLIT: 0
	.section	.text._ZN9rocsparseL44csr2gebsr_wavefront_per_row_multipass_kernelILi256ELi4ELi32ELi64E21rocsparse_complex_numIdEEEv20rocsparse_direction_iiiiii21rocsparse_index_base_PKT3_PKiS9_S4_PS5_PiSB_,"axG",@progbits,_ZN9rocsparseL44csr2gebsr_wavefront_per_row_multipass_kernelILi256ELi4ELi32ELi64E21rocsparse_complex_numIdEEEv20rocsparse_direction_iiiiii21rocsparse_index_base_PKT3_PKiS9_S4_PS5_PiSB_,comdat
	.globl	_ZN9rocsparseL44csr2gebsr_wavefront_per_row_multipass_kernelILi256ELi4ELi32ELi64E21rocsparse_complex_numIdEEEv20rocsparse_direction_iiiiii21rocsparse_index_base_PKT3_PKiS9_S4_PS5_PiSB_ ; -- Begin function _ZN9rocsparseL44csr2gebsr_wavefront_per_row_multipass_kernelILi256ELi4ELi32ELi64E21rocsparse_complex_numIdEEEv20rocsparse_direction_iiiiii21rocsparse_index_base_PKT3_PKiS9_S4_PS5_PiSB_
	.p2align	8
	.type	_ZN9rocsparseL44csr2gebsr_wavefront_per_row_multipass_kernelILi256ELi4ELi32ELi64E21rocsparse_complex_numIdEEEv20rocsparse_direction_iiiiii21rocsparse_index_base_PKT3_PKiS9_S4_PS5_PiSB_,@function
_ZN9rocsparseL44csr2gebsr_wavefront_per_row_multipass_kernelILi256ELi4ELi32ELi64E21rocsparse_complex_numIdEEEv20rocsparse_direction_iiiiii21rocsparse_index_base_PKT3_PKiS9_S4_PS5_PiSB_: ; @_ZN9rocsparseL44csr2gebsr_wavefront_per_row_multipass_kernelILi256ELi4ELi32ELi64E21rocsparse_complex_numIdEEEv20rocsparse_direction_iiiiii21rocsparse_index_base_PKT3_PKiS9_S4_PS5_PiSB_
; %bb.0:
	s_load_dwordx2 s[14:15], s[0:1], 0x0
	s_load_dwordx4 s[4:7], s[0:1], 0xc
	s_load_dword s26, s[0:1], 0x1c
	s_load_dwordx2 s[8:9], s[0:1], 0x28
	v_lshrrev_b32_e32 v20, 6, v0
	v_bfe_u32 v2, v0, 4, 2
	v_lshl_or_b32 v6, s2, 2, v20
	s_waitcnt lgkmcnt(0)
	v_mad_u64_u32 v[4:5], s[2:3], v6, s6, v[2:3]
	v_cmp_gt_i32_e64 s[2:3], s15, v4
	v_cmp_gt_i32_e32 vcc, s6, v2
	s_and_b64 s[2:3], vcc, s[2:3]
	v_mov_b32_e32 v21, 0
	v_mov_b32_e32 v18, 0
	s_and_saveexec_b64 s[10:11], s[2:3]
	s_cbranch_execz .LBB191_2
; %bb.1:
	v_ashrrev_i32_e32 v5, 31, v4
	v_lshl_add_u64 v[8:9], v[4:5], 2, s[8:9]
	global_load_dword v1, v[8:9], off
	s_waitcnt vmcnt(0)
	v_subrev_u32_e32 v18, s26, v1
.LBB191_2:
	s_or_b64 exec, exec, s[10:11]
	s_and_saveexec_b64 s[10:11], s[2:3]
	s_cbranch_execz .LBB191_4
; %bb.3:
	v_ashrrev_i32_e32 v5, 31, v4
	v_lshl_add_u64 v[4:5], v[4:5], 2, s[8:9]
	global_load_dword v1, v[4:5], off offset:4
	s_waitcnt vmcnt(0)
	v_subrev_u32_e32 v21, s26, v1
.LBB191_4:
	s_or_b64 exec, exec, s[10:11]
	s_load_dword s27, s[0:1], 0x38
	v_cmp_gt_i32_e64 s[2:3], s4, v6
	v_mov_b32_e32 v4, 0
	s_and_saveexec_b64 s[8:9], s[2:3]
	s_cbranch_execz .LBB191_6
; %bb.5:
	s_load_dwordx2 s[2:3], s[0:1], 0x48
	v_ashrrev_i32_e32 v7, 31, v6
	s_waitcnt lgkmcnt(0)
	v_lshl_add_u64 v[4:5], v[6:7], 2, s[2:3]
	global_load_dword v1, v[4:5], off
	s_waitcnt vmcnt(0)
	v_subrev_u32_e32 v4, s27, v1
.LBB191_6:
	s_or_b64 exec, exec, s[8:9]
	s_cmp_lt_i32 s5, 1
	s_cbranch_scc1 .LBB191_32
; %bb.7:
	v_and_b32_e32 v22, 15, v0
	v_lshlrev_b32_e32 v0, 7, v20
	s_load_dwordx2 s[8:9], s[0:1], 0x20
	s_load_dwordx2 s[10:11], s[0:1], 0x50
	;; [unrolled: 1-line block ×4, first 2 shown]
	v_lshl_or_b32 v23, v2, 5, v0
	v_mbcnt_lo_u32_b32 v0, -1, 0
	v_mbcnt_hi_u32_b32 v0, -1, v0
	v_lshlrev_b32_e32 v3, 2, v0
	v_mul_lo_u32 v0, v2, s7
	v_mov_b32_e32 v7, 0
	s_cmp_lg_u32 s14, 0
	v_lshlrev_b32_e32 v6, 4, v2
	v_ashrrev_i32_e32 v1, 31, v0
	s_cselect_b64 s[14:15], -1, 0
	s_waitcnt lgkmcnt(0)
	v_lshl_add_u64 v[8:9], s[2:3], 0, v[6:7]
	v_lshl_add_u64 v[0:1], v[0:1], 4, s[2:3]
	v_lshlrev_b32_e32 v6, 4, v22
	s_abs_i32 s30, s7
	v_lshl_add_u64 v[10:11], v[0:1], 0, v[6:7]
	v_cvt_f32_u32_e32 v0, s30
	s_ashr_i32 s4, s7, 31
	s_mul_hi_u32 s0, s7, s6
	s_mul_i32 s1, s4, s6
	v_rcp_iflag_f32_e32 v0, v0
	s_add_i32 s28, s0, s1
	v_cmp_gt_u32_e64 s[0:1], s7, v22
	v_or_b32_e32 v1, 16, v22
	v_mul_f32_e32 v0, 0x4f7ffffe, v0
	v_cvt_u32_f32_e32 v0, v0
	s_and_b64 s[16:17], s[0:1], vcc
	s_sub_i32 s0, 0, s30
	v_or_b32_e32 v5, v23, v22
	v_cmp_gt_u32_e64 s[2:3], s7, v1
	v_mul_lo_u32 v1, s0, v0
	v_lshlrev_b32_e32 v26, 4, v5
	v_mul_lo_u32 v6, v22, s6
	v_mul_hi_u32 v1, v0, v1
	v_or_b32_e32 v24, 60, v3
	s_mul_i32 s29, s7, s6
	v_or_b32_e32 v25, 0xfc, v3
	v_or_b32_e32 v27, 0x100, v26
	v_lshl_add_u32 v12, s6, 4, v6
	v_mov_b32_e32 v13, v7
	s_and_b64 s[2:3], vcc, s[2:3]
	v_add_u32_e32 v28, v0, v1
	v_or_b32_e32 v29, -16, v22
	s_mov_b64 s[18:19], 0
	v_mov_b32_e32 v0, v7
	v_mov_b32_e32 v1, v7
	;; [unrolled: 1-line block ×4, first 2 shown]
	s_mov_b64 s[20:21], 0x100
	v_mov_b32_e32 v30, 1
	v_mov_b32_e32 v5, v7
	s_branch .LBB191_11
.LBB191_8:                              ;   in Loop: Header=BB191_11 Depth=1
	v_mov_b32_e32 v19, s6
.LBB191_9:                              ;   in Loop: Header=BB191_11 Depth=1
	s_or_b64 exec, exec, s[22:23]
.LBB191_10:                             ;   in Loop: Header=BB191_11 Depth=1
	s_or_b64 exec, exec, s[0:1]
	v_mov_b32_dpp v5, v31 row_shr:1 row_mask:0xf bank_mask:0xf
	v_min_i32_e32 v5, v5, v31
	v_add_u32_e32 v4, v19, v4
	s_waitcnt lgkmcnt(0)
	v_mov_b32_dpp v14, v5 row_shr:2 row_mask:0xf bank_mask:0xf
	v_min_i32_e32 v5, v14, v5
	s_nop 1
	v_mov_b32_dpp v14, v5 row_shr:4 row_mask:0xf bank_mask:0xe
	v_min_i32_e32 v5, v14, v5
	s_nop 1
	;; [unrolled: 3-line block ×3, first 2 shown]
	v_mov_b32_dpp v14, v5 row_bcast:15 row_mask:0xa bank_mask:0xf
	v_min_i32_e32 v5, v14, v5
	s_nop 1
	v_mov_b32_dpp v14, v5 row_bcast:31 row_mask:0xc bank_mask:0xf
	v_min_i32_e32 v5, v14, v5
	ds_bpermute_b32 v5, v25, v5
	s_waitcnt lgkmcnt(0)
	v_cmp_le_i32_e32 vcc, s5, v5
	s_or_b64 s[18:19], vcc, s[18:19]
	s_andn2_b64 exec, exec, s[18:19]
	s_cbranch_execz .LBB191_32
.LBB191_11:                             ; =>This Loop Header: Depth=1
                                        ;     Child Loop BB191_12 Depth 2
                                        ;     Child Loop BB191_16 Depth 2
	s_mov_b64 s[0:1], 0
	v_mov_b32_e32 v14, v26
	v_mov_b32_e32 v15, v29
	ds_write_b8 v20, v7 offset:8192
.LBB191_12:                             ;   Parent Loop BB191_11 Depth=1
                                        ; =>  This Inner Loop Header: Depth=2
	v_add_co_u32_e32 v15, vcc, 16, v15
	s_xor_b64 s[22:23], vcc, -1
	s_and_b64 s[22:23], exec, s[22:23]
	ds_write_b128 v14, v[0:3]
	s_or_b64 s[0:1], s[22:23], s[0:1]
	v_add_u32_e32 v14, 0x100, v14
	s_andn2_b64 exec, exec, s[0:1]
	s_cbranch_execnz .LBB191_12
; %bb.13:                               ;   in Loop: Header=BB191_11 Depth=1
	s_or_b64 exec, exec, s[0:1]
	v_add_u32_e32 v14, v18, v22
	v_cmp_lt_i32_e32 vcc, v14, v21
	v_mov_b32_e32 v31, s5
	v_mov_b32_e32 v15, v21
	s_waitcnt lgkmcnt(0)
	s_and_saveexec_b64 s[22:23], vcc
	s_cbranch_execz .LBB191_21
; %bb.14:                               ;   in Loop: Header=BB191_11 Depth=1
	v_ashrrev_i32_e32 v15, 31, v14
	v_mul_lo_u32 v32, v5, s7
	v_lshl_add_u64 v[16:17], v[14:15], 2, s[12:13]
	v_lshl_add_u64 v[18:19], v[14:15], 4, s[8:9]
	s_mov_b64 s[24:25], 0
	v_mov_b32_e32 v31, s5
	v_mov_b32_e32 v15, v21
	s_branch .LBB191_16
.LBB191_15:                             ;   in Loop: Header=BB191_16 Depth=2
	s_or_b64 exec, exec, s[0:1]
	v_add_u32_e32 v14, 16, v14
	v_cmp_ge_i32_e64 s[0:1], v14, v21
	s_xor_b64 s[34:35], vcc, -1
	s_or_b64 s[0:1], s[34:35], s[0:1]
	s_and_b64 s[0:1], exec, s[0:1]
	v_lshl_add_u64 v[16:17], v[16:17], 0, 64
	s_or_b64 s[24:25], s[0:1], s[24:25]
	v_lshl_add_u64 v[18:19], v[18:19], 0, s[20:21]
	s_andn2_b64 exec, exec, s[24:25]
	s_cbranch_execz .LBB191_20
.LBB191_16:                             ;   Parent Loop BB191_11 Depth=1
                                        ; =>  This Inner Loop Header: Depth=2
	global_load_dword v33, v[16:17], off
	s_waitcnt vmcnt(0)
	v_subrev_u32_e32 v33, s26, v33
	v_sub_u32_e32 v35, 0, v33
	v_max_i32_e32 v35, v33, v35
	v_mul_hi_u32 v36, v35, v28
	v_mul_lo_u32 v37, v36, s30
	v_sub_u32_e32 v35, v35, v37
	v_add_u32_e32 v38, 1, v36
	v_cmp_le_u32_e32 vcc, s30, v35
	v_subrev_u32_e32 v37, s30, v35
	v_ashrrev_i32_e32 v34, 31, v33
	v_cndmask_b32_e32 v36, v36, v38, vcc
	v_cndmask_b32_e32 v35, v35, v37, vcc
	v_add_u32_e32 v37, 1, v36
	v_cmp_le_u32_e32 vcc, s30, v35
	v_xor_b32_e32 v34, s4, v34
	s_nop 0
	v_cndmask_b32_e32 v35, v36, v37, vcc
	v_xor_b32_e32 v35, v35, v34
	v_sub_u32_e32 v35, v35, v34
	v_cmp_eq_u32_e32 vcc, v35, v5
	v_cmp_ne_u32_e64 s[0:1], v35, v5
	v_mov_b32_e32 v34, v15
	s_and_saveexec_b64 s[34:35], s[0:1]
	s_xor_b64 s[0:1], exec, s[34:35]
; %bb.17:                               ;   in Loop: Header=BB191_16 Depth=2
	v_min_i32_e32 v31, v35, v31
                                        ; implicit-def: $vgpr33
                                        ; implicit-def: $vgpr34
; %bb.18:                               ;   in Loop: Header=BB191_16 Depth=2
	s_or_saveexec_b64 s[0:1], s[0:1]
	v_mov_b32_e32 v15, v14
	s_xor_b64 exec, exec, s[0:1]
	s_cbranch_execz .LBB191_15
; %bb.19:                               ;   in Loop: Header=BB191_16 Depth=2
	global_load_dwordx4 v[36:39], v[18:19], off
	v_sub_u32_e32 v15, v33, v32
	v_add_lshl_u32 v15, v23, v15, 4
	ds_write_b8 v20, v30 offset:8192
	s_waitcnt vmcnt(0)
	ds_write2_b64 v15, v[36:37], v[38:39] offset1:1
	v_mov_b32_e32 v15, v34
	s_branch .LBB191_15
.LBB191_20:                             ;   in Loop: Header=BB191_11 Depth=1
	s_or_b64 exec, exec, s[24:25]
.LBB191_21:                             ;   in Loop: Header=BB191_11 Depth=1
	s_or_b64 exec, exec, s[22:23]
	v_mov_b32_dpp v14, v15 row_shr:1 row_mask:0xf bank_mask:0xf
	v_min_i32_e32 v14, v14, v15
	s_waitcnt lgkmcnt(0)
	v_mov_b32_e32 v19, 0
	v_mov_b32_dpp v15, v14 row_shr:2 row_mask:0xf bank_mask:0xf
	v_min_i32_e32 v14, v15, v14
	s_nop 1
	v_mov_b32_dpp v15, v14 row_shr:4 row_mask:0xf bank_mask:0xe
	v_min_i32_e32 v14, v15, v14
	ds_read_u8 v15, v20 offset:8192
	s_nop 0
	v_mov_b32_dpp v16, v14 row_shr:8 row_mask:0xf bank_mask:0xc
	v_min_i32_e32 v14, v16, v14
	ds_bpermute_b32 v18, v24, v14
	s_waitcnt lgkmcnt(1)
	v_and_b32_e32 v14, 1, v15
	v_cmp_eq_u32_e32 vcc, 1, v14
	s_and_saveexec_b64 s[0:1], vcc
	s_cbranch_execz .LBB191_10
; %bb.22:                               ;   in Loop: Header=BB191_11 Depth=1
	v_add_u32_e32 v16, s27, v5
	v_ashrrev_i32_e32 v5, 31, v4
	v_lshl_add_u64 v[14:15], v[4:5], 2, s[10:11]
	global_store_dword v[14:15], v16, off
	v_mul_lo_u32 v16, s28, v4
	v_mul_lo_u32 v5, s29, v5
	v_mad_u64_u32 v[14:15], s[22:23], s29, v4, 0
	v_add3_u32 v15, v15, v5, v16
	v_lshlrev_b64 v[14:15], 4, v[14:15]
	v_lshl_add_u64 v[16:17], v[8:9], 0, v[14:15]
	v_lshl_add_u64 v[14:15], v[10:11], 0, v[14:15]
	s_and_saveexec_b64 s[22:23], s[16:17]
	s_cbranch_execz .LBB191_26
; %bb.23:                               ;   in Loop: Header=BB191_11 Depth=1
	s_and_b64 vcc, exec, s[14:15]
	s_cbranch_vccz .LBB191_29
; %bb.24:                               ;   in Loop: Header=BB191_11 Depth=1
	ds_read2_b64 v[32:35], v26 offset1:1
	v_lshl_add_u64 v[36:37], v[6:7], 4, v[16:17]
	s_waitcnt lgkmcnt(0)
	global_store_dwordx4 v[36:37], v[32:35], off
	s_cbranch_execnz .LBB191_26
.LBB191_25:                             ;   in Loop: Header=BB191_11 Depth=1
	ds_read2_b64 v[32:35], v26 offset1:1
	s_waitcnt lgkmcnt(0)
	global_store_dwordx4 v[14:15], v[32:35], off
.LBB191_26:                             ;   in Loop: Header=BB191_11 Depth=1
	s_or_b64 exec, exec, s[22:23]
	v_mov_b32_e32 v19, 1
	s_and_saveexec_b64 s[22:23], s[2:3]
	s_cbranch_execz .LBB191_9
; %bb.27:                               ;   in Loop: Header=BB191_11 Depth=1
	s_andn2_b64 vcc, exec, s[14:15]
	s_cbranch_vccnz .LBB191_30
; %bb.28:                               ;   in Loop: Header=BB191_11 Depth=1
	ds_read2_b64 v[32:35], v27 offset1:1
	v_lshl_add_u64 v[16:17], v[12:13], 4, v[16:17]
	s_mov_b32 s6, 1
	s_waitcnt lgkmcnt(0)
	global_store_dwordx4 v[16:17], v[32:35], off
	s_cbranch_execnz .LBB191_8
	s_branch .LBB191_31
.LBB191_29:                             ;   in Loop: Header=BB191_11 Depth=1
	s_branch .LBB191_25
.LBB191_30:                             ;   in Loop: Header=BB191_11 Depth=1
                                        ; implicit-def: $sgpr6
.LBB191_31:                             ;   in Loop: Header=BB191_11 Depth=1
	ds_read2_b64 v[32:35], v27 offset1:1
	s_mov_b32 s6, 1
	s_waitcnt lgkmcnt(0)
	global_store_dwordx4 v[14:15], v[32:35], off offset:256
	s_branch .LBB191_8
.LBB191_32:
	s_endpgm
	.section	.rodata,"a",@progbits
	.p2align	6, 0x0
	.amdhsa_kernel _ZN9rocsparseL44csr2gebsr_wavefront_per_row_multipass_kernelILi256ELi4ELi32ELi64E21rocsparse_complex_numIdEEEv20rocsparse_direction_iiiiii21rocsparse_index_base_PKT3_PKiS9_S4_PS5_PiSB_
		.amdhsa_group_segment_fixed_size 8200
		.amdhsa_private_segment_fixed_size 0
		.amdhsa_kernarg_size 88
		.amdhsa_user_sgpr_count 2
		.amdhsa_user_sgpr_dispatch_ptr 0
		.amdhsa_user_sgpr_queue_ptr 0
		.amdhsa_user_sgpr_kernarg_segment_ptr 1
		.amdhsa_user_sgpr_dispatch_id 0
		.amdhsa_user_sgpr_kernarg_preload_length 0
		.amdhsa_user_sgpr_kernarg_preload_offset 0
		.amdhsa_user_sgpr_private_segment_size 0
		.amdhsa_uses_dynamic_stack 0
		.amdhsa_enable_private_segment 0
		.amdhsa_system_sgpr_workgroup_id_x 1
		.amdhsa_system_sgpr_workgroup_id_y 0
		.amdhsa_system_sgpr_workgroup_id_z 0
		.amdhsa_system_sgpr_workgroup_info 0
		.amdhsa_system_vgpr_workitem_id 0
		.amdhsa_next_free_vgpr 40
		.amdhsa_next_free_sgpr 36
		.amdhsa_accum_offset 40
		.amdhsa_reserve_vcc 1
		.amdhsa_float_round_mode_32 0
		.amdhsa_float_round_mode_16_64 0
		.amdhsa_float_denorm_mode_32 3
		.amdhsa_float_denorm_mode_16_64 3
		.amdhsa_dx10_clamp 1
		.amdhsa_ieee_mode 1
		.amdhsa_fp16_overflow 0
		.amdhsa_tg_split 0
		.amdhsa_exception_fp_ieee_invalid_op 0
		.amdhsa_exception_fp_denorm_src 0
		.amdhsa_exception_fp_ieee_div_zero 0
		.amdhsa_exception_fp_ieee_overflow 0
		.amdhsa_exception_fp_ieee_underflow 0
		.amdhsa_exception_fp_ieee_inexact 0
		.amdhsa_exception_int_div_zero 0
	.end_amdhsa_kernel
	.section	.text._ZN9rocsparseL44csr2gebsr_wavefront_per_row_multipass_kernelILi256ELi4ELi32ELi64E21rocsparse_complex_numIdEEEv20rocsparse_direction_iiiiii21rocsparse_index_base_PKT3_PKiS9_S4_PS5_PiSB_,"axG",@progbits,_ZN9rocsparseL44csr2gebsr_wavefront_per_row_multipass_kernelILi256ELi4ELi32ELi64E21rocsparse_complex_numIdEEEv20rocsparse_direction_iiiiii21rocsparse_index_base_PKT3_PKiS9_S4_PS5_PiSB_,comdat
.Lfunc_end191:
	.size	_ZN9rocsparseL44csr2gebsr_wavefront_per_row_multipass_kernelILi256ELi4ELi32ELi64E21rocsparse_complex_numIdEEEv20rocsparse_direction_iiiiii21rocsparse_index_base_PKT3_PKiS9_S4_PS5_PiSB_, .Lfunc_end191-_ZN9rocsparseL44csr2gebsr_wavefront_per_row_multipass_kernelILi256ELi4ELi32ELi64E21rocsparse_complex_numIdEEEv20rocsparse_direction_iiiiii21rocsparse_index_base_PKT3_PKiS9_S4_PS5_PiSB_
                                        ; -- End function
	.section	.AMDGPU.csdata,"",@progbits
; Kernel info:
; codeLenInByte = 1436
; NumSgprs: 42
; NumVgprs: 40
; NumAgprs: 0
; TotalNumVgprs: 40
; ScratchSize: 0
; MemoryBound: 0
; FloatMode: 240
; IeeeMode: 1
; LDSByteSize: 8200 bytes/workgroup (compile time only)
; SGPRBlocks: 5
; VGPRBlocks: 4
; NumSGPRsForWavesPerEU: 42
; NumVGPRsForWavesPerEU: 40
; AccumOffset: 40
; Occupancy: 7
; WaveLimiterHint : 0
; COMPUTE_PGM_RSRC2:SCRATCH_EN: 0
; COMPUTE_PGM_RSRC2:USER_SGPR: 2
; COMPUTE_PGM_RSRC2:TRAP_HANDLER: 0
; COMPUTE_PGM_RSRC2:TGID_X_EN: 1
; COMPUTE_PGM_RSRC2:TGID_Y_EN: 0
; COMPUTE_PGM_RSRC2:TGID_Z_EN: 0
; COMPUTE_PGM_RSRC2:TIDIG_COMP_CNT: 0
; COMPUTE_PGM_RSRC3_GFX90A:ACCUM_OFFSET: 9
; COMPUTE_PGM_RSRC3_GFX90A:TG_SPLIT: 0
	.section	.text._ZN9rocsparseL44csr2gebsr_wavefront_per_row_multipass_kernelILi256ELi4ELi32ELi32E21rocsparse_complex_numIdEEEv20rocsparse_direction_iiiiii21rocsparse_index_base_PKT3_PKiS9_S4_PS5_PiSB_,"axG",@progbits,_ZN9rocsparseL44csr2gebsr_wavefront_per_row_multipass_kernelILi256ELi4ELi32ELi32E21rocsparse_complex_numIdEEEv20rocsparse_direction_iiiiii21rocsparse_index_base_PKT3_PKiS9_S4_PS5_PiSB_,comdat
	.globl	_ZN9rocsparseL44csr2gebsr_wavefront_per_row_multipass_kernelILi256ELi4ELi32ELi32E21rocsparse_complex_numIdEEEv20rocsparse_direction_iiiiii21rocsparse_index_base_PKT3_PKiS9_S4_PS5_PiSB_ ; -- Begin function _ZN9rocsparseL44csr2gebsr_wavefront_per_row_multipass_kernelILi256ELi4ELi32ELi32E21rocsparse_complex_numIdEEEv20rocsparse_direction_iiiiii21rocsparse_index_base_PKT3_PKiS9_S4_PS5_PiSB_
	.p2align	8
	.type	_ZN9rocsparseL44csr2gebsr_wavefront_per_row_multipass_kernelILi256ELi4ELi32ELi32E21rocsparse_complex_numIdEEEv20rocsparse_direction_iiiiii21rocsparse_index_base_PKT3_PKiS9_S4_PS5_PiSB_,@function
_ZN9rocsparseL44csr2gebsr_wavefront_per_row_multipass_kernelILi256ELi4ELi32ELi32E21rocsparse_complex_numIdEEEv20rocsparse_direction_iiiiii21rocsparse_index_base_PKT3_PKiS9_S4_PS5_PiSB_: ; @_ZN9rocsparseL44csr2gebsr_wavefront_per_row_multipass_kernelILi256ELi4ELi32ELi32E21rocsparse_complex_numIdEEEv20rocsparse_direction_iiiiii21rocsparse_index_base_PKT3_PKiS9_S4_PS5_PiSB_
; %bb.0:
	s_load_dwordx2 s[4:5], s[0:1], 0x0
	s_load_dwordx4 s[8:11], s[0:1], 0xc
	s_load_dword s33, s[0:1], 0x1c
	s_load_dwordx2 s[6:7], s[0:1], 0x28
	v_lshrrev_b32_e32 v24, 5, v0
	v_bfe_u32 v2, v0, 3, 2
	v_lshl_or_b32 v6, s2, 3, v24
	s_waitcnt lgkmcnt(0)
	v_mad_u64_u32 v[4:5], s[2:3], v6, s10, v[2:3]
	v_cmp_gt_i32_e64 s[2:3], s5, v4
	v_cmp_gt_i32_e32 vcc, s10, v2
	s_and_b64 s[2:3], vcc, s[2:3]
	v_mov_b32_e32 v25, 0
	v_mov_b32_e32 v22, 0
	s_and_saveexec_b64 s[12:13], s[2:3]
	s_cbranch_execz .LBB192_2
; %bb.1:
	v_ashrrev_i32_e32 v5, 31, v4
	v_lshl_add_u64 v[8:9], v[4:5], 2, s[6:7]
	global_load_dword v1, v[8:9], off
	s_waitcnt vmcnt(0)
	v_subrev_u32_e32 v22, s33, v1
.LBB192_2:
	s_or_b64 exec, exec, s[12:13]
	s_and_saveexec_b64 s[12:13], s[2:3]
	s_cbranch_execz .LBB192_4
; %bb.3:
	v_ashrrev_i32_e32 v5, 31, v4
	v_lshl_add_u64 v[4:5], v[4:5], 2, s[6:7]
	global_load_dword v1, v[4:5], off offset:4
	s_waitcnt vmcnt(0)
	v_subrev_u32_e32 v25, s33, v1
.LBB192_4:
	s_or_b64 exec, exec, s[12:13]
	s_load_dword s34, s[0:1], 0x38
	v_cmp_gt_i32_e64 s[2:3], s8, v6
	v_mov_b32_e32 v4, 0
	s_and_saveexec_b64 s[6:7], s[2:3]
	s_cbranch_execz .LBB192_6
; %bb.5:
	s_load_dwordx2 s[2:3], s[0:1], 0x48
	v_ashrrev_i32_e32 v7, 31, v6
	s_waitcnt lgkmcnt(0)
	v_lshl_add_u64 v[4:5], v[6:7], 2, s[2:3]
	global_load_dword v1, v[4:5], off
	s_waitcnt vmcnt(0)
	v_subrev_u32_e32 v4, s34, v1
.LBB192_6:
	s_or_b64 exec, exec, s[6:7]
	s_cmp_lt_i32 s9, 1
	s_cbranch_scc1 .LBB192_42
; %bb.7:
	v_and_b32_e32 v26, 7, v0
	v_lshlrev_b32_e32 v0, 7, v24
	s_load_dwordx2 s[12:13], s[0:1], 0x20
	s_load_dwordx2 s[14:15], s[0:1], 0x50
	;; [unrolled: 1-line block ×4, first 2 shown]
	v_lshl_or_b32 v27, v2, 5, v0
	v_mbcnt_lo_u32_b32 v0, -1, 0
	v_mbcnt_hi_u32_b32 v0, -1, v0
	v_lshlrev_b32_e32 v3, 2, v0
	v_mul_lo_u32 v0, v2, s11
	v_mov_b32_e32 v7, 0
	s_cmp_lg_u32 s4, 0
	v_lshlrev_b32_e32 v6, 4, v2
	v_ashrrev_i32_e32 v1, 31, v0
	s_cselect_b64 s[18:19], -1, 0
	s_ashr_i32 s8, s11, 31
	s_waitcnt lgkmcnt(0)
	v_lshl_add_u64 v[8:9], s[2:3], 0, v[6:7]
	v_lshl_add_u64 v[0:1], v[0:1], 4, s[2:3]
	v_lshlrev_b32_e32 v6, 4, v26
	s_mul_hi_u32 s0, s11, s10
	s_mul_i32 s1, s8, s10
	s_mul_i32 s36, s11, s10
	v_lshl_add_u64 v[10:11], v[0:1], 0, v[6:7]
	v_mul_lo_u32 v6, v26, s10
	s_lshl_b32 s20, s10, 3
	s_abs_i32 s10, s11
	v_cvt_f32_u32_e32 v1, s10
	v_or_b32_e32 v0, 8, v26
	v_cmp_gt_u32_e64 s[2:3], s11, v0
	v_or_b32_e32 v0, 16, v26
	v_cmp_gt_u32_e64 s[4:5], s11, v0
	;; [unrolled: 2-line block ×3, first 2 shown]
	v_rcp_iflag_f32_e32 v0, v1
	v_add_u32_e32 v12, s20, v6
	s_add_i32 s35, s0, s1
	v_cmp_gt_u32_e64 s[0:1], s11, v26
	v_mul_f32_e32 v0, 0x4f7ffffe, v0
	v_cvt_u32_f32_e32 v0, v0
	v_add_u32_e32 v14, s20, v12
	v_add_u32_e32 v16, s20, v14
	s_and_b64 s[20:21], s[0:1], vcc
	s_sub_i32 s0, 0, s10
	v_or_b32_e32 v5, v27, v26
	v_mul_lo_u32 v1, s0, v0
	v_lshlrev_b32_e32 v30, 4, v5
	v_mul_hi_u32 v1, v0, v1
	v_cndmask_b32_e64 v5, 0, 1, s[18:19]
	v_or_b32_e32 v28, 28, v3
	v_or_b32_e32 v29, 0x7c, v3
	;; [unrolled: 1-line block ×3, first 2 shown]
	v_mov_b32_e32 v13, v7
	v_or_b32_e32 v32, 0x100, v30
	v_mov_b32_e32 v15, v7
	v_or_b32_e32 v33, 0x180, v30
	v_mov_b32_e32 v17, v7
	s_and_b64 s[22:23], vcc, s[2:3]
	s_and_b64 s[4:5], vcc, s[4:5]
	;; [unrolled: 1-line block ×3, first 2 shown]
	v_add_u32_e32 v34, v0, v1
	v_or_b32_e32 v35, -8, v26
	s_mov_b64 s[24:25], 0
	v_mov_b32_e32 v0, v7
	v_mov_b32_e32 v1, v7
	;; [unrolled: 1-line block ×4, first 2 shown]
	s_mov_b64 s[26:27], 0x80
	v_cmp_ne_u32_e64 s[0:1], 1, v5
	v_mov_b32_e32 v36, 1
	v_mov_b32_e32 v5, v7
	s_branch .LBB192_11
.LBB192_8:                              ;   in Loop: Header=BB192_11 Depth=1
	v_mov_b32_e32 v23, s37
.LBB192_9:                              ;   in Loop: Header=BB192_11 Depth=1
	s_or_b64 exec, exec, s[28:29]
.LBB192_10:                             ;   in Loop: Header=BB192_11 Depth=1
	s_or_b64 exec, exec, s[2:3]
	v_mov_b32_dpp v5, v37 row_shr:1 row_mask:0xf bank_mask:0xf
	v_min_i32_e32 v5, v5, v37
	v_add_u32_e32 v4, v23, v4
	s_waitcnt lgkmcnt(0)
	v_mov_b32_dpp v18, v5 row_shr:2 row_mask:0xf bank_mask:0xf
	v_min_i32_e32 v5, v18, v5
	s_nop 1
	v_mov_b32_dpp v18, v5 row_shr:4 row_mask:0xf bank_mask:0xe
	v_min_i32_e32 v5, v18, v5
	s_nop 1
	;; [unrolled: 3-line block ×3, first 2 shown]
	v_mov_b32_dpp v18, v5 row_bcast:15 row_mask:0xa bank_mask:0xf
	v_min_i32_e32 v5, v18, v5
	ds_bpermute_b32 v5, v29, v5
	s_waitcnt lgkmcnt(0)
	v_cmp_le_i32_e32 vcc, s9, v5
	s_or_b64 s[24:25], vcc, s[24:25]
	s_andn2_b64 exec, exec, s[24:25]
	s_cbranch_execz .LBB192_42
.LBB192_11:                             ; =>This Loop Header: Depth=1
                                        ;     Child Loop BB192_12 Depth 2
                                        ;     Child Loop BB192_16 Depth 2
	s_mov_b64 s[2:3], 0
	v_mov_b32_e32 v18, v30
	v_mov_b32_e32 v19, v35
	ds_write_b8 v24, v7 offset:16384
.LBB192_12:                             ;   Parent Loop BB192_11 Depth=1
                                        ; =>  This Inner Loop Header: Depth=2
	v_add_u32_e32 v19, 8, v19
	v_cmp_lt_u32_e32 vcc, 23, v19
	ds_write_b128 v18, v[0:3]
	s_or_b64 s[2:3], vcc, s[2:3]
	v_add_u32_e32 v18, 0x80, v18
	s_andn2_b64 exec, exec, s[2:3]
	s_cbranch_execnz .LBB192_12
; %bb.13:                               ;   in Loop: Header=BB192_11 Depth=1
	s_or_b64 exec, exec, s[2:3]
	v_add_u32_e32 v18, v22, v26
	v_cmp_lt_i32_e32 vcc, v18, v25
	v_mov_b32_e32 v37, s9
	v_mov_b32_e32 v19, v25
	s_waitcnt lgkmcnt(0)
	s_and_saveexec_b64 s[28:29], vcc
	s_cbranch_execz .LBB192_21
; %bb.14:                               ;   in Loop: Header=BB192_11 Depth=1
	v_ashrrev_i32_e32 v19, 31, v18
	v_mul_lo_u32 v38, v5, s11
	v_lshl_add_u64 v[20:21], v[18:19], 2, s[16:17]
	v_lshl_add_u64 v[22:23], v[18:19], 4, s[12:13]
	s_mov_b64 s[30:31], 0
	v_mov_b32_e32 v37, s9
	v_mov_b32_e32 v19, v25
	s_branch .LBB192_16
.LBB192_15:                             ;   in Loop: Header=BB192_16 Depth=2
	s_or_b64 exec, exec, s[2:3]
	v_add_u32_e32 v18, 8, v18
	v_cmp_ge_i32_e64 s[2:3], v18, v25
	s_xor_b64 s[38:39], vcc, -1
	s_or_b64 s[2:3], s[38:39], s[2:3]
	s_and_b64 s[2:3], exec, s[2:3]
	v_lshl_add_u64 v[20:21], v[20:21], 0, 32
	s_or_b64 s[30:31], s[2:3], s[30:31]
	v_lshl_add_u64 v[22:23], v[22:23], 0, s[26:27]
	s_andn2_b64 exec, exec, s[30:31]
	s_cbranch_execz .LBB192_20
.LBB192_16:                             ;   Parent Loop BB192_11 Depth=1
                                        ; =>  This Inner Loop Header: Depth=2
	global_load_dword v39, v[20:21], off
	s_waitcnt vmcnt(0)
	v_subrev_u32_e32 v39, s33, v39
	v_sub_u32_e32 v41, 0, v39
	v_max_i32_e32 v41, v39, v41
	v_mul_hi_u32 v42, v41, v34
	v_mul_lo_u32 v43, v42, s10
	v_sub_u32_e32 v41, v41, v43
	v_add_u32_e32 v44, 1, v42
	v_cmp_le_u32_e32 vcc, s10, v41
	v_subrev_u32_e32 v43, s10, v41
	v_ashrrev_i32_e32 v40, 31, v39
	v_cndmask_b32_e32 v42, v42, v44, vcc
	v_cndmask_b32_e32 v41, v41, v43, vcc
	v_add_u32_e32 v43, 1, v42
	v_cmp_le_u32_e32 vcc, s10, v41
	v_xor_b32_e32 v40, s8, v40
	s_nop 0
	v_cndmask_b32_e32 v41, v42, v43, vcc
	v_xor_b32_e32 v41, v41, v40
	v_sub_u32_e32 v41, v41, v40
	v_cmp_eq_u32_e32 vcc, v41, v5
	v_cmp_ne_u32_e64 s[2:3], v41, v5
	v_mov_b32_e32 v40, v19
	s_and_saveexec_b64 s[38:39], s[2:3]
	s_xor_b64 s[2:3], exec, s[38:39]
; %bb.17:                               ;   in Loop: Header=BB192_16 Depth=2
	v_min_i32_e32 v37, v41, v37
                                        ; implicit-def: $vgpr39
                                        ; implicit-def: $vgpr40
; %bb.18:                               ;   in Loop: Header=BB192_16 Depth=2
	s_or_saveexec_b64 s[2:3], s[2:3]
	v_mov_b32_e32 v19, v18
	s_xor_b64 exec, exec, s[2:3]
	s_cbranch_execz .LBB192_15
; %bb.19:                               ;   in Loop: Header=BB192_16 Depth=2
	global_load_dwordx4 v[42:45], v[22:23], off
	v_sub_u32_e32 v19, v39, v38
	v_add_lshl_u32 v19, v27, v19, 4
	ds_write_b8 v24, v36 offset:16384
	s_waitcnt vmcnt(0)
	ds_write2_b64 v19, v[42:43], v[44:45] offset1:1
	v_mov_b32_e32 v19, v40
	s_branch .LBB192_15
.LBB192_20:                             ;   in Loop: Header=BB192_11 Depth=1
	s_or_b64 exec, exec, s[30:31]
.LBB192_21:                             ;   in Loop: Header=BB192_11 Depth=1
	s_or_b64 exec, exec, s[28:29]
	v_mov_b32_dpp v18, v19 row_shr:1 row_mask:0xf bank_mask:0xf
	v_min_i32_e32 v18, v18, v19
	s_waitcnt lgkmcnt(0)
	v_mov_b32_e32 v23, 0
	v_mov_b32_dpp v19, v18 row_shr:2 row_mask:0xf bank_mask:0xf
	v_min_i32_e32 v18, v19, v18
	ds_read_u8 v19, v24 offset:16384
	s_nop 0
	v_mov_b32_dpp v20, v18 row_shr:4 row_mask:0xf bank_mask:0xe
	v_min_i32_e32 v18, v20, v18
	ds_bpermute_b32 v22, v28, v18
	s_waitcnt lgkmcnt(1)
	v_and_b32_e32 v18, 1, v19
	v_cmp_eq_u32_e32 vcc, 1, v18
	s_and_saveexec_b64 s[2:3], vcc
	s_cbranch_execz .LBB192_10
; %bb.22:                               ;   in Loop: Header=BB192_11 Depth=1
	v_add_u32_e32 v20, s34, v5
	v_ashrrev_i32_e32 v5, 31, v4
	v_lshl_add_u64 v[18:19], v[4:5], 2, s[14:15]
	global_store_dword v[18:19], v20, off
	v_mul_lo_u32 v20, s35, v4
	v_mul_lo_u32 v5, s36, v5
	v_mad_u64_u32 v[18:19], s[28:29], s36, v4, 0
	v_add3_u32 v19, v19, v5, v20
	v_lshlrev_b64 v[18:19], 4, v[18:19]
	v_lshl_add_u64 v[20:21], v[8:9], 0, v[18:19]
	v_lshl_add_u64 v[18:19], v[10:11], 0, v[18:19]
	s_and_saveexec_b64 s[28:29], s[20:21]
	s_cbranch_execz .LBB192_26
; %bb.23:                               ;   in Loop: Header=BB192_11 Depth=1
	s_and_b64 vcc, exec, s[18:19]
	s_cbranch_vccz .LBB192_37
; %bb.24:                               ;   in Loop: Header=BB192_11 Depth=1
	ds_read2_b64 v[38:41], v30 offset1:1
	v_lshl_add_u64 v[42:43], v[6:7], 4, v[20:21]
	s_waitcnt lgkmcnt(0)
	global_store_dwordx4 v[42:43], v[38:41], off
	s_cbranch_execnz .LBB192_26
.LBB192_25:                             ;   in Loop: Header=BB192_11 Depth=1
	ds_read2_b64 v[38:41], v30 offset1:1
	s_waitcnt lgkmcnt(0)
	global_store_dwordx4 v[18:19], v[38:41], off
.LBB192_26:                             ;   in Loop: Header=BB192_11 Depth=1
	s_or_b64 exec, exec, s[28:29]
	s_and_saveexec_b64 s[28:29], s[22:23]
	s_cbranch_execz .LBB192_30
; %bb.27:                               ;   in Loop: Header=BB192_11 Depth=1
	s_and_b64 vcc, exec, s[0:1]
	s_cbranch_vccnz .LBB192_38
; %bb.28:                               ;   in Loop: Header=BB192_11 Depth=1
	ds_read2_b64 v[38:41], v31 offset1:1
	v_lshl_add_u64 v[42:43], v[12:13], 4, v[20:21]
	s_waitcnt lgkmcnt(0)
	global_store_dwordx4 v[42:43], v[38:41], off
	s_cbranch_execnz .LBB192_30
.LBB192_29:                             ;   in Loop: Header=BB192_11 Depth=1
	ds_read2_b64 v[38:41], v31 offset1:1
	s_waitcnt lgkmcnt(0)
	global_store_dwordx4 v[18:19], v[38:41], off offset:128
.LBB192_30:                             ;   in Loop: Header=BB192_11 Depth=1
	s_or_b64 exec, exec, s[28:29]
	s_and_saveexec_b64 s[28:29], s[4:5]
	s_cbranch_execz .LBB192_34
; %bb.31:                               ;   in Loop: Header=BB192_11 Depth=1
	s_and_b64 vcc, exec, s[0:1]
	s_cbranch_vccnz .LBB192_39
; %bb.32:                               ;   in Loop: Header=BB192_11 Depth=1
	ds_read2_b64 v[38:41], v32 offset1:1
	v_lshl_add_u64 v[42:43], v[14:15], 4, v[20:21]
	s_waitcnt lgkmcnt(0)
	global_store_dwordx4 v[42:43], v[38:41], off
	s_cbranch_execnz .LBB192_34
.LBB192_33:                             ;   in Loop: Header=BB192_11 Depth=1
	ds_read2_b64 v[38:41], v32 offset1:1
	s_waitcnt lgkmcnt(0)
	global_store_dwordx4 v[18:19], v[38:41], off offset:256
.LBB192_34:                             ;   in Loop: Header=BB192_11 Depth=1
	s_or_b64 exec, exec, s[28:29]
	v_mov_b32_e32 v23, 1
	s_and_saveexec_b64 s[28:29], s[6:7]
	s_cbranch_execz .LBB192_9
; %bb.35:                               ;   in Loop: Header=BB192_11 Depth=1
	s_and_b64 vcc, exec, s[0:1]
	s_cbranch_vccnz .LBB192_40
; %bb.36:                               ;   in Loop: Header=BB192_11 Depth=1
	ds_read2_b64 v[38:41], v33 offset1:1
	v_lshl_add_u64 v[20:21], v[16:17], 4, v[20:21]
	s_mov_b32 s37, 1
	s_waitcnt lgkmcnt(0)
	global_store_dwordx4 v[20:21], v[38:41], off
	s_cbranch_execnz .LBB192_8
	s_branch .LBB192_41
.LBB192_37:                             ;   in Loop: Header=BB192_11 Depth=1
	s_branch .LBB192_25
.LBB192_38:                             ;   in Loop: Header=BB192_11 Depth=1
	s_branch .LBB192_29
.LBB192_39:                             ;   in Loop: Header=BB192_11 Depth=1
	s_branch .LBB192_33
.LBB192_40:                             ;   in Loop: Header=BB192_11 Depth=1
                                        ; implicit-def: $sgpr37
.LBB192_41:                             ;   in Loop: Header=BB192_11 Depth=1
	ds_read2_b64 v[38:41], v33 offset1:1
	s_mov_b32 s37, 1
	s_waitcnt lgkmcnt(0)
	global_store_dwordx4 v[18:19], v[38:41], off offset:384
	s_branch .LBB192_8
.LBB192_42:
	s_endpgm
	.section	.rodata,"a",@progbits
	.p2align	6, 0x0
	.amdhsa_kernel _ZN9rocsparseL44csr2gebsr_wavefront_per_row_multipass_kernelILi256ELi4ELi32ELi32E21rocsparse_complex_numIdEEEv20rocsparse_direction_iiiiii21rocsparse_index_base_PKT3_PKiS9_S4_PS5_PiSB_
		.amdhsa_group_segment_fixed_size 16392
		.amdhsa_private_segment_fixed_size 0
		.amdhsa_kernarg_size 88
		.amdhsa_user_sgpr_count 2
		.amdhsa_user_sgpr_dispatch_ptr 0
		.amdhsa_user_sgpr_queue_ptr 0
		.amdhsa_user_sgpr_kernarg_segment_ptr 1
		.amdhsa_user_sgpr_dispatch_id 0
		.amdhsa_user_sgpr_kernarg_preload_length 0
		.amdhsa_user_sgpr_kernarg_preload_offset 0
		.amdhsa_user_sgpr_private_segment_size 0
		.amdhsa_uses_dynamic_stack 0
		.amdhsa_enable_private_segment 0
		.amdhsa_system_sgpr_workgroup_id_x 1
		.amdhsa_system_sgpr_workgroup_id_y 0
		.amdhsa_system_sgpr_workgroup_id_z 0
		.amdhsa_system_sgpr_workgroup_info 0
		.amdhsa_system_vgpr_workitem_id 0
		.amdhsa_next_free_vgpr 46
		.amdhsa_next_free_sgpr 40
		.amdhsa_accum_offset 48
		.amdhsa_reserve_vcc 1
		.amdhsa_float_round_mode_32 0
		.amdhsa_float_round_mode_16_64 0
		.amdhsa_float_denorm_mode_32 3
		.amdhsa_float_denorm_mode_16_64 3
		.amdhsa_dx10_clamp 1
		.amdhsa_ieee_mode 1
		.amdhsa_fp16_overflow 0
		.amdhsa_tg_split 0
		.amdhsa_exception_fp_ieee_invalid_op 0
		.amdhsa_exception_fp_denorm_src 0
		.amdhsa_exception_fp_ieee_div_zero 0
		.amdhsa_exception_fp_ieee_overflow 0
		.amdhsa_exception_fp_ieee_underflow 0
		.amdhsa_exception_fp_ieee_inexact 0
		.amdhsa_exception_int_div_zero 0
	.end_amdhsa_kernel
	.section	.text._ZN9rocsparseL44csr2gebsr_wavefront_per_row_multipass_kernelILi256ELi4ELi32ELi32E21rocsparse_complex_numIdEEEv20rocsparse_direction_iiiiii21rocsparse_index_base_PKT3_PKiS9_S4_PS5_PiSB_,"axG",@progbits,_ZN9rocsparseL44csr2gebsr_wavefront_per_row_multipass_kernelILi256ELi4ELi32ELi32E21rocsparse_complex_numIdEEEv20rocsparse_direction_iiiiii21rocsparse_index_base_PKT3_PKiS9_S4_PS5_PiSB_,comdat
.Lfunc_end192:
	.size	_ZN9rocsparseL44csr2gebsr_wavefront_per_row_multipass_kernelILi256ELi4ELi32ELi32E21rocsparse_complex_numIdEEEv20rocsparse_direction_iiiiii21rocsparse_index_base_PKT3_PKiS9_S4_PS5_PiSB_, .Lfunc_end192-_ZN9rocsparseL44csr2gebsr_wavefront_per_row_multipass_kernelILi256ELi4ELi32ELi32E21rocsparse_complex_numIdEEEv20rocsparse_direction_iiiiii21rocsparse_index_base_PKT3_PKiS9_S4_PS5_PiSB_
                                        ; -- End function
	.section	.AMDGPU.csdata,"",@progbits
; Kernel info:
; codeLenInByte = 1632
; NumSgprs: 46
; NumVgprs: 46
; NumAgprs: 0
; TotalNumVgprs: 46
; ScratchSize: 0
; MemoryBound: 0
; FloatMode: 240
; IeeeMode: 1
; LDSByteSize: 16392 bytes/workgroup (compile time only)
; SGPRBlocks: 5
; VGPRBlocks: 5
; NumSGPRsForWavesPerEU: 46
; NumVGPRsForWavesPerEU: 46
; AccumOffset: 48
; Occupancy: 3
; WaveLimiterHint : 0
; COMPUTE_PGM_RSRC2:SCRATCH_EN: 0
; COMPUTE_PGM_RSRC2:USER_SGPR: 2
; COMPUTE_PGM_RSRC2:TRAP_HANDLER: 0
; COMPUTE_PGM_RSRC2:TGID_X_EN: 1
; COMPUTE_PGM_RSRC2:TGID_Y_EN: 0
; COMPUTE_PGM_RSRC2:TGID_Z_EN: 0
; COMPUTE_PGM_RSRC2:TIDIG_COMP_CNT: 0
; COMPUTE_PGM_RSRC3_GFX90A:ACCUM_OFFSET: 11
; COMPUTE_PGM_RSRC3_GFX90A:TG_SPLIT: 0
	.section	.text._ZN9rocsparseL44csr2gebsr_wavefront_per_row_multipass_kernelILi256ELi4ELi64ELi64E21rocsparse_complex_numIdEEEv20rocsparse_direction_iiiiii21rocsparse_index_base_PKT3_PKiS9_S4_PS5_PiSB_,"axG",@progbits,_ZN9rocsparseL44csr2gebsr_wavefront_per_row_multipass_kernelILi256ELi4ELi64ELi64E21rocsparse_complex_numIdEEEv20rocsparse_direction_iiiiii21rocsparse_index_base_PKT3_PKiS9_S4_PS5_PiSB_,comdat
	.globl	_ZN9rocsparseL44csr2gebsr_wavefront_per_row_multipass_kernelILi256ELi4ELi64ELi64E21rocsparse_complex_numIdEEEv20rocsparse_direction_iiiiii21rocsparse_index_base_PKT3_PKiS9_S4_PS5_PiSB_ ; -- Begin function _ZN9rocsparseL44csr2gebsr_wavefront_per_row_multipass_kernelILi256ELi4ELi64ELi64E21rocsparse_complex_numIdEEEv20rocsparse_direction_iiiiii21rocsparse_index_base_PKT3_PKiS9_S4_PS5_PiSB_
	.p2align	8
	.type	_ZN9rocsparseL44csr2gebsr_wavefront_per_row_multipass_kernelILi256ELi4ELi64ELi64E21rocsparse_complex_numIdEEEv20rocsparse_direction_iiiiii21rocsparse_index_base_PKT3_PKiS9_S4_PS5_PiSB_,@function
_ZN9rocsparseL44csr2gebsr_wavefront_per_row_multipass_kernelILi256ELi4ELi64ELi64E21rocsparse_complex_numIdEEEv20rocsparse_direction_iiiiii21rocsparse_index_base_PKT3_PKiS9_S4_PS5_PiSB_: ; @_ZN9rocsparseL44csr2gebsr_wavefront_per_row_multipass_kernelILi256ELi4ELi64ELi64E21rocsparse_complex_numIdEEEv20rocsparse_direction_iiiiii21rocsparse_index_base_PKT3_PKiS9_S4_PS5_PiSB_
; %bb.0:
	s_load_dwordx2 s[4:5], s[0:1], 0x0
	s_load_dwordx4 s[8:11], s[0:1], 0xc
	s_load_dword s33, s[0:1], 0x1c
	s_load_dwordx2 s[6:7], s[0:1], 0x28
	v_lshrrev_b32_e32 v24, 6, v0
	v_bfe_u32 v2, v0, 4, 2
	v_lshl_or_b32 v6, s2, 2, v24
	s_waitcnt lgkmcnt(0)
	v_mad_u64_u32 v[4:5], s[2:3], v6, s10, v[2:3]
	v_cmp_gt_i32_e64 s[2:3], s5, v4
	v_cmp_gt_i32_e32 vcc, s10, v2
	s_and_b64 s[2:3], vcc, s[2:3]
	v_mov_b32_e32 v25, 0
	v_mov_b32_e32 v22, 0
	s_and_saveexec_b64 s[12:13], s[2:3]
	s_cbranch_execz .LBB193_2
; %bb.1:
	v_ashrrev_i32_e32 v5, 31, v4
	v_lshl_add_u64 v[8:9], v[4:5], 2, s[6:7]
	global_load_dword v1, v[8:9], off
	s_waitcnt vmcnt(0)
	v_subrev_u32_e32 v22, s33, v1
.LBB193_2:
	s_or_b64 exec, exec, s[12:13]
	s_and_saveexec_b64 s[12:13], s[2:3]
	s_cbranch_execz .LBB193_4
; %bb.3:
	v_ashrrev_i32_e32 v5, 31, v4
	v_lshl_add_u64 v[4:5], v[4:5], 2, s[6:7]
	global_load_dword v1, v[4:5], off offset:4
	s_waitcnt vmcnt(0)
	v_subrev_u32_e32 v25, s33, v1
.LBB193_4:
	s_or_b64 exec, exec, s[12:13]
	s_load_dword s34, s[0:1], 0x38
	v_cmp_gt_i32_e64 s[2:3], s8, v6
	v_mov_b32_e32 v4, 0
	s_and_saveexec_b64 s[6:7], s[2:3]
	s_cbranch_execz .LBB193_6
; %bb.5:
	s_load_dwordx2 s[2:3], s[0:1], 0x48
	v_ashrrev_i32_e32 v7, 31, v6
	s_waitcnt lgkmcnt(0)
	v_lshl_add_u64 v[4:5], v[6:7], 2, s[2:3]
	global_load_dword v1, v[4:5], off
	s_waitcnt vmcnt(0)
	v_subrev_u32_e32 v4, s34, v1
.LBB193_6:
	s_or_b64 exec, exec, s[6:7]
	s_cmp_lt_i32 s9, 1
	s_cbranch_scc1 .LBB193_42
; %bb.7:
	v_and_b32_e32 v26, 15, v0
	v_lshlrev_b32_e32 v0, 8, v24
	s_load_dwordx2 s[12:13], s[0:1], 0x20
	s_load_dwordx2 s[14:15], s[0:1], 0x50
	;; [unrolled: 1-line block ×4, first 2 shown]
	v_lshl_or_b32 v27, v2, 6, v0
	v_mbcnt_lo_u32_b32 v0, -1, 0
	v_mbcnt_hi_u32_b32 v0, -1, v0
	v_lshlrev_b32_e32 v3, 2, v0
	v_mul_lo_u32 v0, v2, s11
	v_mov_b32_e32 v7, 0
	s_cmp_lg_u32 s4, 0
	v_lshlrev_b32_e32 v6, 4, v2
	v_ashrrev_i32_e32 v1, 31, v0
	s_cselect_b64 s[18:19], -1, 0
	s_ashr_i32 s8, s11, 31
	s_waitcnt lgkmcnt(0)
	v_lshl_add_u64 v[8:9], s[2:3], 0, v[6:7]
	v_lshl_add_u64 v[0:1], v[0:1], 4, s[2:3]
	v_lshlrev_b32_e32 v6, 4, v26
	s_mul_hi_u32 s0, s11, s10
	s_mul_i32 s1, s8, s10
	s_mul_i32 s36, s11, s10
	v_lshl_add_u64 v[10:11], v[0:1], 0, v[6:7]
	v_mul_lo_u32 v6, v26, s10
	s_lshl_b32 s20, s10, 4
	s_abs_i32 s10, s11
	v_cvt_f32_u32_e32 v1, s10
	v_or_b32_e32 v0, 16, v26
	v_cmp_gt_u32_e64 s[2:3], s11, v0
	v_or_b32_e32 v0, 32, v26
	v_cmp_gt_u32_e64 s[4:5], s11, v0
	;; [unrolled: 2-line block ×3, first 2 shown]
	v_rcp_iflag_f32_e32 v0, v1
	v_add_u32_e32 v12, s20, v6
	s_add_i32 s35, s0, s1
	v_cmp_gt_u32_e64 s[0:1], s11, v26
	v_mul_f32_e32 v0, 0x4f7ffffe, v0
	v_cvt_u32_f32_e32 v0, v0
	v_add_u32_e32 v14, s20, v12
	v_add_u32_e32 v16, s20, v14
	s_and_b64 s[20:21], s[0:1], vcc
	s_sub_i32 s0, 0, s10
	v_or_b32_e32 v5, v27, v26
	v_mul_lo_u32 v1, s0, v0
	v_lshlrev_b32_e32 v30, 4, v5
	v_mul_hi_u32 v1, v0, v1
	v_cndmask_b32_e64 v5, 0, 1, s[18:19]
	v_or_b32_e32 v28, 60, v3
	v_or_b32_e32 v29, 0xfc, v3
	;; [unrolled: 1-line block ×3, first 2 shown]
	v_mov_b32_e32 v13, v7
	v_or_b32_e32 v32, 0x200, v30
	v_mov_b32_e32 v15, v7
	v_or_b32_e32 v33, 0x300, v30
	v_mov_b32_e32 v17, v7
	s_and_b64 s[22:23], vcc, s[2:3]
	s_and_b64 s[4:5], vcc, s[4:5]
	;; [unrolled: 1-line block ×3, first 2 shown]
	v_add_u32_e32 v34, v0, v1
	v_or_b32_e32 v35, -16, v26
	s_mov_b64 s[24:25], 0
	v_mov_b32_e32 v0, v7
	v_mov_b32_e32 v1, v7
	;; [unrolled: 1-line block ×4, first 2 shown]
	s_mov_b64 s[26:27], 0x100
	v_cmp_ne_u32_e64 s[0:1], 1, v5
	v_mov_b32_e32 v36, 1
	v_mov_b32_e32 v5, v7
	s_branch .LBB193_11
.LBB193_8:                              ;   in Loop: Header=BB193_11 Depth=1
	v_mov_b32_e32 v23, s37
.LBB193_9:                              ;   in Loop: Header=BB193_11 Depth=1
	s_or_b64 exec, exec, s[28:29]
.LBB193_10:                             ;   in Loop: Header=BB193_11 Depth=1
	s_or_b64 exec, exec, s[2:3]
	v_mov_b32_dpp v5, v37 row_shr:1 row_mask:0xf bank_mask:0xf
	v_min_i32_e32 v5, v5, v37
	v_add_u32_e32 v4, v23, v4
	s_waitcnt lgkmcnt(0)
	v_mov_b32_dpp v18, v5 row_shr:2 row_mask:0xf bank_mask:0xf
	v_min_i32_e32 v5, v18, v5
	s_nop 1
	v_mov_b32_dpp v18, v5 row_shr:4 row_mask:0xf bank_mask:0xe
	v_min_i32_e32 v5, v18, v5
	s_nop 1
	;; [unrolled: 3-line block ×3, first 2 shown]
	v_mov_b32_dpp v18, v5 row_bcast:15 row_mask:0xa bank_mask:0xf
	v_min_i32_e32 v5, v18, v5
	s_nop 1
	v_mov_b32_dpp v18, v5 row_bcast:31 row_mask:0xc bank_mask:0xf
	v_min_i32_e32 v5, v18, v5
	ds_bpermute_b32 v5, v29, v5
	s_waitcnt lgkmcnt(0)
	v_cmp_le_i32_e32 vcc, s9, v5
	s_or_b64 s[24:25], vcc, s[24:25]
	s_andn2_b64 exec, exec, s[24:25]
	s_cbranch_execz .LBB193_42
.LBB193_11:                             ; =>This Loop Header: Depth=1
                                        ;     Child Loop BB193_12 Depth 2
                                        ;     Child Loop BB193_16 Depth 2
	s_mov_b64 s[2:3], 0
	v_mov_b32_e32 v18, v30
	v_mov_b32_e32 v19, v35
	ds_write_b8 v24, v7 offset:16384
.LBB193_12:                             ;   Parent Loop BB193_11 Depth=1
                                        ; =>  This Inner Loop Header: Depth=2
	v_add_u32_e32 v19, 16, v19
	v_cmp_lt_u32_e32 vcc, 47, v19
	ds_write_b128 v18, v[0:3]
	s_or_b64 s[2:3], vcc, s[2:3]
	v_add_u32_e32 v18, 0x100, v18
	s_andn2_b64 exec, exec, s[2:3]
	s_cbranch_execnz .LBB193_12
; %bb.13:                               ;   in Loop: Header=BB193_11 Depth=1
	s_or_b64 exec, exec, s[2:3]
	v_add_u32_e32 v18, v22, v26
	v_cmp_lt_i32_e32 vcc, v18, v25
	v_mov_b32_e32 v37, s9
	v_mov_b32_e32 v19, v25
	s_waitcnt lgkmcnt(0)
	s_and_saveexec_b64 s[28:29], vcc
	s_cbranch_execz .LBB193_21
; %bb.14:                               ;   in Loop: Header=BB193_11 Depth=1
	v_ashrrev_i32_e32 v19, 31, v18
	v_mul_lo_u32 v38, v5, s11
	v_lshl_add_u64 v[20:21], v[18:19], 2, s[16:17]
	v_lshl_add_u64 v[22:23], v[18:19], 4, s[12:13]
	s_mov_b64 s[30:31], 0
	v_mov_b32_e32 v37, s9
	v_mov_b32_e32 v19, v25
	s_branch .LBB193_16
.LBB193_15:                             ;   in Loop: Header=BB193_16 Depth=2
	s_or_b64 exec, exec, s[2:3]
	v_add_u32_e32 v18, 16, v18
	v_cmp_ge_i32_e64 s[2:3], v18, v25
	s_xor_b64 s[38:39], vcc, -1
	s_or_b64 s[2:3], s[38:39], s[2:3]
	s_and_b64 s[2:3], exec, s[2:3]
	v_lshl_add_u64 v[20:21], v[20:21], 0, 64
	s_or_b64 s[30:31], s[2:3], s[30:31]
	v_lshl_add_u64 v[22:23], v[22:23], 0, s[26:27]
	s_andn2_b64 exec, exec, s[30:31]
	s_cbranch_execz .LBB193_20
.LBB193_16:                             ;   Parent Loop BB193_11 Depth=1
                                        ; =>  This Inner Loop Header: Depth=2
	global_load_dword v39, v[20:21], off
	s_waitcnt vmcnt(0)
	v_subrev_u32_e32 v39, s33, v39
	v_sub_u32_e32 v41, 0, v39
	v_max_i32_e32 v41, v39, v41
	v_mul_hi_u32 v42, v41, v34
	v_mul_lo_u32 v43, v42, s10
	v_sub_u32_e32 v41, v41, v43
	v_add_u32_e32 v44, 1, v42
	v_cmp_le_u32_e32 vcc, s10, v41
	v_subrev_u32_e32 v43, s10, v41
	v_ashrrev_i32_e32 v40, 31, v39
	v_cndmask_b32_e32 v42, v42, v44, vcc
	v_cndmask_b32_e32 v41, v41, v43, vcc
	v_add_u32_e32 v43, 1, v42
	v_cmp_le_u32_e32 vcc, s10, v41
	v_xor_b32_e32 v40, s8, v40
	s_nop 0
	v_cndmask_b32_e32 v41, v42, v43, vcc
	v_xor_b32_e32 v41, v41, v40
	v_sub_u32_e32 v41, v41, v40
	v_cmp_eq_u32_e32 vcc, v41, v5
	v_cmp_ne_u32_e64 s[2:3], v41, v5
	v_mov_b32_e32 v40, v19
	s_and_saveexec_b64 s[38:39], s[2:3]
	s_xor_b64 s[2:3], exec, s[38:39]
; %bb.17:                               ;   in Loop: Header=BB193_16 Depth=2
	v_min_i32_e32 v37, v41, v37
                                        ; implicit-def: $vgpr39
                                        ; implicit-def: $vgpr40
; %bb.18:                               ;   in Loop: Header=BB193_16 Depth=2
	s_or_saveexec_b64 s[2:3], s[2:3]
	v_mov_b32_e32 v19, v18
	s_xor_b64 exec, exec, s[2:3]
	s_cbranch_execz .LBB193_15
; %bb.19:                               ;   in Loop: Header=BB193_16 Depth=2
	global_load_dwordx4 v[42:45], v[22:23], off
	v_sub_u32_e32 v19, v39, v38
	v_add_lshl_u32 v19, v27, v19, 4
	ds_write_b8 v24, v36 offset:16384
	s_waitcnt vmcnt(0)
	ds_write2_b64 v19, v[42:43], v[44:45] offset1:1
	v_mov_b32_e32 v19, v40
	s_branch .LBB193_15
.LBB193_20:                             ;   in Loop: Header=BB193_11 Depth=1
	s_or_b64 exec, exec, s[30:31]
.LBB193_21:                             ;   in Loop: Header=BB193_11 Depth=1
	s_or_b64 exec, exec, s[28:29]
	v_mov_b32_dpp v18, v19 row_shr:1 row_mask:0xf bank_mask:0xf
	v_min_i32_e32 v18, v18, v19
	s_waitcnt lgkmcnt(0)
	v_mov_b32_e32 v23, 0
	v_mov_b32_dpp v19, v18 row_shr:2 row_mask:0xf bank_mask:0xf
	v_min_i32_e32 v18, v19, v18
	s_nop 1
	v_mov_b32_dpp v19, v18 row_shr:4 row_mask:0xf bank_mask:0xe
	v_min_i32_e32 v18, v19, v18
	ds_read_u8 v19, v24 offset:16384
	s_nop 0
	v_mov_b32_dpp v20, v18 row_shr:8 row_mask:0xf bank_mask:0xc
	v_min_i32_e32 v18, v20, v18
	ds_bpermute_b32 v22, v28, v18
	s_waitcnt lgkmcnt(1)
	v_and_b32_e32 v18, 1, v19
	v_cmp_eq_u32_e32 vcc, 1, v18
	s_and_saveexec_b64 s[2:3], vcc
	s_cbranch_execz .LBB193_10
; %bb.22:                               ;   in Loop: Header=BB193_11 Depth=1
	v_add_u32_e32 v20, s34, v5
	v_ashrrev_i32_e32 v5, 31, v4
	v_lshl_add_u64 v[18:19], v[4:5], 2, s[14:15]
	global_store_dword v[18:19], v20, off
	v_mul_lo_u32 v20, s35, v4
	v_mul_lo_u32 v5, s36, v5
	v_mad_u64_u32 v[18:19], s[28:29], s36, v4, 0
	v_add3_u32 v19, v19, v5, v20
	v_lshlrev_b64 v[18:19], 4, v[18:19]
	v_lshl_add_u64 v[20:21], v[8:9], 0, v[18:19]
	v_lshl_add_u64 v[18:19], v[10:11], 0, v[18:19]
	s_and_saveexec_b64 s[28:29], s[20:21]
	s_cbranch_execz .LBB193_26
; %bb.23:                               ;   in Loop: Header=BB193_11 Depth=1
	s_and_b64 vcc, exec, s[18:19]
	s_cbranch_vccz .LBB193_37
; %bb.24:                               ;   in Loop: Header=BB193_11 Depth=1
	ds_read2_b64 v[38:41], v30 offset1:1
	v_lshl_add_u64 v[42:43], v[6:7], 4, v[20:21]
	s_waitcnt lgkmcnt(0)
	global_store_dwordx4 v[42:43], v[38:41], off
	s_cbranch_execnz .LBB193_26
.LBB193_25:                             ;   in Loop: Header=BB193_11 Depth=1
	ds_read2_b64 v[38:41], v30 offset1:1
	s_waitcnt lgkmcnt(0)
	global_store_dwordx4 v[18:19], v[38:41], off
.LBB193_26:                             ;   in Loop: Header=BB193_11 Depth=1
	s_or_b64 exec, exec, s[28:29]
	s_and_saveexec_b64 s[28:29], s[22:23]
	s_cbranch_execz .LBB193_30
; %bb.27:                               ;   in Loop: Header=BB193_11 Depth=1
	s_and_b64 vcc, exec, s[0:1]
	s_cbranch_vccnz .LBB193_38
; %bb.28:                               ;   in Loop: Header=BB193_11 Depth=1
	ds_read2_b64 v[38:41], v31 offset1:1
	v_lshl_add_u64 v[42:43], v[12:13], 4, v[20:21]
	s_waitcnt lgkmcnt(0)
	global_store_dwordx4 v[42:43], v[38:41], off
	s_cbranch_execnz .LBB193_30
.LBB193_29:                             ;   in Loop: Header=BB193_11 Depth=1
	ds_read2_b64 v[38:41], v31 offset1:1
	s_waitcnt lgkmcnt(0)
	global_store_dwordx4 v[18:19], v[38:41], off offset:256
.LBB193_30:                             ;   in Loop: Header=BB193_11 Depth=1
	s_or_b64 exec, exec, s[28:29]
	s_and_saveexec_b64 s[28:29], s[4:5]
	s_cbranch_execz .LBB193_34
; %bb.31:                               ;   in Loop: Header=BB193_11 Depth=1
	s_and_b64 vcc, exec, s[0:1]
	s_cbranch_vccnz .LBB193_39
; %bb.32:                               ;   in Loop: Header=BB193_11 Depth=1
	ds_read2_b64 v[38:41], v32 offset1:1
	v_lshl_add_u64 v[42:43], v[14:15], 4, v[20:21]
	s_waitcnt lgkmcnt(0)
	global_store_dwordx4 v[42:43], v[38:41], off
	s_cbranch_execnz .LBB193_34
.LBB193_33:                             ;   in Loop: Header=BB193_11 Depth=1
	ds_read2_b64 v[38:41], v32 offset1:1
	s_waitcnt lgkmcnt(0)
	global_store_dwordx4 v[18:19], v[38:41], off offset:512
.LBB193_34:                             ;   in Loop: Header=BB193_11 Depth=1
	s_or_b64 exec, exec, s[28:29]
	v_mov_b32_e32 v23, 1
	s_and_saveexec_b64 s[28:29], s[6:7]
	s_cbranch_execz .LBB193_9
; %bb.35:                               ;   in Loop: Header=BB193_11 Depth=1
	s_and_b64 vcc, exec, s[0:1]
	s_cbranch_vccnz .LBB193_40
; %bb.36:                               ;   in Loop: Header=BB193_11 Depth=1
	ds_read2_b64 v[38:41], v33 offset1:1
	v_lshl_add_u64 v[20:21], v[16:17], 4, v[20:21]
	s_mov_b32 s37, 1
	s_waitcnt lgkmcnt(0)
	global_store_dwordx4 v[20:21], v[38:41], off
	s_cbranch_execnz .LBB193_8
	s_branch .LBB193_41
.LBB193_37:                             ;   in Loop: Header=BB193_11 Depth=1
	s_branch .LBB193_25
.LBB193_38:                             ;   in Loop: Header=BB193_11 Depth=1
	s_branch .LBB193_29
.LBB193_39:                             ;   in Loop: Header=BB193_11 Depth=1
	s_branch .LBB193_33
.LBB193_40:                             ;   in Loop: Header=BB193_11 Depth=1
                                        ; implicit-def: $sgpr37
.LBB193_41:                             ;   in Loop: Header=BB193_11 Depth=1
	ds_read2_b64 v[38:41], v33 offset1:1
	s_mov_b32 s37, 1
	s_waitcnt lgkmcnt(0)
	global_store_dwordx4 v[18:19], v[38:41], off offset:768
	s_branch .LBB193_8
.LBB193_42:
	s_endpgm
	.section	.rodata,"a",@progbits
	.p2align	6, 0x0
	.amdhsa_kernel _ZN9rocsparseL44csr2gebsr_wavefront_per_row_multipass_kernelILi256ELi4ELi64ELi64E21rocsparse_complex_numIdEEEv20rocsparse_direction_iiiiii21rocsparse_index_base_PKT3_PKiS9_S4_PS5_PiSB_
		.amdhsa_group_segment_fixed_size 16392
		.amdhsa_private_segment_fixed_size 0
		.amdhsa_kernarg_size 88
		.amdhsa_user_sgpr_count 2
		.amdhsa_user_sgpr_dispatch_ptr 0
		.amdhsa_user_sgpr_queue_ptr 0
		.amdhsa_user_sgpr_kernarg_segment_ptr 1
		.amdhsa_user_sgpr_dispatch_id 0
		.amdhsa_user_sgpr_kernarg_preload_length 0
		.amdhsa_user_sgpr_kernarg_preload_offset 0
		.amdhsa_user_sgpr_private_segment_size 0
		.amdhsa_uses_dynamic_stack 0
		.amdhsa_enable_private_segment 0
		.amdhsa_system_sgpr_workgroup_id_x 1
		.amdhsa_system_sgpr_workgroup_id_y 0
		.amdhsa_system_sgpr_workgroup_id_z 0
		.amdhsa_system_sgpr_workgroup_info 0
		.amdhsa_system_vgpr_workitem_id 0
		.amdhsa_next_free_vgpr 46
		.amdhsa_next_free_sgpr 40
		.amdhsa_accum_offset 48
		.amdhsa_reserve_vcc 1
		.amdhsa_float_round_mode_32 0
		.amdhsa_float_round_mode_16_64 0
		.amdhsa_float_denorm_mode_32 3
		.amdhsa_float_denorm_mode_16_64 3
		.amdhsa_dx10_clamp 1
		.amdhsa_ieee_mode 1
		.amdhsa_fp16_overflow 0
		.amdhsa_tg_split 0
		.amdhsa_exception_fp_ieee_invalid_op 0
		.amdhsa_exception_fp_denorm_src 0
		.amdhsa_exception_fp_ieee_div_zero 0
		.amdhsa_exception_fp_ieee_overflow 0
		.amdhsa_exception_fp_ieee_underflow 0
		.amdhsa_exception_fp_ieee_inexact 0
		.amdhsa_exception_int_div_zero 0
	.end_amdhsa_kernel
	.section	.text._ZN9rocsparseL44csr2gebsr_wavefront_per_row_multipass_kernelILi256ELi4ELi64ELi64E21rocsparse_complex_numIdEEEv20rocsparse_direction_iiiiii21rocsparse_index_base_PKT3_PKiS9_S4_PS5_PiSB_,"axG",@progbits,_ZN9rocsparseL44csr2gebsr_wavefront_per_row_multipass_kernelILi256ELi4ELi64ELi64E21rocsparse_complex_numIdEEEv20rocsparse_direction_iiiiii21rocsparse_index_base_PKT3_PKiS9_S4_PS5_PiSB_,comdat
.Lfunc_end193:
	.size	_ZN9rocsparseL44csr2gebsr_wavefront_per_row_multipass_kernelILi256ELi4ELi64ELi64E21rocsparse_complex_numIdEEEv20rocsparse_direction_iiiiii21rocsparse_index_base_PKT3_PKiS9_S4_PS5_PiSB_, .Lfunc_end193-_ZN9rocsparseL44csr2gebsr_wavefront_per_row_multipass_kernelILi256ELi4ELi64ELi64E21rocsparse_complex_numIdEEEv20rocsparse_direction_iiiiii21rocsparse_index_base_PKT3_PKiS9_S4_PS5_PiSB_
                                        ; -- End function
	.section	.AMDGPU.csdata,"",@progbits
; Kernel info:
; codeLenInByte = 1664
; NumSgprs: 46
; NumVgprs: 46
; NumAgprs: 0
; TotalNumVgprs: 46
; ScratchSize: 0
; MemoryBound: 0
; FloatMode: 240
; IeeeMode: 1
; LDSByteSize: 16392 bytes/workgroup (compile time only)
; SGPRBlocks: 5
; VGPRBlocks: 5
; NumSGPRsForWavesPerEU: 46
; NumVGPRsForWavesPerEU: 46
; AccumOffset: 48
; Occupancy: 3
; WaveLimiterHint : 0
; COMPUTE_PGM_RSRC2:SCRATCH_EN: 0
; COMPUTE_PGM_RSRC2:USER_SGPR: 2
; COMPUTE_PGM_RSRC2:TRAP_HANDLER: 0
; COMPUTE_PGM_RSRC2:TGID_X_EN: 1
; COMPUTE_PGM_RSRC2:TGID_Y_EN: 0
; COMPUTE_PGM_RSRC2:TGID_Z_EN: 0
; COMPUTE_PGM_RSRC2:TIDIG_COMP_CNT: 0
; COMPUTE_PGM_RSRC3_GFX90A:ACCUM_OFFSET: 11
; COMPUTE_PGM_RSRC3_GFX90A:TG_SPLIT: 0
	.section	.text._ZN9rocsparseL44csr2gebsr_wavefront_per_row_multipass_kernelILi256ELi4ELi64ELi32E21rocsparse_complex_numIdEEEv20rocsparse_direction_iiiiii21rocsparse_index_base_PKT3_PKiS9_S4_PS5_PiSB_,"axG",@progbits,_ZN9rocsparseL44csr2gebsr_wavefront_per_row_multipass_kernelILi256ELi4ELi64ELi32E21rocsparse_complex_numIdEEEv20rocsparse_direction_iiiiii21rocsparse_index_base_PKT3_PKiS9_S4_PS5_PiSB_,comdat
	.globl	_ZN9rocsparseL44csr2gebsr_wavefront_per_row_multipass_kernelILi256ELi4ELi64ELi32E21rocsparse_complex_numIdEEEv20rocsparse_direction_iiiiii21rocsparse_index_base_PKT3_PKiS9_S4_PS5_PiSB_ ; -- Begin function _ZN9rocsparseL44csr2gebsr_wavefront_per_row_multipass_kernelILi256ELi4ELi64ELi32E21rocsparse_complex_numIdEEEv20rocsparse_direction_iiiiii21rocsparse_index_base_PKT3_PKiS9_S4_PS5_PiSB_
	.p2align	8
	.type	_ZN9rocsparseL44csr2gebsr_wavefront_per_row_multipass_kernelILi256ELi4ELi64ELi32E21rocsparse_complex_numIdEEEv20rocsparse_direction_iiiiii21rocsparse_index_base_PKT3_PKiS9_S4_PS5_PiSB_,@function
_ZN9rocsparseL44csr2gebsr_wavefront_per_row_multipass_kernelILi256ELi4ELi64ELi32E21rocsparse_complex_numIdEEEv20rocsparse_direction_iiiiii21rocsparse_index_base_PKT3_PKiS9_S4_PS5_PiSB_: ; @_ZN9rocsparseL44csr2gebsr_wavefront_per_row_multipass_kernelILi256ELi4ELi64ELi32E21rocsparse_complex_numIdEEEv20rocsparse_direction_iiiiii21rocsparse_index_base_PKT3_PKiS9_S4_PS5_PiSB_
; %bb.0:
	s_load_dwordx2 s[4:5], s[0:1], 0x0
	s_load_dwordx4 s[16:19], s[0:1], 0xc
	s_load_dword s33, s[0:1], 0x1c
	s_load_dwordx2 s[6:7], s[0:1], 0x28
	v_lshrrev_b32_e32 v34, 5, v0
	v_bfe_u32 v2, v0, 3, 2
	v_lshl_or_b32 v6, s2, 3, v34
	s_waitcnt lgkmcnt(0)
	v_mad_u64_u32 v[4:5], s[2:3], v6, s18, v[2:3]
	v_cmp_gt_i32_e64 s[2:3], s5, v4
	v_cmp_gt_i32_e32 vcc, s18, v2
	s_and_b64 s[2:3], vcc, s[2:3]
	v_mov_b32_e32 v35, 0
	v_mov_b32_e32 v24, 0
	s_and_saveexec_b64 s[8:9], s[2:3]
	s_cbranch_execz .LBB194_2
; %bb.1:
	v_ashrrev_i32_e32 v5, 31, v4
	v_lshl_add_u64 v[8:9], v[4:5], 2, s[6:7]
	global_load_dword v1, v[8:9], off
	s_waitcnt vmcnt(0)
	v_subrev_u32_e32 v24, s33, v1
.LBB194_2:
	s_or_b64 exec, exec, s[8:9]
	s_and_saveexec_b64 s[8:9], s[2:3]
	s_cbranch_execz .LBB194_4
; %bb.3:
	v_ashrrev_i32_e32 v5, 31, v4
	v_lshl_add_u64 v[4:5], v[4:5], 2, s[6:7]
	global_load_dword v1, v[4:5], off offset:4
	s_waitcnt vmcnt(0)
	v_subrev_u32_e32 v35, s33, v1
.LBB194_4:
	s_or_b64 exec, exec, s[8:9]
	s_load_dword s42, s[0:1], 0x38
	v_cmp_gt_i32_e64 s[2:3], s16, v6
	v_mov_b32_e32 v4, 0
	s_and_saveexec_b64 s[6:7], s[2:3]
	s_cbranch_execz .LBB194_6
; %bb.5:
	s_load_dwordx2 s[2:3], s[0:1], 0x48
	v_ashrrev_i32_e32 v7, 31, v6
	s_waitcnt lgkmcnt(0)
	v_lshl_add_u64 v[4:5], v[6:7], 2, s[2:3]
	global_load_dword v1, v[4:5], off
	s_waitcnt vmcnt(0)
	v_subrev_u32_e32 v4, s42, v1
.LBB194_6:
	s_or_b64 exec, exec, s[6:7]
	s_cmp_lt_i32 s17, 1
	s_cbranch_scc1 .LBB194_60
; %bb.7:
	v_and_b32_e32 v6, 7, v0
	v_lshlrev_b32_e32 v0, 8, v34
	s_load_dwordx2 s[24:25], s[0:1], 0x20
	s_load_dwordx2 s[26:27], s[0:1], 0x50
	;; [unrolled: 1-line block ×4, first 2 shown]
	v_lshl_or_b32 v36, v2, 6, v0
	v_mbcnt_lo_u32_b32 v0, -1, 0
	v_mbcnt_hi_u32_b32 v0, -1, v0
	v_lshlrev_b32_e32 v3, 2, v0
	v_mul_lo_u32 v0, v2, s19
	s_cmp_lg_u32 s4, 0
	v_lshlrev_b32_e32 v8, 4, v2
	v_mov_b32_e32 v9, 0
	v_ashrrev_i32_e32 v1, 31, v0
	s_cselect_b64 s[30:31], -1, 0
	s_ashr_i32 s16, s19, 31
	s_waitcnt lgkmcnt(0)
	v_lshl_add_u64 v[10:11], s[2:3], 0, v[8:9]
	v_lshl_add_u64 v[0:1], v[0:1], 4, s[2:3]
	v_lshlrev_b32_e32 v8, 4, v6
	s_mul_hi_u32 s0, s19, s18
	s_mul_i32 s1, s16, s18
	s_mul_i32 s44, s19, s18
	v_lshl_add_u64 v[12:13], v[0:1], 0, v[8:9]
	v_mul_lo_u32 v8, v6, s18
	s_lshl_b32 s18, s18, 3
	v_or_b32_e32 v0, 8, v6
	v_add_u32_e32 v14, s18, v8
	v_cmp_gt_u32_e64 s[2:3], s19, v0
	v_or_b32_e32 v0, 16, v6
	v_add_u32_e32 v16, s18, v14
	v_cmp_gt_u32_e64 s[4:5], s19, v0
	;; [unrolled: 3-line block ×6, first 2 shown]
	v_or_b32_e32 v0, 56, v6
	v_add_u32_e32 v28, s18, v26
	s_abs_i32 s18, s19
	v_cmp_gt_u32_e64 s[14:15], s19, v0
	v_cvt_f32_u32_e32 v0, s18
	s_add_i32 s43, s0, s1
	v_cmp_gt_u32_e64 s[0:1], s19, v6
	s_and_b64 s[34:35], s[0:1], vcc
	v_rcp_iflag_f32_e32 v0, v0
	s_sub_i32 s0, 0, s18
	s_mov_b32 s20, 0
	v_or_b32_e32 v5, v36, v6
	v_mul_f32_e32 v0, 0x4f7ffffe, v0
	v_cvt_u32_f32_e32 v0, v0
	s_mov_b32 s21, s20
	v_or_b32_e32 v38, 28, v3
	v_or_b32_e32 v39, 0x7c, v3
	v_mul_lo_u32 v1, s0, v0
	v_mul_hi_u32 v1, v0, v1
	v_lshlrev_b32_e32 v40, 4, v5
	v_add_u32_e32 v48, v0, v1
	s_mov_b32 s22, s20
	s_mov_b32 s23, s20
	v_mov_b64_e32 v[0:1], s[20:21]
	v_cndmask_b32_e64 v5, 0, 1, s[30:31]
	v_mov_b32_e32 v37, 0
	v_mov_b32_e32 v7, v9
	v_or_b32_e32 v41, 0x80, v40
	v_mov_b32_e32 v15, v9
	v_or_b32_e32 v42, 0x100, v40
	;; [unrolled: 2-line block ×7, first 2 shown]
	v_mov_b32_e32 v29, v9
	s_and_b64 s[36:37], vcc, s[2:3]
	s_and_b64 s[4:5], vcc, s[4:5]
	;; [unrolled: 1-line block ×7, first 2 shown]
	s_mov_b64 s[38:39], 0
	v_mov_b64_e32 v[2:3], s[22:23]
	s_mov_b64 s[20:21], 0x80
	v_cmp_ne_u32_e64 s[0:1], 1, v5
	v_mov_b32_e32 v49, 1
	v_mov_b32_e32 v5, 0
	s_branch .LBB194_11
.LBB194_8:                              ;   in Loop: Header=BB194_11 Depth=1
	v_mov_b32_e32 v25, s45
.LBB194_9:                              ;   in Loop: Header=BB194_11 Depth=1
	s_or_b64 exec, exec, s[22:23]
.LBB194_10:                             ;   in Loop: Header=BB194_11 Depth=1
	s_or_b64 exec, exec, s[2:3]
	v_mov_b32_dpp v5, v50 row_shr:1 row_mask:0xf bank_mask:0xf
	v_min_i32_e32 v5, v5, v50
	v_add_u32_e32 v4, v25, v4
	s_waitcnt lgkmcnt(0)
	v_mov_b32_dpp v30, v5 row_shr:2 row_mask:0xf bank_mask:0xf
	v_min_i32_e32 v5, v30, v5
	s_nop 1
	v_mov_b32_dpp v30, v5 row_shr:4 row_mask:0xf bank_mask:0xe
	v_min_i32_e32 v5, v30, v5
	s_nop 1
	;; [unrolled: 3-line block ×3, first 2 shown]
	v_mov_b32_dpp v30, v5 row_bcast:15 row_mask:0xa bank_mask:0xf
	v_min_i32_e32 v5, v30, v5
	ds_bpermute_b32 v5, v39, v5
	s_waitcnt lgkmcnt(0)
	v_cmp_le_i32_e32 vcc, s17, v5
	s_or_b64 s[38:39], vcc, s[38:39]
	s_andn2_b64 exec, exec, s[38:39]
	s_cbranch_execz .LBB194_60
.LBB194_11:                             ; =>This Loop Header: Depth=1
                                        ;     Child Loop BB194_14 Depth 2
	v_add_u32_e32 v32, v24, v6
	v_cmp_lt_i32_e32 vcc, v32, v35
	v_mov_b32_e32 v50, s17
	v_mov_b32_e32 v51, v35
	ds_write_b8 v34, v37 offset:32768
	ds_write_b128 v40, v[0:3]
	ds_write_b128 v40, v[0:3] offset:128
	ds_write_b128 v40, v[0:3] offset:256
	;; [unrolled: 1-line block ×7, first 2 shown]
	s_waitcnt lgkmcnt(0)
	s_and_saveexec_b64 s[22:23], vcc
	s_cbranch_execz .LBB194_19
; %bb.12:                               ;   in Loop: Header=BB194_11 Depth=1
	v_ashrrev_i32_e32 v25, 31, v24
	v_lshl_add_u64 v[30:31], v[6:7], 0, v[24:25]
	v_mul_lo_u32 v33, v5, s19
	v_lshl_add_u64 v[24:25], v[30:31], 2, s[28:29]
	v_lshl_add_u64 v[30:31], v[30:31], 4, s[24:25]
	s_mov_b64 s[40:41], 0
	v_mov_b32_e32 v50, s17
	v_mov_b32_e32 v51, v35
	s_branch .LBB194_14
.LBB194_13:                             ;   in Loop: Header=BB194_14 Depth=2
	s_or_b64 exec, exec, s[2:3]
	v_add_u32_e32 v32, 8, v32
	v_cmp_ge_i32_e64 s[2:3], v32, v35
	s_xor_b64 s[46:47], vcc, -1
	s_or_b64 s[2:3], s[46:47], s[2:3]
	s_and_b64 s[2:3], exec, s[2:3]
	v_lshl_add_u64 v[24:25], v[24:25], 0, 32
	s_or_b64 s[40:41], s[2:3], s[40:41]
	v_lshl_add_u64 v[30:31], v[30:31], 0, s[20:21]
	s_andn2_b64 exec, exec, s[40:41]
	s_cbranch_execz .LBB194_18
.LBB194_14:                             ;   Parent Loop BB194_11 Depth=1
                                        ; =>  This Inner Loop Header: Depth=2
	global_load_dword v52, v[24:25], off
	s_waitcnt vmcnt(0)
	v_subrev_u32_e32 v52, s33, v52
	v_sub_u32_e32 v54, 0, v52
	v_max_i32_e32 v54, v52, v54
	v_mul_hi_u32 v55, v54, v48
	v_mul_lo_u32 v56, v55, s18
	v_sub_u32_e32 v54, v54, v56
	v_add_u32_e32 v57, 1, v55
	v_cmp_le_u32_e32 vcc, s18, v54
	v_subrev_u32_e32 v56, s18, v54
	v_ashrrev_i32_e32 v53, 31, v52
	v_cndmask_b32_e32 v55, v55, v57, vcc
	v_cndmask_b32_e32 v54, v54, v56, vcc
	v_add_u32_e32 v56, 1, v55
	v_cmp_le_u32_e32 vcc, s18, v54
	v_xor_b32_e32 v53, s16, v53
	s_nop 0
	v_cndmask_b32_e32 v54, v55, v56, vcc
	v_xor_b32_e32 v54, v54, v53
	v_sub_u32_e32 v54, v54, v53
	v_cmp_eq_u32_e32 vcc, v54, v5
	v_cmp_ne_u32_e64 s[2:3], v54, v5
	v_mov_b32_e32 v53, v51
	s_and_saveexec_b64 s[46:47], s[2:3]
	s_xor_b64 s[2:3], exec, s[46:47]
; %bb.15:                               ;   in Loop: Header=BB194_14 Depth=2
	v_min_i32_e32 v50, v54, v50
                                        ; implicit-def: $vgpr52
                                        ; implicit-def: $vgpr53
; %bb.16:                               ;   in Loop: Header=BB194_14 Depth=2
	s_or_saveexec_b64 s[2:3], s[2:3]
	v_mov_b32_e32 v51, v32
	s_xor_b64 exec, exec, s[2:3]
	s_cbranch_execz .LBB194_13
; %bb.17:                               ;   in Loop: Header=BB194_14 Depth=2
	global_load_dwordx4 v[54:57], v[30:31], off
	v_sub_u32_e32 v51, v52, v33
	v_add_lshl_u32 v51, v36, v51, 4
	ds_write_b8 v34, v49 offset:32768
	s_waitcnt vmcnt(0)
	ds_write2_b64 v51, v[54:55], v[56:57] offset1:1
	v_mov_b32_e32 v51, v53
	s_branch .LBB194_13
.LBB194_18:                             ;   in Loop: Header=BB194_11 Depth=1
	s_or_b64 exec, exec, s[40:41]
.LBB194_19:                             ;   in Loop: Header=BB194_11 Depth=1
	s_or_b64 exec, exec, s[22:23]
	v_mov_b32_dpp v24, v51 row_shr:1 row_mask:0xf bank_mask:0xf
	v_min_i32_e32 v24, v24, v51
	s_waitcnt lgkmcnt(0)
	s_nop 0
	v_mov_b32_dpp v25, v24 row_shr:2 row_mask:0xf bank_mask:0xf
	v_min_i32_e32 v24, v25, v24
	ds_read_u8 v25, v34 offset:32768
	s_waitcnt lgkmcnt(0)
	v_and_b32_e32 v25, 1, v25
	v_mov_b32_dpp v30, v24 row_shr:4 row_mask:0xf bank_mask:0xe
	v_min_i32_e32 v24, v30, v24
	ds_bpermute_b32 v24, v38, v24
	v_cmp_eq_u32_e32 vcc, 1, v25
	v_mov_b32_e32 v25, 0
	s_and_saveexec_b64 s[2:3], vcc
	s_cbranch_execz .LBB194_10
; %bb.20:                               ;   in Loop: Header=BB194_11 Depth=1
	v_add_u32_e32 v25, s42, v5
	v_ashrrev_i32_e32 v5, 31, v4
	v_lshl_add_u64 v[30:31], v[4:5], 2, s[26:27]
	global_store_dword v[30:31], v25, off
	v_mul_lo_u32 v25, s43, v4
	v_mul_lo_u32 v5, s44, v5
	v_mad_u64_u32 v[30:31], s[22:23], s44, v4, 0
	v_add3_u32 v31, v31, v5, v25
	v_lshlrev_b64 v[30:31], 4, v[30:31]
	v_lshl_add_u64 v[32:33], v[10:11], 0, v[30:31]
	v_lshl_add_u64 v[30:31], v[12:13], 0, v[30:31]
	s_and_saveexec_b64 s[22:23], s[34:35]
	s_cbranch_execz .LBB194_24
; %bb.21:                               ;   in Loop: Header=BB194_11 Depth=1
	s_and_b64 vcc, exec, s[30:31]
	s_cbranch_vccz .LBB194_51
; %bb.22:                               ;   in Loop: Header=BB194_11 Depth=1
	ds_read2_b64 v[52:55], v40 offset1:1
	v_lshl_add_u64 v[56:57], v[8:9], 4, v[32:33]
	s_waitcnt lgkmcnt(0)
	global_store_dwordx4 v[56:57], v[52:55], off
	s_cbranch_execnz .LBB194_24
.LBB194_23:                             ;   in Loop: Header=BB194_11 Depth=1
	ds_read2_b64 v[52:55], v40 offset1:1
	s_waitcnt lgkmcnt(0)
	global_store_dwordx4 v[30:31], v[52:55], off
.LBB194_24:                             ;   in Loop: Header=BB194_11 Depth=1
	s_or_b64 exec, exec, s[22:23]
	s_and_saveexec_b64 s[22:23], s[36:37]
	s_cbranch_execz .LBB194_28
; %bb.25:                               ;   in Loop: Header=BB194_11 Depth=1
	s_and_b64 vcc, exec, s[0:1]
	s_cbranch_vccnz .LBB194_52
; %bb.26:                               ;   in Loop: Header=BB194_11 Depth=1
	ds_read2_b64 v[52:55], v41 offset1:1
	v_lshl_add_u64 v[56:57], v[14:15], 4, v[32:33]
	s_waitcnt lgkmcnt(0)
	global_store_dwordx4 v[56:57], v[52:55], off
	s_cbranch_execnz .LBB194_28
.LBB194_27:                             ;   in Loop: Header=BB194_11 Depth=1
	ds_read2_b64 v[52:55], v41 offset1:1
	s_waitcnt lgkmcnt(0)
	global_store_dwordx4 v[30:31], v[52:55], off offset:128
.LBB194_28:                             ;   in Loop: Header=BB194_11 Depth=1
	s_or_b64 exec, exec, s[22:23]
	s_and_saveexec_b64 s[22:23], s[4:5]
	s_cbranch_execz .LBB194_32
; %bb.29:                               ;   in Loop: Header=BB194_11 Depth=1
	s_and_b64 vcc, exec, s[0:1]
	s_cbranch_vccnz .LBB194_53
; %bb.30:                               ;   in Loop: Header=BB194_11 Depth=1
	ds_read2_b64 v[52:55], v42 offset1:1
	v_lshl_add_u64 v[56:57], v[16:17], 4, v[32:33]
	s_waitcnt lgkmcnt(0)
	global_store_dwordx4 v[56:57], v[52:55], off
	s_cbranch_execnz .LBB194_32
.LBB194_31:                             ;   in Loop: Header=BB194_11 Depth=1
	ds_read2_b64 v[52:55], v42 offset1:1
	s_waitcnt lgkmcnt(0)
	global_store_dwordx4 v[30:31], v[52:55], off offset:256
.LBB194_32:                             ;   in Loop: Header=BB194_11 Depth=1
	s_or_b64 exec, exec, s[22:23]
	s_and_saveexec_b64 s[22:23], s[6:7]
	s_cbranch_execz .LBB194_36
; %bb.33:                               ;   in Loop: Header=BB194_11 Depth=1
	s_and_b64 vcc, exec, s[0:1]
	s_cbranch_vccnz .LBB194_54
; %bb.34:                               ;   in Loop: Header=BB194_11 Depth=1
	ds_read2_b64 v[52:55], v43 offset1:1
	v_lshl_add_u64 v[56:57], v[18:19], 4, v[32:33]
	s_waitcnt lgkmcnt(0)
	global_store_dwordx4 v[56:57], v[52:55], off
	s_cbranch_execnz .LBB194_36
.LBB194_35:                             ;   in Loop: Header=BB194_11 Depth=1
	ds_read2_b64 v[52:55], v43 offset1:1
	s_waitcnt lgkmcnt(0)
	global_store_dwordx4 v[30:31], v[52:55], off offset:384
.LBB194_36:                             ;   in Loop: Header=BB194_11 Depth=1
	s_or_b64 exec, exec, s[22:23]
	s_and_saveexec_b64 s[22:23], s[8:9]
	s_cbranch_execz .LBB194_40
; %bb.37:                               ;   in Loop: Header=BB194_11 Depth=1
	s_and_b64 vcc, exec, s[0:1]
	s_cbranch_vccnz .LBB194_55
; %bb.38:                               ;   in Loop: Header=BB194_11 Depth=1
	ds_read2_b64 v[52:55], v44 offset1:1
	v_lshl_add_u64 v[56:57], v[20:21], 4, v[32:33]
	s_waitcnt lgkmcnt(0)
	global_store_dwordx4 v[56:57], v[52:55], off
	s_cbranch_execnz .LBB194_40
.LBB194_39:                             ;   in Loop: Header=BB194_11 Depth=1
	ds_read2_b64 v[52:55], v44 offset1:1
	s_waitcnt lgkmcnt(0)
	global_store_dwordx4 v[30:31], v[52:55], off offset:512
.LBB194_40:                             ;   in Loop: Header=BB194_11 Depth=1
	s_or_b64 exec, exec, s[22:23]
	s_and_saveexec_b64 s[22:23], s[10:11]
	s_cbranch_execz .LBB194_44
; %bb.41:                               ;   in Loop: Header=BB194_11 Depth=1
	s_and_b64 vcc, exec, s[0:1]
	s_cbranch_vccnz .LBB194_56
; %bb.42:                               ;   in Loop: Header=BB194_11 Depth=1
	ds_read2_b64 v[52:55], v45 offset1:1
	v_lshl_add_u64 v[56:57], v[22:23], 4, v[32:33]
	s_waitcnt lgkmcnt(0)
	global_store_dwordx4 v[56:57], v[52:55], off
	s_cbranch_execnz .LBB194_44
.LBB194_43:                             ;   in Loop: Header=BB194_11 Depth=1
	ds_read2_b64 v[52:55], v45 offset1:1
	s_waitcnt lgkmcnt(0)
	global_store_dwordx4 v[30:31], v[52:55], off offset:640
.LBB194_44:                             ;   in Loop: Header=BB194_11 Depth=1
	s_or_b64 exec, exec, s[22:23]
	s_and_saveexec_b64 s[22:23], s[12:13]
	s_cbranch_execz .LBB194_48
; %bb.45:                               ;   in Loop: Header=BB194_11 Depth=1
	s_and_b64 vcc, exec, s[0:1]
	s_cbranch_vccnz .LBB194_57
; %bb.46:                               ;   in Loop: Header=BB194_11 Depth=1
	ds_read2_b64 v[52:55], v46 offset1:1
	v_lshl_add_u64 v[56:57], v[26:27], 4, v[32:33]
	s_waitcnt lgkmcnt(0)
	global_store_dwordx4 v[56:57], v[52:55], off
	s_cbranch_execnz .LBB194_48
.LBB194_47:                             ;   in Loop: Header=BB194_11 Depth=1
	ds_read2_b64 v[52:55], v46 offset1:1
	s_waitcnt lgkmcnt(0)
	global_store_dwordx4 v[30:31], v[52:55], off offset:768
.LBB194_48:                             ;   in Loop: Header=BB194_11 Depth=1
	s_or_b64 exec, exec, s[22:23]
	v_mov_b32_e32 v25, 1
	s_and_saveexec_b64 s[22:23], s[14:15]
	s_cbranch_execz .LBB194_9
; %bb.49:                               ;   in Loop: Header=BB194_11 Depth=1
	s_and_b64 vcc, exec, s[0:1]
	s_cbranch_vccnz .LBB194_58
; %bb.50:                               ;   in Loop: Header=BB194_11 Depth=1
	ds_read2_b64 v[52:55], v47 offset1:1
	v_lshl_add_u64 v[32:33], v[28:29], 4, v[32:33]
	s_mov_b32 s45, 1
	s_waitcnt lgkmcnt(0)
	global_store_dwordx4 v[32:33], v[52:55], off
	s_cbranch_execnz .LBB194_8
	s_branch .LBB194_59
.LBB194_51:                             ;   in Loop: Header=BB194_11 Depth=1
	s_branch .LBB194_23
.LBB194_52:                             ;   in Loop: Header=BB194_11 Depth=1
	s_branch .LBB194_27
.LBB194_53:                             ;   in Loop: Header=BB194_11 Depth=1
	s_branch .LBB194_31
.LBB194_54:                             ;   in Loop: Header=BB194_11 Depth=1
	s_branch .LBB194_35
.LBB194_55:                             ;   in Loop: Header=BB194_11 Depth=1
	s_branch .LBB194_39
.LBB194_56:                             ;   in Loop: Header=BB194_11 Depth=1
	s_branch .LBB194_43
.LBB194_57:                             ;   in Loop: Header=BB194_11 Depth=1
	s_branch .LBB194_47
.LBB194_58:                             ;   in Loop: Header=BB194_11 Depth=1
                                        ; implicit-def: $sgpr45
.LBB194_59:                             ;   in Loop: Header=BB194_11 Depth=1
	ds_read2_b64 v[52:55], v47 offset1:1
	s_mov_b32 s45, 1
	s_waitcnt lgkmcnt(0)
	global_store_dwordx4 v[30:31], v[52:55], off offset:896
	s_branch .LBB194_8
.LBB194_60:
	s_endpgm
	.section	.rodata,"a",@progbits
	.p2align	6, 0x0
	.amdhsa_kernel _ZN9rocsparseL44csr2gebsr_wavefront_per_row_multipass_kernelILi256ELi4ELi64ELi32E21rocsparse_complex_numIdEEEv20rocsparse_direction_iiiiii21rocsparse_index_base_PKT3_PKiS9_S4_PS5_PiSB_
		.amdhsa_group_segment_fixed_size 32776
		.amdhsa_private_segment_fixed_size 0
		.amdhsa_kernarg_size 88
		.amdhsa_user_sgpr_count 2
		.amdhsa_user_sgpr_dispatch_ptr 0
		.amdhsa_user_sgpr_queue_ptr 0
		.amdhsa_user_sgpr_kernarg_segment_ptr 1
		.amdhsa_user_sgpr_dispatch_id 0
		.amdhsa_user_sgpr_kernarg_preload_length 0
		.amdhsa_user_sgpr_kernarg_preload_offset 0
		.amdhsa_user_sgpr_private_segment_size 0
		.amdhsa_uses_dynamic_stack 0
		.amdhsa_enable_private_segment 0
		.amdhsa_system_sgpr_workgroup_id_x 1
		.amdhsa_system_sgpr_workgroup_id_y 0
		.amdhsa_system_sgpr_workgroup_id_z 0
		.amdhsa_system_sgpr_workgroup_info 0
		.amdhsa_system_vgpr_workitem_id 0
		.amdhsa_next_free_vgpr 58
		.amdhsa_next_free_sgpr 48
		.amdhsa_accum_offset 60
		.amdhsa_reserve_vcc 1
		.amdhsa_float_round_mode_32 0
		.amdhsa_float_round_mode_16_64 0
		.amdhsa_float_denorm_mode_32 3
		.amdhsa_float_denorm_mode_16_64 3
		.amdhsa_dx10_clamp 1
		.amdhsa_ieee_mode 1
		.amdhsa_fp16_overflow 0
		.amdhsa_tg_split 0
		.amdhsa_exception_fp_ieee_invalid_op 0
		.amdhsa_exception_fp_denorm_src 0
		.amdhsa_exception_fp_ieee_div_zero 0
		.amdhsa_exception_fp_ieee_overflow 0
		.amdhsa_exception_fp_ieee_underflow 0
		.amdhsa_exception_fp_ieee_inexact 0
		.amdhsa_exception_int_div_zero 0
	.end_amdhsa_kernel
	.section	.text._ZN9rocsparseL44csr2gebsr_wavefront_per_row_multipass_kernelILi256ELi4ELi64ELi32E21rocsparse_complex_numIdEEEv20rocsparse_direction_iiiiii21rocsparse_index_base_PKT3_PKiS9_S4_PS5_PiSB_,"axG",@progbits,_ZN9rocsparseL44csr2gebsr_wavefront_per_row_multipass_kernelILi256ELi4ELi64ELi32E21rocsparse_complex_numIdEEEv20rocsparse_direction_iiiiii21rocsparse_index_base_PKT3_PKiS9_S4_PS5_PiSB_,comdat
.Lfunc_end194:
	.size	_ZN9rocsparseL44csr2gebsr_wavefront_per_row_multipass_kernelILi256ELi4ELi64ELi32E21rocsparse_complex_numIdEEEv20rocsparse_direction_iiiiii21rocsparse_index_base_PKT3_PKiS9_S4_PS5_PiSB_, .Lfunc_end194-_ZN9rocsparseL44csr2gebsr_wavefront_per_row_multipass_kernelILi256ELi4ELi64ELi32E21rocsparse_complex_numIdEEEv20rocsparse_direction_iiiiii21rocsparse_index_base_PKT3_PKiS9_S4_PS5_PiSB_
                                        ; -- End function
	.section	.AMDGPU.csdata,"",@progbits
; Kernel info:
; codeLenInByte = 2096
; NumSgprs: 54
; NumVgprs: 58
; NumAgprs: 0
; TotalNumVgprs: 58
; ScratchSize: 0
; MemoryBound: 0
; FloatMode: 240
; IeeeMode: 1
; LDSByteSize: 32776 bytes/workgroup (compile time only)
; SGPRBlocks: 6
; VGPRBlocks: 7
; NumSGPRsForWavesPerEU: 54
; NumVGPRsForWavesPerEU: 58
; AccumOffset: 60
; Occupancy: 1
; WaveLimiterHint : 0
; COMPUTE_PGM_RSRC2:SCRATCH_EN: 0
; COMPUTE_PGM_RSRC2:USER_SGPR: 2
; COMPUTE_PGM_RSRC2:TRAP_HANDLER: 0
; COMPUTE_PGM_RSRC2:TGID_X_EN: 1
; COMPUTE_PGM_RSRC2:TGID_Y_EN: 0
; COMPUTE_PGM_RSRC2:TGID_Z_EN: 0
; COMPUTE_PGM_RSRC2:TIDIG_COMP_CNT: 0
; COMPUTE_PGM_RSRC3_GFX90A:ACCUM_OFFSET: 14
; COMPUTE_PGM_RSRC3_GFX90A:TG_SPLIT: 0
	.section	.text._ZN9rocsparseL44csr2gebsr_wavefront_per_row_multipass_kernelILi256ELi8ELi2ELi16E21rocsparse_complex_numIdEEEv20rocsparse_direction_iiiiii21rocsparse_index_base_PKT3_PKiS9_S4_PS5_PiSB_,"axG",@progbits,_ZN9rocsparseL44csr2gebsr_wavefront_per_row_multipass_kernelILi256ELi8ELi2ELi16E21rocsparse_complex_numIdEEEv20rocsparse_direction_iiiiii21rocsparse_index_base_PKT3_PKiS9_S4_PS5_PiSB_,comdat
	.globl	_ZN9rocsparseL44csr2gebsr_wavefront_per_row_multipass_kernelILi256ELi8ELi2ELi16E21rocsparse_complex_numIdEEEv20rocsparse_direction_iiiiii21rocsparse_index_base_PKT3_PKiS9_S4_PS5_PiSB_ ; -- Begin function _ZN9rocsparseL44csr2gebsr_wavefront_per_row_multipass_kernelILi256ELi8ELi2ELi16E21rocsparse_complex_numIdEEEv20rocsparse_direction_iiiiii21rocsparse_index_base_PKT3_PKiS9_S4_PS5_PiSB_
	.p2align	8
	.type	_ZN9rocsparseL44csr2gebsr_wavefront_per_row_multipass_kernelILi256ELi8ELi2ELi16E21rocsparse_complex_numIdEEEv20rocsparse_direction_iiiiii21rocsparse_index_base_PKT3_PKiS9_S4_PS5_PiSB_,@function
_ZN9rocsparseL44csr2gebsr_wavefront_per_row_multipass_kernelILi256ELi8ELi2ELi16E21rocsparse_complex_numIdEEEv20rocsparse_direction_iiiiii21rocsparse_index_base_PKT3_PKiS9_S4_PS5_PiSB_: ; @_ZN9rocsparseL44csr2gebsr_wavefront_per_row_multipass_kernelILi256ELi8ELi2ELi16E21rocsparse_complex_numIdEEEv20rocsparse_direction_iiiiii21rocsparse_index_base_PKT3_PKiS9_S4_PS5_PiSB_
; %bb.0:
	s_load_dwordx2 s[14:15], s[0:1], 0x0
	s_load_dwordx4 s[4:7], s[0:1], 0xc
	s_load_dword s20, s[0:1], 0x1c
	s_load_dwordx2 s[8:9], s[0:1], 0x28
	v_lshrrev_b32_e32 v14, 4, v0
	v_bfe_u32 v2, v0, 1, 3
	v_lshl_or_b32 v6, s2, 4, v14
	s_waitcnt lgkmcnt(0)
	v_mad_u64_u32 v[4:5], s[2:3], v6, s6, v[2:3]
	v_cmp_gt_i32_e64 s[2:3], s15, v4
	v_cmp_gt_i32_e32 vcc, s6, v2
	s_and_b64 s[2:3], vcc, s[2:3]
	v_mov_b32_e32 v15, 0
	v_mov_b32_e32 v10, 0
	s_and_saveexec_b64 s[10:11], s[2:3]
	s_cbranch_execz .LBB195_2
; %bb.1:
	v_ashrrev_i32_e32 v5, 31, v4
	v_lshl_add_u64 v[8:9], v[4:5], 2, s[8:9]
	global_load_dword v1, v[8:9], off
	s_waitcnt vmcnt(0)
	v_subrev_u32_e32 v10, s20, v1
.LBB195_2:
	s_or_b64 exec, exec, s[10:11]
	s_and_saveexec_b64 s[10:11], s[2:3]
	s_cbranch_execz .LBB195_4
; %bb.3:
	v_ashrrev_i32_e32 v5, 31, v4
	v_lshl_add_u64 v[4:5], v[4:5], 2, s[8:9]
	global_load_dword v1, v[4:5], off offset:4
	s_waitcnt vmcnt(0)
	v_subrev_u32_e32 v15, s20, v1
.LBB195_4:
	s_or_b64 exec, exec, s[10:11]
	s_load_dword s21, s[0:1], 0x38
	v_cmp_gt_i32_e64 s[2:3], s4, v6
	v_mov_b32_e32 v4, 0
	s_and_saveexec_b64 s[8:9], s[2:3]
	s_cbranch_execz .LBB195_6
; %bb.5:
	s_load_dwordx2 s[2:3], s[0:1], 0x48
	v_ashrrev_i32_e32 v7, 31, v6
	s_waitcnt lgkmcnt(0)
	v_lshl_add_u64 v[4:5], v[6:7], 2, s[2:3]
	global_load_dword v1, v[4:5], off
	s_waitcnt vmcnt(0)
	v_subrev_u32_e32 v4, s21, v1
.LBB195_6:
	s_or_b64 exec, exec, s[8:9]
	s_cmp_lt_i32 s5, 1
	s_cbranch_scc1 .LBB195_21
; %bb.7:
	v_and_b32_e32 v6, 1, v0
	v_and_b32_e32 v0, 0xf0, v0
	s_load_dwordx2 s[2:3], s[0:1], 0x20
	s_load_dwordx2 s[8:9], s[0:1], 0x50
	;; [unrolled: 1-line block ×4, first 2 shown]
	v_lshl_or_b32 v16, v2, 1, v0
	v_mbcnt_lo_u32_b32 v0, -1, 0
	v_mbcnt_hi_u32_b32 v0, -1, v0
	v_mov_b32_e32 v7, 0
	v_lshlrev_b32_e32 v5, 2, v0
	v_cmp_gt_u32_e64 s[0:1], s7, v6
	v_or_b32_e32 v0, v16, v6
	s_and_b64 s[12:13], vcc, s[0:1]
	v_lshlrev_b32_e32 v18, 4, v0
	v_mul_lo_u32 v0, v6, s6
	v_mov_b32_e32 v1, v7
	v_lshlrev_b32_e32 v8, 4, v2
	v_mul_lo_u32 v2, v2, s7
	s_cmp_eq_u32 s14, 0
	s_waitcnt lgkmcnt(0)
	v_lshl_add_u64 v[0:1], v[0:1], 4, s[16:17]
	v_mov_b32_e32 v9, v7
	v_ashrrev_i32_e32 v3, 31, v2
	v_lshl_add_u64 v[0:1], v[0:1], 0, v[8:9]
	v_lshl_add_u64 v[2:3], v[2:3], 4, s[16:17]
	v_lshlrev_b32_e32 v8, 4, v6
	s_cselect_b64 vcc, -1, 0
	s_abs_i32 s4, s7
	v_lshl_add_u64 v[2:3], v[2:3], 0, v[8:9]
	v_cvt_f32_u32_e32 v8, s4
	v_or_b32_e32 v17, 4, v5
	v_or_b32_e32 v19, 60, v5
	s_ashr_i32 s22, s7, 31
	v_rcp_iflag_f32_e32 v8, v8
	s_mul_hi_u32 s0, s7, s6
	s_mul_i32 s1, s22, s6
	s_add_i32 s23, s0, s1
	v_mul_f32_e32 v5, 0x4f7ffffe, v8
	v_cvt_u32_f32_e32 v5, v5
	s_sub_i32 s0, 0, s4
	v_cndmask_b32_e32 v8, v0, v2, vcc
	s_mul_i32 s6, s7, s6
	v_mul_lo_u32 v0, s0, v5
	v_mul_hi_u32 v0, v5, v0
	v_cndmask_b32_e32 v9, v1, v3, vcc
	v_add_u32_e32 v20, v5, v0
	s_mov_b64 s[14:15], 0
	v_mov_b32_e32 v0, v7
	v_mov_b32_e32 v1, v7
	;; [unrolled: 1-line block ×6, first 2 shown]
	s_branch .LBB195_10
.LBB195_8:                              ;   in Loop: Header=BB195_10 Depth=1
	s_or_b64 exec, exec, s[16:17]
	v_mov_b32_e32 v11, 1
.LBB195_9:                              ;   in Loop: Header=BB195_10 Depth=1
	s_or_b64 exec, exec, s[0:1]
	v_mov_b32_dpp v5, v22 row_shr:1 row_mask:0xf bank_mask:0xf
	v_min_i32_e32 v5, v5, v22
	v_add_u32_e32 v4, v11, v4
	s_waitcnt lgkmcnt(0)
	v_mov_b32_dpp v12, v5 row_shr:2 row_mask:0xf bank_mask:0xf
	v_min_i32_e32 v5, v12, v5
	s_nop 1
	v_mov_b32_dpp v12, v5 row_shr:4 row_mask:0xf bank_mask:0xe
	v_min_i32_e32 v5, v12, v5
	s_nop 1
	v_mov_b32_dpp v12, v5 row_shr:8 row_mask:0xf bank_mask:0xc
	v_min_i32_e32 v5, v12, v5
	ds_bpermute_b32 v5, v19, v5
	s_waitcnt lgkmcnt(0)
	v_cmp_le_i32_e32 vcc, s5, v5
	s_or_b64 s[14:15], vcc, s[14:15]
	s_andn2_b64 exec, exec, s[14:15]
	s_cbranch_execz .LBB195_21
.LBB195_10:                             ; =>This Loop Header: Depth=1
                                        ;     Child Loop BB195_13 Depth 2
	v_add_u32_e32 v23, v10, v6
	v_cmp_lt_i32_e32 vcc, v23, v15
	v_mov_b32_e32 v22, s5
	v_mov_b32_e32 v25, v15
	ds_write_b8 v14, v7 offset:4096
	ds_write_b128 v18, v[0:3]
	s_waitcnt lgkmcnt(0)
	s_and_saveexec_b64 s[16:17], vcc
	s_cbranch_execz .LBB195_18
; %bb.11:                               ;   in Loop: Header=BB195_10 Depth=1
	v_ashrrev_i32_e32 v11, 31, v10
	v_lshl_add_u64 v[12:13], v[6:7], 0, v[10:11]
	v_mul_lo_u32 v24, v5, s7
	v_lshl_add_u64 v[10:11], v[12:13], 2, s[10:11]
	v_lshl_add_u64 v[12:13], v[12:13], 4, s[2:3]
	s_mov_b64 s[18:19], 0
	v_mov_b32_e32 v22, s5
	v_mov_b32_e32 v25, v15
	s_branch .LBB195_13
.LBB195_12:                             ;   in Loop: Header=BB195_13 Depth=2
	s_or_b64 exec, exec, s[0:1]
	v_add_u32_e32 v23, 2, v23
	v_cmp_ge_i32_e64 s[0:1], v23, v15
	s_xor_b64 s[24:25], vcc, -1
	s_or_b64 s[0:1], s[24:25], s[0:1]
	s_and_b64 s[0:1], exec, s[0:1]
	v_lshl_add_u64 v[10:11], v[10:11], 0, 8
	s_or_b64 s[18:19], s[0:1], s[18:19]
	v_lshl_add_u64 v[12:13], v[12:13], 0, 32
	s_andn2_b64 exec, exec, s[18:19]
	s_cbranch_execz .LBB195_17
.LBB195_13:                             ;   Parent Loop BB195_10 Depth=1
                                        ; =>  This Inner Loop Header: Depth=2
	global_load_dword v26, v[10:11], off
	s_waitcnt vmcnt(0)
	v_subrev_u32_e32 v26, s20, v26
	v_sub_u32_e32 v28, 0, v26
	v_max_i32_e32 v28, v26, v28
	v_mul_hi_u32 v29, v28, v20
	v_mul_lo_u32 v30, v29, s4
	v_sub_u32_e32 v28, v28, v30
	v_add_u32_e32 v31, 1, v29
	v_cmp_le_u32_e32 vcc, s4, v28
	v_subrev_u32_e32 v30, s4, v28
	v_ashrrev_i32_e32 v27, 31, v26
	v_cndmask_b32_e32 v29, v29, v31, vcc
	v_cndmask_b32_e32 v28, v28, v30, vcc
	v_add_u32_e32 v30, 1, v29
	v_cmp_le_u32_e32 vcc, s4, v28
	v_xor_b32_e32 v27, s22, v27
	s_nop 0
	v_cndmask_b32_e32 v28, v29, v30, vcc
	v_xor_b32_e32 v28, v28, v27
	v_sub_u32_e32 v28, v28, v27
	v_cmp_eq_u32_e32 vcc, v28, v5
	v_cmp_ne_u32_e64 s[0:1], v28, v5
	v_mov_b32_e32 v27, v25
	s_and_saveexec_b64 s[24:25], s[0:1]
	s_xor_b64 s[0:1], exec, s[24:25]
; %bb.14:                               ;   in Loop: Header=BB195_13 Depth=2
	v_min_i32_e32 v22, v28, v22
                                        ; implicit-def: $vgpr26
                                        ; implicit-def: $vgpr27
; %bb.15:                               ;   in Loop: Header=BB195_13 Depth=2
	s_or_saveexec_b64 s[0:1], s[0:1]
	v_mov_b32_e32 v25, v23
	s_xor_b64 exec, exec, s[0:1]
	s_cbranch_execz .LBB195_12
; %bb.16:                               ;   in Loop: Header=BB195_13 Depth=2
	global_load_dwordx4 v[28:31], v[12:13], off
	v_sub_u32_e32 v25, v26, v24
	v_add_lshl_u32 v25, v16, v25, 4
	ds_write_b8 v14, v21 offset:4096
	s_waitcnt vmcnt(0)
	ds_write2_b64 v25, v[28:29], v[30:31] offset1:1
	v_mov_b32_e32 v25, v27
	s_branch .LBB195_12
.LBB195_17:                             ;   in Loop: Header=BB195_10 Depth=1
	s_or_b64 exec, exec, s[18:19]
.LBB195_18:                             ;   in Loop: Header=BB195_10 Depth=1
	s_or_b64 exec, exec, s[16:17]
	s_waitcnt lgkmcnt(0)
	ds_read_u8 v11, v14 offset:4096
	v_mov_b32_dpp v10, v25 row_shr:1 row_mask:0xf bank_mask:0xf
	v_min_i32_e32 v10, v10, v25
	ds_bpermute_b32 v10, v17, v10
	s_waitcnt lgkmcnt(1)
	v_and_b32_e32 v11, 1, v11
	v_cmp_eq_u32_e32 vcc, 1, v11
	v_mov_b32_e32 v11, 0
	s_and_saveexec_b64 s[0:1], vcc
	s_cbranch_execz .LBB195_9
; %bb.19:                               ;   in Loop: Header=BB195_10 Depth=1
	v_add_u32_e32 v11, s21, v5
	v_ashrrev_i32_e32 v5, 31, v4
	v_lshl_add_u64 v[12:13], v[4:5], 2, s[8:9]
	global_store_dword v[12:13], v11, off
	s_and_saveexec_b64 s[16:17], s[12:13]
	s_cbranch_execz .LBB195_8
; %bb.20:                               ;   in Loop: Header=BB195_10 Depth=1
	ds_read2_b64 v[24:27], v18 offset1:1
	v_mul_lo_u32 v11, s23, v4
	v_mul_lo_u32 v5, s6, v5
	v_mad_u64_u32 v[12:13], s[18:19], s6, v4, 0
	v_add3_u32 v13, v13, v5, v11
	v_lshl_add_u64 v[12:13], v[12:13], 4, v[8:9]
	s_waitcnt lgkmcnt(0)
	global_store_dwordx4 v[12:13], v[24:27], off
	s_branch .LBB195_8
.LBB195_21:
	s_endpgm
	.section	.rodata,"a",@progbits
	.p2align	6, 0x0
	.amdhsa_kernel _ZN9rocsparseL44csr2gebsr_wavefront_per_row_multipass_kernelILi256ELi8ELi2ELi16E21rocsparse_complex_numIdEEEv20rocsparse_direction_iiiiii21rocsparse_index_base_PKT3_PKiS9_S4_PS5_PiSB_
		.amdhsa_group_segment_fixed_size 4112
		.amdhsa_private_segment_fixed_size 0
		.amdhsa_kernarg_size 88
		.amdhsa_user_sgpr_count 2
		.amdhsa_user_sgpr_dispatch_ptr 0
		.amdhsa_user_sgpr_queue_ptr 0
		.amdhsa_user_sgpr_kernarg_segment_ptr 1
		.amdhsa_user_sgpr_dispatch_id 0
		.amdhsa_user_sgpr_kernarg_preload_length 0
		.amdhsa_user_sgpr_kernarg_preload_offset 0
		.amdhsa_user_sgpr_private_segment_size 0
		.amdhsa_uses_dynamic_stack 0
		.amdhsa_enable_private_segment 0
		.amdhsa_system_sgpr_workgroup_id_x 1
		.amdhsa_system_sgpr_workgroup_id_y 0
		.amdhsa_system_sgpr_workgroup_id_z 0
		.amdhsa_system_sgpr_workgroup_info 0
		.amdhsa_system_vgpr_workitem_id 0
		.amdhsa_next_free_vgpr 32
		.amdhsa_next_free_sgpr 26
		.amdhsa_accum_offset 32
		.amdhsa_reserve_vcc 1
		.amdhsa_float_round_mode_32 0
		.amdhsa_float_round_mode_16_64 0
		.amdhsa_float_denorm_mode_32 3
		.amdhsa_float_denorm_mode_16_64 3
		.amdhsa_dx10_clamp 1
		.amdhsa_ieee_mode 1
		.amdhsa_fp16_overflow 0
		.amdhsa_tg_split 0
		.amdhsa_exception_fp_ieee_invalid_op 0
		.amdhsa_exception_fp_denorm_src 0
		.amdhsa_exception_fp_ieee_div_zero 0
		.amdhsa_exception_fp_ieee_overflow 0
		.amdhsa_exception_fp_ieee_underflow 0
		.amdhsa_exception_fp_ieee_inexact 0
		.amdhsa_exception_int_div_zero 0
	.end_amdhsa_kernel
	.section	.text._ZN9rocsparseL44csr2gebsr_wavefront_per_row_multipass_kernelILi256ELi8ELi2ELi16E21rocsparse_complex_numIdEEEv20rocsparse_direction_iiiiii21rocsparse_index_base_PKT3_PKiS9_S4_PS5_PiSB_,"axG",@progbits,_ZN9rocsparseL44csr2gebsr_wavefront_per_row_multipass_kernelILi256ELi8ELi2ELi16E21rocsparse_complex_numIdEEEv20rocsparse_direction_iiiiii21rocsparse_index_base_PKT3_PKiS9_S4_PS5_PiSB_,comdat
.Lfunc_end195:
	.size	_ZN9rocsparseL44csr2gebsr_wavefront_per_row_multipass_kernelILi256ELi8ELi2ELi16E21rocsparse_complex_numIdEEEv20rocsparse_direction_iiiiii21rocsparse_index_base_PKT3_PKiS9_S4_PS5_PiSB_, .Lfunc_end195-_ZN9rocsparseL44csr2gebsr_wavefront_per_row_multipass_kernelILi256ELi8ELi2ELi16E21rocsparse_complex_numIdEEEv20rocsparse_direction_iiiiii21rocsparse_index_base_PKT3_PKiS9_S4_PS5_PiSB_
                                        ; -- End function
	.section	.AMDGPU.csdata,"",@progbits
; Kernel info:
; codeLenInByte = 1148
; NumSgprs: 32
; NumVgprs: 32
; NumAgprs: 0
; TotalNumVgprs: 32
; ScratchSize: 0
; MemoryBound: 0
; FloatMode: 240
; IeeeMode: 1
; LDSByteSize: 4112 bytes/workgroup (compile time only)
; SGPRBlocks: 3
; VGPRBlocks: 3
; NumSGPRsForWavesPerEU: 32
; NumVGPRsForWavesPerEU: 32
; AccumOffset: 32
; Occupancy: 8
; WaveLimiterHint : 0
; COMPUTE_PGM_RSRC2:SCRATCH_EN: 0
; COMPUTE_PGM_RSRC2:USER_SGPR: 2
; COMPUTE_PGM_RSRC2:TRAP_HANDLER: 0
; COMPUTE_PGM_RSRC2:TGID_X_EN: 1
; COMPUTE_PGM_RSRC2:TGID_Y_EN: 0
; COMPUTE_PGM_RSRC2:TGID_Z_EN: 0
; COMPUTE_PGM_RSRC2:TIDIG_COMP_CNT: 0
; COMPUTE_PGM_RSRC3_GFX90A:ACCUM_OFFSET: 7
; COMPUTE_PGM_RSRC3_GFX90A:TG_SPLIT: 0
	.section	.text._ZN9rocsparseL44csr2gebsr_wavefront_per_row_multipass_kernelILi256ELi8ELi4ELi32E21rocsparse_complex_numIdEEEv20rocsparse_direction_iiiiii21rocsparse_index_base_PKT3_PKiS9_S4_PS5_PiSB_,"axG",@progbits,_ZN9rocsparseL44csr2gebsr_wavefront_per_row_multipass_kernelILi256ELi8ELi4ELi32E21rocsparse_complex_numIdEEEv20rocsparse_direction_iiiiii21rocsparse_index_base_PKT3_PKiS9_S4_PS5_PiSB_,comdat
	.globl	_ZN9rocsparseL44csr2gebsr_wavefront_per_row_multipass_kernelILi256ELi8ELi4ELi32E21rocsparse_complex_numIdEEEv20rocsparse_direction_iiiiii21rocsparse_index_base_PKT3_PKiS9_S4_PS5_PiSB_ ; -- Begin function _ZN9rocsparseL44csr2gebsr_wavefront_per_row_multipass_kernelILi256ELi8ELi4ELi32E21rocsparse_complex_numIdEEEv20rocsparse_direction_iiiiii21rocsparse_index_base_PKT3_PKiS9_S4_PS5_PiSB_
	.p2align	8
	.type	_ZN9rocsparseL44csr2gebsr_wavefront_per_row_multipass_kernelILi256ELi8ELi4ELi32E21rocsparse_complex_numIdEEEv20rocsparse_direction_iiiiii21rocsparse_index_base_PKT3_PKiS9_S4_PS5_PiSB_,@function
_ZN9rocsparseL44csr2gebsr_wavefront_per_row_multipass_kernelILi256ELi8ELi4ELi32E21rocsparse_complex_numIdEEEv20rocsparse_direction_iiiiii21rocsparse_index_base_PKT3_PKiS9_S4_PS5_PiSB_: ; @_ZN9rocsparseL44csr2gebsr_wavefront_per_row_multipass_kernelILi256ELi8ELi4ELi32E21rocsparse_complex_numIdEEEv20rocsparse_direction_iiiiii21rocsparse_index_base_PKT3_PKiS9_S4_PS5_PiSB_
; %bb.0:
	s_load_dwordx2 s[14:15], s[0:1], 0x0
	s_load_dwordx4 s[4:7], s[0:1], 0xc
	s_load_dword s20, s[0:1], 0x1c
	s_load_dwordx2 s[8:9], s[0:1], 0x28
	v_lshrrev_b32_e32 v14, 5, v0
	v_bfe_u32 v2, v0, 2, 3
	v_lshl_or_b32 v6, s2, 3, v14
	s_waitcnt lgkmcnt(0)
	v_mad_u64_u32 v[4:5], s[2:3], v6, s6, v[2:3]
	v_cmp_gt_i32_e64 s[2:3], s15, v4
	v_cmp_gt_i32_e32 vcc, s6, v2
	s_and_b64 s[2:3], vcc, s[2:3]
	v_mov_b32_e32 v15, 0
	v_mov_b32_e32 v10, 0
	s_and_saveexec_b64 s[10:11], s[2:3]
	s_cbranch_execz .LBB196_2
; %bb.1:
	v_ashrrev_i32_e32 v5, 31, v4
	v_lshl_add_u64 v[8:9], v[4:5], 2, s[8:9]
	global_load_dword v1, v[8:9], off
	s_waitcnt vmcnt(0)
	v_subrev_u32_e32 v10, s20, v1
.LBB196_2:
	s_or_b64 exec, exec, s[10:11]
	s_and_saveexec_b64 s[10:11], s[2:3]
	s_cbranch_execz .LBB196_4
; %bb.3:
	v_ashrrev_i32_e32 v5, 31, v4
	v_lshl_add_u64 v[4:5], v[4:5], 2, s[8:9]
	global_load_dword v1, v[4:5], off offset:4
	s_waitcnt vmcnt(0)
	v_subrev_u32_e32 v15, s20, v1
.LBB196_4:
	s_or_b64 exec, exec, s[10:11]
	s_load_dword s21, s[0:1], 0x38
	v_cmp_gt_i32_e64 s[2:3], s4, v6
	v_mov_b32_e32 v4, 0
	s_and_saveexec_b64 s[8:9], s[2:3]
	s_cbranch_execz .LBB196_6
; %bb.5:
	s_load_dwordx2 s[2:3], s[0:1], 0x48
	v_ashrrev_i32_e32 v7, 31, v6
	s_waitcnt lgkmcnt(0)
	v_lshl_add_u64 v[4:5], v[6:7], 2, s[2:3]
	global_load_dword v1, v[4:5], off
	s_waitcnt vmcnt(0)
	v_subrev_u32_e32 v4, s21, v1
.LBB196_6:
	s_or_b64 exec, exec, s[8:9]
	s_cmp_lt_i32 s5, 1
	s_cbranch_scc1 .LBB196_21
; %bb.7:
	v_and_b32_e32 v6, 3, v0
	v_and_b32_e32 v0, 0xe0, v0
	s_load_dwordx2 s[2:3], s[0:1], 0x20
	s_load_dwordx2 s[8:9], s[0:1], 0x50
	;; [unrolled: 1-line block ×4, first 2 shown]
	v_lshl_or_b32 v16, v2, 2, v0
	v_mbcnt_lo_u32_b32 v0, -1, 0
	v_mbcnt_hi_u32_b32 v0, -1, v0
	v_mov_b32_e32 v7, 0
	v_lshlrev_b32_e32 v5, 2, v0
	v_cmp_gt_u32_e64 s[0:1], s7, v6
	v_or_b32_e32 v0, v16, v6
	s_and_b64 s[12:13], vcc, s[0:1]
	v_lshlrev_b32_e32 v18, 4, v0
	v_mul_lo_u32 v0, v6, s6
	v_mov_b32_e32 v1, v7
	v_lshlrev_b32_e32 v8, 4, v2
	v_mul_lo_u32 v2, v2, s7
	s_cmp_eq_u32 s14, 0
	s_waitcnt lgkmcnt(0)
	v_lshl_add_u64 v[0:1], v[0:1], 4, s[16:17]
	v_mov_b32_e32 v9, v7
	v_ashrrev_i32_e32 v3, 31, v2
	v_lshl_add_u64 v[0:1], v[0:1], 0, v[8:9]
	v_lshl_add_u64 v[2:3], v[2:3], 4, s[16:17]
	v_lshlrev_b32_e32 v8, 4, v6
	s_cselect_b64 vcc, -1, 0
	s_abs_i32 s4, s7
	v_lshl_add_u64 v[2:3], v[2:3], 0, v[8:9]
	v_cvt_f32_u32_e32 v8, s4
	v_or_b32_e32 v17, 12, v5
	v_or_b32_e32 v19, 0x7c, v5
	s_ashr_i32 s22, s7, 31
	v_rcp_iflag_f32_e32 v8, v8
	s_mul_hi_u32 s0, s7, s6
	s_mul_i32 s1, s22, s6
	s_add_i32 s23, s0, s1
	v_mul_f32_e32 v5, 0x4f7ffffe, v8
	v_cvt_u32_f32_e32 v5, v5
	s_sub_i32 s0, 0, s4
	v_cndmask_b32_e32 v8, v0, v2, vcc
	s_mul_i32 s6, s7, s6
	v_mul_lo_u32 v0, s0, v5
	v_mul_hi_u32 v0, v5, v0
	v_cndmask_b32_e32 v9, v1, v3, vcc
	v_add_u32_e32 v20, v5, v0
	s_mov_b64 s[14:15], 0
	v_mov_b32_e32 v0, v7
	v_mov_b32_e32 v1, v7
	;; [unrolled: 1-line block ×6, first 2 shown]
	s_branch .LBB196_10
.LBB196_8:                              ;   in Loop: Header=BB196_10 Depth=1
	s_or_b64 exec, exec, s[16:17]
	v_mov_b32_e32 v11, 1
.LBB196_9:                              ;   in Loop: Header=BB196_10 Depth=1
	s_or_b64 exec, exec, s[0:1]
	v_mov_b32_dpp v5, v22 row_shr:1 row_mask:0xf bank_mask:0xf
	v_min_i32_e32 v5, v5, v22
	v_add_u32_e32 v4, v11, v4
	s_waitcnt lgkmcnt(0)
	v_mov_b32_dpp v12, v5 row_shr:2 row_mask:0xf bank_mask:0xf
	v_min_i32_e32 v5, v12, v5
	s_nop 1
	v_mov_b32_dpp v12, v5 row_shr:4 row_mask:0xf bank_mask:0xe
	v_min_i32_e32 v5, v12, v5
	s_nop 1
	;; [unrolled: 3-line block ×3, first 2 shown]
	v_mov_b32_dpp v12, v5 row_bcast:15 row_mask:0xa bank_mask:0xf
	v_min_i32_e32 v5, v12, v5
	ds_bpermute_b32 v5, v19, v5
	s_waitcnt lgkmcnt(0)
	v_cmp_le_i32_e32 vcc, s5, v5
	s_or_b64 s[14:15], vcc, s[14:15]
	s_andn2_b64 exec, exec, s[14:15]
	s_cbranch_execz .LBB196_21
.LBB196_10:                             ; =>This Loop Header: Depth=1
                                        ;     Child Loop BB196_13 Depth 2
	v_add_u32_e32 v23, v10, v6
	v_cmp_lt_i32_e32 vcc, v23, v15
	v_mov_b32_e32 v22, s5
	v_mov_b32_e32 v25, v15
	ds_write_b8 v14, v7 offset:4096
	ds_write_b128 v18, v[0:3]
	s_waitcnt lgkmcnt(0)
	s_and_saveexec_b64 s[16:17], vcc
	s_cbranch_execz .LBB196_18
; %bb.11:                               ;   in Loop: Header=BB196_10 Depth=1
	v_ashrrev_i32_e32 v11, 31, v10
	v_lshl_add_u64 v[12:13], v[6:7], 0, v[10:11]
	v_mul_lo_u32 v24, v5, s7
	v_lshl_add_u64 v[10:11], v[12:13], 2, s[10:11]
	v_lshl_add_u64 v[12:13], v[12:13], 4, s[2:3]
	s_mov_b64 s[18:19], 0
	v_mov_b32_e32 v22, s5
	v_mov_b32_e32 v25, v15
	s_branch .LBB196_13
.LBB196_12:                             ;   in Loop: Header=BB196_13 Depth=2
	s_or_b64 exec, exec, s[0:1]
	v_add_u32_e32 v23, 4, v23
	v_cmp_ge_i32_e64 s[0:1], v23, v15
	s_xor_b64 s[24:25], vcc, -1
	s_or_b64 s[0:1], s[24:25], s[0:1]
	s_and_b64 s[0:1], exec, s[0:1]
	v_lshl_add_u64 v[10:11], v[10:11], 0, 16
	s_or_b64 s[18:19], s[0:1], s[18:19]
	v_lshl_add_u64 v[12:13], v[12:13], 0, 64
	s_andn2_b64 exec, exec, s[18:19]
	s_cbranch_execz .LBB196_17
.LBB196_13:                             ;   Parent Loop BB196_10 Depth=1
                                        ; =>  This Inner Loop Header: Depth=2
	global_load_dword v26, v[10:11], off
	s_waitcnt vmcnt(0)
	v_subrev_u32_e32 v26, s20, v26
	v_sub_u32_e32 v28, 0, v26
	v_max_i32_e32 v28, v26, v28
	v_mul_hi_u32 v29, v28, v20
	v_mul_lo_u32 v30, v29, s4
	v_sub_u32_e32 v28, v28, v30
	v_add_u32_e32 v31, 1, v29
	v_cmp_le_u32_e32 vcc, s4, v28
	v_subrev_u32_e32 v30, s4, v28
	v_ashrrev_i32_e32 v27, 31, v26
	v_cndmask_b32_e32 v29, v29, v31, vcc
	v_cndmask_b32_e32 v28, v28, v30, vcc
	v_add_u32_e32 v30, 1, v29
	v_cmp_le_u32_e32 vcc, s4, v28
	v_xor_b32_e32 v27, s22, v27
	s_nop 0
	v_cndmask_b32_e32 v28, v29, v30, vcc
	v_xor_b32_e32 v28, v28, v27
	v_sub_u32_e32 v28, v28, v27
	v_cmp_eq_u32_e32 vcc, v28, v5
	v_cmp_ne_u32_e64 s[0:1], v28, v5
	v_mov_b32_e32 v27, v25
	s_and_saveexec_b64 s[24:25], s[0:1]
	s_xor_b64 s[0:1], exec, s[24:25]
; %bb.14:                               ;   in Loop: Header=BB196_13 Depth=2
	v_min_i32_e32 v22, v28, v22
                                        ; implicit-def: $vgpr26
                                        ; implicit-def: $vgpr27
; %bb.15:                               ;   in Loop: Header=BB196_13 Depth=2
	s_or_saveexec_b64 s[0:1], s[0:1]
	v_mov_b32_e32 v25, v23
	s_xor_b64 exec, exec, s[0:1]
	s_cbranch_execz .LBB196_12
; %bb.16:                               ;   in Loop: Header=BB196_13 Depth=2
	global_load_dwordx4 v[28:31], v[12:13], off
	v_sub_u32_e32 v25, v26, v24
	v_add_lshl_u32 v25, v16, v25, 4
	ds_write_b8 v14, v21 offset:4096
	s_waitcnt vmcnt(0)
	ds_write2_b64 v25, v[28:29], v[30:31] offset1:1
	v_mov_b32_e32 v25, v27
	s_branch .LBB196_12
.LBB196_17:                             ;   in Loop: Header=BB196_10 Depth=1
	s_or_b64 exec, exec, s[18:19]
.LBB196_18:                             ;   in Loop: Header=BB196_10 Depth=1
	s_or_b64 exec, exec, s[16:17]
	v_mov_b32_dpp v10, v25 row_shr:1 row_mask:0xf bank_mask:0xf
	v_min_i32_e32 v10, v10, v25
	s_waitcnt lgkmcnt(0)
	ds_read_u8 v11, v14 offset:4096
	v_mov_b32_dpp v12, v10 row_shr:2 row_mask:0xf bank_mask:0xf
	v_min_i32_e32 v10, v12, v10
	ds_bpermute_b32 v10, v17, v10
	s_waitcnt lgkmcnt(1)
	v_and_b32_e32 v11, 1, v11
	v_cmp_eq_u32_e32 vcc, 1, v11
	v_mov_b32_e32 v11, 0
	s_and_saveexec_b64 s[0:1], vcc
	s_cbranch_execz .LBB196_9
; %bb.19:                               ;   in Loop: Header=BB196_10 Depth=1
	v_add_u32_e32 v11, s21, v5
	v_ashrrev_i32_e32 v5, 31, v4
	v_lshl_add_u64 v[12:13], v[4:5], 2, s[8:9]
	global_store_dword v[12:13], v11, off
	s_and_saveexec_b64 s[16:17], s[12:13]
	s_cbranch_execz .LBB196_8
; %bb.20:                               ;   in Loop: Header=BB196_10 Depth=1
	ds_read2_b64 v[24:27], v18 offset1:1
	v_mul_lo_u32 v11, s23, v4
	v_mul_lo_u32 v5, s6, v5
	v_mad_u64_u32 v[12:13], s[18:19], s6, v4, 0
	v_add3_u32 v13, v13, v5, v11
	v_lshl_add_u64 v[12:13], v[12:13], 4, v[8:9]
	s_waitcnt lgkmcnt(0)
	global_store_dwordx4 v[12:13], v[24:27], off
	s_branch .LBB196_8
.LBB196_21:
	s_endpgm
	.section	.rodata,"a",@progbits
	.p2align	6, 0x0
	.amdhsa_kernel _ZN9rocsparseL44csr2gebsr_wavefront_per_row_multipass_kernelILi256ELi8ELi4ELi32E21rocsparse_complex_numIdEEEv20rocsparse_direction_iiiiii21rocsparse_index_base_PKT3_PKiS9_S4_PS5_PiSB_
		.amdhsa_group_segment_fixed_size 4104
		.amdhsa_private_segment_fixed_size 0
		.amdhsa_kernarg_size 88
		.amdhsa_user_sgpr_count 2
		.amdhsa_user_sgpr_dispatch_ptr 0
		.amdhsa_user_sgpr_queue_ptr 0
		.amdhsa_user_sgpr_kernarg_segment_ptr 1
		.amdhsa_user_sgpr_dispatch_id 0
		.amdhsa_user_sgpr_kernarg_preload_length 0
		.amdhsa_user_sgpr_kernarg_preload_offset 0
		.amdhsa_user_sgpr_private_segment_size 0
		.amdhsa_uses_dynamic_stack 0
		.amdhsa_enable_private_segment 0
		.amdhsa_system_sgpr_workgroup_id_x 1
		.amdhsa_system_sgpr_workgroup_id_y 0
		.amdhsa_system_sgpr_workgroup_id_z 0
		.amdhsa_system_sgpr_workgroup_info 0
		.amdhsa_system_vgpr_workitem_id 0
		.amdhsa_next_free_vgpr 32
		.amdhsa_next_free_sgpr 26
		.amdhsa_accum_offset 32
		.amdhsa_reserve_vcc 1
		.amdhsa_float_round_mode_32 0
		.amdhsa_float_round_mode_16_64 0
		.amdhsa_float_denorm_mode_32 3
		.amdhsa_float_denorm_mode_16_64 3
		.amdhsa_dx10_clamp 1
		.amdhsa_ieee_mode 1
		.amdhsa_fp16_overflow 0
		.amdhsa_tg_split 0
		.amdhsa_exception_fp_ieee_invalid_op 0
		.amdhsa_exception_fp_denorm_src 0
		.amdhsa_exception_fp_ieee_div_zero 0
		.amdhsa_exception_fp_ieee_overflow 0
		.amdhsa_exception_fp_ieee_underflow 0
		.amdhsa_exception_fp_ieee_inexact 0
		.amdhsa_exception_int_div_zero 0
	.end_amdhsa_kernel
	.section	.text._ZN9rocsparseL44csr2gebsr_wavefront_per_row_multipass_kernelILi256ELi8ELi4ELi32E21rocsparse_complex_numIdEEEv20rocsparse_direction_iiiiii21rocsparse_index_base_PKT3_PKiS9_S4_PS5_PiSB_,"axG",@progbits,_ZN9rocsparseL44csr2gebsr_wavefront_per_row_multipass_kernelILi256ELi8ELi4ELi32E21rocsparse_complex_numIdEEEv20rocsparse_direction_iiiiii21rocsparse_index_base_PKT3_PKiS9_S4_PS5_PiSB_,comdat
.Lfunc_end196:
	.size	_ZN9rocsparseL44csr2gebsr_wavefront_per_row_multipass_kernelILi256ELi8ELi4ELi32E21rocsparse_complex_numIdEEEv20rocsparse_direction_iiiiii21rocsparse_index_base_PKT3_PKiS9_S4_PS5_PiSB_, .Lfunc_end196-_ZN9rocsparseL44csr2gebsr_wavefront_per_row_multipass_kernelILi256ELi8ELi4ELi32E21rocsparse_complex_numIdEEEv20rocsparse_direction_iiiiii21rocsparse_index_base_PKT3_PKiS9_S4_PS5_PiSB_
                                        ; -- End function
	.section	.AMDGPU.csdata,"",@progbits
; Kernel info:
; codeLenInByte = 1180
; NumSgprs: 32
; NumVgprs: 32
; NumAgprs: 0
; TotalNumVgprs: 32
; ScratchSize: 0
; MemoryBound: 0
; FloatMode: 240
; IeeeMode: 1
; LDSByteSize: 4104 bytes/workgroup (compile time only)
; SGPRBlocks: 3
; VGPRBlocks: 3
; NumSGPRsForWavesPerEU: 32
; NumVGPRsForWavesPerEU: 32
; AccumOffset: 32
; Occupancy: 8
; WaveLimiterHint : 0
; COMPUTE_PGM_RSRC2:SCRATCH_EN: 0
; COMPUTE_PGM_RSRC2:USER_SGPR: 2
; COMPUTE_PGM_RSRC2:TRAP_HANDLER: 0
; COMPUTE_PGM_RSRC2:TGID_X_EN: 1
; COMPUTE_PGM_RSRC2:TGID_Y_EN: 0
; COMPUTE_PGM_RSRC2:TGID_Z_EN: 0
; COMPUTE_PGM_RSRC2:TIDIG_COMP_CNT: 0
; COMPUTE_PGM_RSRC3_GFX90A:ACCUM_OFFSET: 7
; COMPUTE_PGM_RSRC3_GFX90A:TG_SPLIT: 0
	.section	.text._ZN9rocsparseL44csr2gebsr_wavefront_per_row_multipass_kernelILi256ELi8ELi8ELi64E21rocsparse_complex_numIdEEEv20rocsparse_direction_iiiiii21rocsparse_index_base_PKT3_PKiS9_S4_PS5_PiSB_,"axG",@progbits,_ZN9rocsparseL44csr2gebsr_wavefront_per_row_multipass_kernelILi256ELi8ELi8ELi64E21rocsparse_complex_numIdEEEv20rocsparse_direction_iiiiii21rocsparse_index_base_PKT3_PKiS9_S4_PS5_PiSB_,comdat
	.globl	_ZN9rocsparseL44csr2gebsr_wavefront_per_row_multipass_kernelILi256ELi8ELi8ELi64E21rocsparse_complex_numIdEEEv20rocsparse_direction_iiiiii21rocsparse_index_base_PKT3_PKiS9_S4_PS5_PiSB_ ; -- Begin function _ZN9rocsparseL44csr2gebsr_wavefront_per_row_multipass_kernelILi256ELi8ELi8ELi64E21rocsparse_complex_numIdEEEv20rocsparse_direction_iiiiii21rocsparse_index_base_PKT3_PKiS9_S4_PS5_PiSB_
	.p2align	8
	.type	_ZN9rocsparseL44csr2gebsr_wavefront_per_row_multipass_kernelILi256ELi8ELi8ELi64E21rocsparse_complex_numIdEEEv20rocsparse_direction_iiiiii21rocsparse_index_base_PKT3_PKiS9_S4_PS5_PiSB_,@function
_ZN9rocsparseL44csr2gebsr_wavefront_per_row_multipass_kernelILi256ELi8ELi8ELi64E21rocsparse_complex_numIdEEEv20rocsparse_direction_iiiiii21rocsparse_index_base_PKT3_PKiS9_S4_PS5_PiSB_: ; @_ZN9rocsparseL44csr2gebsr_wavefront_per_row_multipass_kernelILi256ELi8ELi8ELi64E21rocsparse_complex_numIdEEEv20rocsparse_direction_iiiiii21rocsparse_index_base_PKT3_PKiS9_S4_PS5_PiSB_
; %bb.0:
	s_load_dwordx2 s[14:15], s[0:1], 0x0
	s_load_dwordx4 s[4:7], s[0:1], 0xc
	s_load_dword s22, s[0:1], 0x1c
	s_load_dwordx2 s[8:9], s[0:1], 0x28
	v_lshrrev_b32_e32 v14, 6, v0
	v_bfe_u32 v2, v0, 3, 3
	v_lshl_or_b32 v6, s2, 2, v14
	s_waitcnt lgkmcnt(0)
	v_mad_u64_u32 v[4:5], s[2:3], v6, s6, v[2:3]
	v_cmp_gt_i32_e64 s[2:3], s15, v4
	v_cmp_gt_i32_e32 vcc, s6, v2
	s_and_b64 s[2:3], vcc, s[2:3]
	v_mov_b32_e32 v15, 0
	v_mov_b32_e32 v10, 0
	s_and_saveexec_b64 s[10:11], s[2:3]
	s_cbranch_execz .LBB197_2
; %bb.1:
	v_ashrrev_i32_e32 v5, 31, v4
	v_lshl_add_u64 v[8:9], v[4:5], 2, s[8:9]
	global_load_dword v1, v[8:9], off
	s_waitcnt vmcnt(0)
	v_subrev_u32_e32 v10, s22, v1
.LBB197_2:
	s_or_b64 exec, exec, s[10:11]
	s_and_saveexec_b64 s[10:11], s[2:3]
	s_cbranch_execz .LBB197_4
; %bb.3:
	v_ashrrev_i32_e32 v5, 31, v4
	v_lshl_add_u64 v[4:5], v[4:5], 2, s[8:9]
	global_load_dword v1, v[4:5], off offset:4
	s_waitcnt vmcnt(0)
	v_subrev_u32_e32 v15, s22, v1
.LBB197_4:
	s_or_b64 exec, exec, s[10:11]
	s_load_dword s23, s[0:1], 0x38
	v_cmp_gt_i32_e64 s[2:3], s4, v6
	v_mov_b32_e32 v4, 0
	s_and_saveexec_b64 s[8:9], s[2:3]
	s_cbranch_execz .LBB197_6
; %bb.5:
	s_load_dwordx2 s[2:3], s[0:1], 0x48
	v_ashrrev_i32_e32 v7, 31, v6
	s_waitcnt lgkmcnt(0)
	v_lshl_add_u64 v[4:5], v[6:7], 2, s[2:3]
	global_load_dword v1, v[4:5], off
	s_waitcnt vmcnt(0)
	v_subrev_u32_e32 v4, s23, v1
.LBB197_6:
	s_or_b64 exec, exec, s[8:9]
	s_cmp_lt_i32 s5, 1
	s_cbranch_scc1 .LBB197_21
; %bb.7:
	v_and_b32_e32 v6, 7, v0
	v_and_b32_e32 v0, 0xc0, v0
	s_load_dwordx2 s[2:3], s[0:1], 0x20
	s_load_dwordx2 s[8:9], s[0:1], 0x50
	;; [unrolled: 1-line block ×4, first 2 shown]
	v_lshl_or_b32 v16, v2, 3, v0
	v_mbcnt_lo_u32_b32 v0, -1, 0
	v_mbcnt_hi_u32_b32 v0, -1, v0
	v_mov_b32_e32 v7, 0
	v_lshlrev_b32_e32 v5, 2, v0
	v_cmp_gt_u32_e64 s[0:1], s7, v6
	v_or_b32_e32 v0, v16, v6
	s_and_b64 s[12:13], vcc, s[0:1]
	v_lshlrev_b32_e32 v18, 4, v0
	v_mul_lo_u32 v0, v6, s6
	v_mov_b32_e32 v1, v7
	v_lshlrev_b32_e32 v8, 4, v2
	v_mul_lo_u32 v2, v2, s7
	s_cmp_eq_u32 s14, 0
	s_waitcnt lgkmcnt(0)
	v_lshl_add_u64 v[0:1], v[0:1], 4, s[16:17]
	v_mov_b32_e32 v9, v7
	v_ashrrev_i32_e32 v3, 31, v2
	v_lshl_add_u64 v[0:1], v[0:1], 0, v[8:9]
	v_lshl_add_u64 v[2:3], v[2:3], 4, s[16:17]
	v_lshlrev_b32_e32 v8, 4, v6
	s_cselect_b64 vcc, -1, 0
	s_abs_i32 s4, s7
	v_lshl_add_u64 v[2:3], v[2:3], 0, v[8:9]
	v_cvt_f32_u32_e32 v8, s4
	v_or_b32_e32 v17, 28, v5
	v_or_b32_e32 v19, 0xfc, v5
	s_ashr_i32 s24, s7, 31
	v_rcp_iflag_f32_e32 v8, v8
	s_mul_hi_u32 s0, s7, s6
	s_mul_i32 s1, s24, s6
	s_add_i32 s25, s0, s1
	v_mul_f32_e32 v5, 0x4f7ffffe, v8
	v_cvt_u32_f32_e32 v5, v5
	s_sub_i32 s0, 0, s4
	v_cndmask_b32_e32 v8, v0, v2, vcc
	s_mul_i32 s6, s7, s6
	v_mul_lo_u32 v0, s0, v5
	v_mul_hi_u32 v0, v5, v0
	v_cndmask_b32_e32 v9, v1, v3, vcc
	v_add_u32_e32 v20, v5, v0
	s_mov_b64 s[14:15], 0
	v_mov_b32_e32 v0, v7
	v_mov_b32_e32 v1, v7
	v_mov_b32_e32 v2, v7
	v_mov_b32_e32 v3, v7
	s_mov_b64 s[16:17], 0x80
	v_mov_b32_e32 v21, 1
	v_mov_b32_e32 v5, v7
	s_branch .LBB197_10
.LBB197_8:                              ;   in Loop: Header=BB197_10 Depth=1
	s_or_b64 exec, exec, s[18:19]
	v_mov_b32_e32 v11, 1
.LBB197_9:                              ;   in Loop: Header=BB197_10 Depth=1
	s_or_b64 exec, exec, s[0:1]
	v_mov_b32_dpp v5, v22 row_shr:1 row_mask:0xf bank_mask:0xf
	v_min_i32_e32 v5, v5, v22
	v_add_u32_e32 v4, v11, v4
	s_waitcnt lgkmcnt(0)
	v_mov_b32_dpp v12, v5 row_shr:2 row_mask:0xf bank_mask:0xf
	v_min_i32_e32 v5, v12, v5
	s_nop 1
	v_mov_b32_dpp v12, v5 row_shr:4 row_mask:0xf bank_mask:0xe
	v_min_i32_e32 v5, v12, v5
	s_nop 1
	;; [unrolled: 3-line block ×3, first 2 shown]
	v_mov_b32_dpp v12, v5 row_bcast:15 row_mask:0xa bank_mask:0xf
	v_min_i32_e32 v5, v12, v5
	s_nop 1
	v_mov_b32_dpp v12, v5 row_bcast:31 row_mask:0xc bank_mask:0xf
	v_min_i32_e32 v5, v12, v5
	ds_bpermute_b32 v5, v19, v5
	s_waitcnt lgkmcnt(0)
	v_cmp_le_i32_e32 vcc, s5, v5
	s_or_b64 s[14:15], vcc, s[14:15]
	s_andn2_b64 exec, exec, s[14:15]
	s_cbranch_execz .LBB197_21
.LBB197_10:                             ; =>This Loop Header: Depth=1
                                        ;     Child Loop BB197_13 Depth 2
	v_add_u32_e32 v23, v10, v6
	v_cmp_lt_i32_e32 vcc, v23, v15
	v_mov_b32_e32 v22, s5
	v_mov_b32_e32 v25, v15
	ds_write_b8 v14, v7 offset:4096
	ds_write_b128 v18, v[0:3]
	s_waitcnt lgkmcnt(0)
	s_and_saveexec_b64 s[18:19], vcc
	s_cbranch_execz .LBB197_18
; %bb.11:                               ;   in Loop: Header=BB197_10 Depth=1
	v_ashrrev_i32_e32 v11, 31, v10
	v_lshl_add_u64 v[12:13], v[6:7], 0, v[10:11]
	v_mul_lo_u32 v24, v5, s7
	v_lshl_add_u64 v[10:11], v[12:13], 2, s[10:11]
	v_lshl_add_u64 v[12:13], v[12:13], 4, s[2:3]
	s_mov_b64 s[20:21], 0
	v_mov_b32_e32 v22, s5
	v_mov_b32_e32 v25, v15
	s_branch .LBB197_13
.LBB197_12:                             ;   in Loop: Header=BB197_13 Depth=2
	s_or_b64 exec, exec, s[0:1]
	v_add_u32_e32 v23, 8, v23
	v_cmp_ge_i32_e64 s[0:1], v23, v15
	s_xor_b64 s[26:27], vcc, -1
	s_or_b64 s[0:1], s[26:27], s[0:1]
	s_and_b64 s[0:1], exec, s[0:1]
	v_lshl_add_u64 v[10:11], v[10:11], 0, 32
	s_or_b64 s[20:21], s[0:1], s[20:21]
	v_lshl_add_u64 v[12:13], v[12:13], 0, s[16:17]
	s_andn2_b64 exec, exec, s[20:21]
	s_cbranch_execz .LBB197_17
.LBB197_13:                             ;   Parent Loop BB197_10 Depth=1
                                        ; =>  This Inner Loop Header: Depth=2
	global_load_dword v26, v[10:11], off
	s_waitcnt vmcnt(0)
	v_subrev_u32_e32 v26, s22, v26
	v_sub_u32_e32 v28, 0, v26
	v_max_i32_e32 v28, v26, v28
	v_mul_hi_u32 v29, v28, v20
	v_mul_lo_u32 v30, v29, s4
	v_sub_u32_e32 v28, v28, v30
	v_add_u32_e32 v31, 1, v29
	v_cmp_le_u32_e32 vcc, s4, v28
	v_subrev_u32_e32 v30, s4, v28
	v_ashrrev_i32_e32 v27, 31, v26
	v_cndmask_b32_e32 v29, v29, v31, vcc
	v_cndmask_b32_e32 v28, v28, v30, vcc
	v_add_u32_e32 v30, 1, v29
	v_cmp_le_u32_e32 vcc, s4, v28
	v_xor_b32_e32 v27, s24, v27
	s_nop 0
	v_cndmask_b32_e32 v28, v29, v30, vcc
	v_xor_b32_e32 v28, v28, v27
	v_sub_u32_e32 v28, v28, v27
	v_cmp_eq_u32_e32 vcc, v28, v5
	v_cmp_ne_u32_e64 s[0:1], v28, v5
	v_mov_b32_e32 v27, v25
	s_and_saveexec_b64 s[26:27], s[0:1]
	s_xor_b64 s[0:1], exec, s[26:27]
; %bb.14:                               ;   in Loop: Header=BB197_13 Depth=2
	v_min_i32_e32 v22, v28, v22
                                        ; implicit-def: $vgpr26
                                        ; implicit-def: $vgpr27
; %bb.15:                               ;   in Loop: Header=BB197_13 Depth=2
	s_or_saveexec_b64 s[0:1], s[0:1]
	v_mov_b32_e32 v25, v23
	s_xor_b64 exec, exec, s[0:1]
	s_cbranch_execz .LBB197_12
; %bb.16:                               ;   in Loop: Header=BB197_13 Depth=2
	global_load_dwordx4 v[28:31], v[12:13], off
	v_sub_u32_e32 v25, v26, v24
	v_add_lshl_u32 v25, v16, v25, 4
	ds_write_b8 v14, v21 offset:4096
	s_waitcnt vmcnt(0)
	ds_write2_b64 v25, v[28:29], v[30:31] offset1:1
	v_mov_b32_e32 v25, v27
	s_branch .LBB197_12
.LBB197_17:                             ;   in Loop: Header=BB197_10 Depth=1
	s_or_b64 exec, exec, s[20:21]
.LBB197_18:                             ;   in Loop: Header=BB197_10 Depth=1
	s_or_b64 exec, exec, s[18:19]
	v_mov_b32_dpp v10, v25 row_shr:1 row_mask:0xf bank_mask:0xf
	v_min_i32_e32 v10, v10, v25
	s_waitcnt lgkmcnt(0)
	s_nop 0
	v_mov_b32_dpp v11, v10 row_shr:2 row_mask:0xf bank_mask:0xf
	v_min_i32_e32 v10, v11, v10
	ds_read_u8 v11, v14 offset:4096
	s_waitcnt lgkmcnt(0)
	v_and_b32_e32 v11, 1, v11
	v_mov_b32_dpp v12, v10 row_shr:4 row_mask:0xf bank_mask:0xe
	v_min_i32_e32 v10, v12, v10
	ds_bpermute_b32 v10, v17, v10
	v_cmp_eq_u32_e32 vcc, 1, v11
	v_mov_b32_e32 v11, 0
	s_and_saveexec_b64 s[0:1], vcc
	s_cbranch_execz .LBB197_9
; %bb.19:                               ;   in Loop: Header=BB197_10 Depth=1
	v_add_u32_e32 v11, s23, v5
	v_ashrrev_i32_e32 v5, 31, v4
	v_lshl_add_u64 v[12:13], v[4:5], 2, s[8:9]
	global_store_dword v[12:13], v11, off
	s_and_saveexec_b64 s[18:19], s[12:13]
	s_cbranch_execz .LBB197_8
; %bb.20:                               ;   in Loop: Header=BB197_10 Depth=1
	ds_read2_b64 v[24:27], v18 offset1:1
	v_mul_lo_u32 v11, s25, v4
	v_mul_lo_u32 v5, s6, v5
	v_mad_u64_u32 v[12:13], s[20:21], s6, v4, 0
	v_add3_u32 v13, v13, v5, v11
	v_lshl_add_u64 v[12:13], v[12:13], 4, v[8:9]
	s_waitcnt lgkmcnt(0)
	global_store_dwordx4 v[12:13], v[24:27], off
	s_branch .LBB197_8
.LBB197_21:
	s_endpgm
	.section	.rodata,"a",@progbits
	.p2align	6, 0x0
	.amdhsa_kernel _ZN9rocsparseL44csr2gebsr_wavefront_per_row_multipass_kernelILi256ELi8ELi8ELi64E21rocsparse_complex_numIdEEEv20rocsparse_direction_iiiiii21rocsparse_index_base_PKT3_PKiS9_S4_PS5_PiSB_
		.amdhsa_group_segment_fixed_size 4104
		.amdhsa_private_segment_fixed_size 0
		.amdhsa_kernarg_size 88
		.amdhsa_user_sgpr_count 2
		.amdhsa_user_sgpr_dispatch_ptr 0
		.amdhsa_user_sgpr_queue_ptr 0
		.amdhsa_user_sgpr_kernarg_segment_ptr 1
		.amdhsa_user_sgpr_dispatch_id 0
		.amdhsa_user_sgpr_kernarg_preload_length 0
		.amdhsa_user_sgpr_kernarg_preload_offset 0
		.amdhsa_user_sgpr_private_segment_size 0
		.amdhsa_uses_dynamic_stack 0
		.amdhsa_enable_private_segment 0
		.amdhsa_system_sgpr_workgroup_id_x 1
		.amdhsa_system_sgpr_workgroup_id_y 0
		.amdhsa_system_sgpr_workgroup_id_z 0
		.amdhsa_system_sgpr_workgroup_info 0
		.amdhsa_system_vgpr_workitem_id 0
		.amdhsa_next_free_vgpr 32
		.amdhsa_next_free_sgpr 28
		.amdhsa_accum_offset 32
		.amdhsa_reserve_vcc 1
		.amdhsa_float_round_mode_32 0
		.amdhsa_float_round_mode_16_64 0
		.amdhsa_float_denorm_mode_32 3
		.amdhsa_float_denorm_mode_16_64 3
		.amdhsa_dx10_clamp 1
		.amdhsa_ieee_mode 1
		.amdhsa_fp16_overflow 0
		.amdhsa_tg_split 0
		.amdhsa_exception_fp_ieee_invalid_op 0
		.amdhsa_exception_fp_denorm_src 0
		.amdhsa_exception_fp_ieee_div_zero 0
		.amdhsa_exception_fp_ieee_overflow 0
		.amdhsa_exception_fp_ieee_underflow 0
		.amdhsa_exception_fp_ieee_inexact 0
		.amdhsa_exception_int_div_zero 0
	.end_amdhsa_kernel
	.section	.text._ZN9rocsparseL44csr2gebsr_wavefront_per_row_multipass_kernelILi256ELi8ELi8ELi64E21rocsparse_complex_numIdEEEv20rocsparse_direction_iiiiii21rocsparse_index_base_PKT3_PKiS9_S4_PS5_PiSB_,"axG",@progbits,_ZN9rocsparseL44csr2gebsr_wavefront_per_row_multipass_kernelILi256ELi8ELi8ELi64E21rocsparse_complex_numIdEEEv20rocsparse_direction_iiiiii21rocsparse_index_base_PKT3_PKiS9_S4_PS5_PiSB_,comdat
.Lfunc_end197:
	.size	_ZN9rocsparseL44csr2gebsr_wavefront_per_row_multipass_kernelILi256ELi8ELi8ELi64E21rocsparse_complex_numIdEEEv20rocsparse_direction_iiiiii21rocsparse_index_base_PKT3_PKiS9_S4_PS5_PiSB_, .Lfunc_end197-_ZN9rocsparseL44csr2gebsr_wavefront_per_row_multipass_kernelILi256ELi8ELi8ELi64E21rocsparse_complex_numIdEEEv20rocsparse_direction_iiiiii21rocsparse_index_base_PKT3_PKiS9_S4_PS5_PiSB_
                                        ; -- End function
	.section	.AMDGPU.csdata,"",@progbits
; Kernel info:
; codeLenInByte = 1220
; NumSgprs: 34
; NumVgprs: 32
; NumAgprs: 0
; TotalNumVgprs: 32
; ScratchSize: 0
; MemoryBound: 0
; FloatMode: 240
; IeeeMode: 1
; LDSByteSize: 4104 bytes/workgroup (compile time only)
; SGPRBlocks: 4
; VGPRBlocks: 3
; NumSGPRsForWavesPerEU: 34
; NumVGPRsForWavesPerEU: 32
; AccumOffset: 32
; Occupancy: 8
; WaveLimiterHint : 0
; COMPUTE_PGM_RSRC2:SCRATCH_EN: 0
; COMPUTE_PGM_RSRC2:USER_SGPR: 2
; COMPUTE_PGM_RSRC2:TRAP_HANDLER: 0
; COMPUTE_PGM_RSRC2:TGID_X_EN: 1
; COMPUTE_PGM_RSRC2:TGID_Y_EN: 0
; COMPUTE_PGM_RSRC2:TGID_Z_EN: 0
; COMPUTE_PGM_RSRC2:TIDIG_COMP_CNT: 0
; COMPUTE_PGM_RSRC3_GFX90A:ACCUM_OFFSET: 7
; COMPUTE_PGM_RSRC3_GFX90A:TG_SPLIT: 0
	.section	.text._ZN9rocsparseL44csr2gebsr_wavefront_per_row_multipass_kernelILi256ELi8ELi8ELi32E21rocsparse_complex_numIdEEEv20rocsparse_direction_iiiiii21rocsparse_index_base_PKT3_PKiS9_S4_PS5_PiSB_,"axG",@progbits,_ZN9rocsparseL44csr2gebsr_wavefront_per_row_multipass_kernelILi256ELi8ELi8ELi32E21rocsparse_complex_numIdEEEv20rocsparse_direction_iiiiii21rocsparse_index_base_PKT3_PKiS9_S4_PS5_PiSB_,comdat
	.globl	_ZN9rocsparseL44csr2gebsr_wavefront_per_row_multipass_kernelILi256ELi8ELi8ELi32E21rocsparse_complex_numIdEEEv20rocsparse_direction_iiiiii21rocsparse_index_base_PKT3_PKiS9_S4_PS5_PiSB_ ; -- Begin function _ZN9rocsparseL44csr2gebsr_wavefront_per_row_multipass_kernelILi256ELi8ELi8ELi32E21rocsparse_complex_numIdEEEv20rocsparse_direction_iiiiii21rocsparse_index_base_PKT3_PKiS9_S4_PS5_PiSB_
	.p2align	8
	.type	_ZN9rocsparseL44csr2gebsr_wavefront_per_row_multipass_kernelILi256ELi8ELi8ELi32E21rocsparse_complex_numIdEEEv20rocsparse_direction_iiiiii21rocsparse_index_base_PKT3_PKiS9_S4_PS5_PiSB_,@function
_ZN9rocsparseL44csr2gebsr_wavefront_per_row_multipass_kernelILi256ELi8ELi8ELi32E21rocsparse_complex_numIdEEEv20rocsparse_direction_iiiiii21rocsparse_index_base_PKT3_PKiS9_S4_PS5_PiSB_: ; @_ZN9rocsparseL44csr2gebsr_wavefront_per_row_multipass_kernelILi256ELi8ELi8ELi32E21rocsparse_complex_numIdEEEv20rocsparse_direction_iiiiii21rocsparse_index_base_PKT3_PKiS9_S4_PS5_PiSB_
; %bb.0:
	s_load_dwordx2 s[14:15], s[0:1], 0x0
	s_load_dwordx4 s[4:7], s[0:1], 0xc
	s_load_dword s24, s[0:1], 0x1c
	s_load_dwordx2 s[8:9], s[0:1], 0x28
	v_lshrrev_b32_e32 v20, 5, v0
	v_bfe_u32 v2, v0, 2, 3
	v_lshl_or_b32 v6, s2, 3, v20
	s_waitcnt lgkmcnt(0)
	v_mad_u64_u32 v[4:5], s[2:3], v6, s6, v[2:3]
	v_cmp_gt_i32_e64 s[2:3], s15, v4
	v_cmp_gt_i32_e32 vcc, s6, v2
	s_and_b64 s[2:3], vcc, s[2:3]
	v_mov_b32_e32 v21, 0
	v_mov_b32_e32 v18, 0
	s_and_saveexec_b64 s[10:11], s[2:3]
	s_cbranch_execz .LBB198_2
; %bb.1:
	v_ashrrev_i32_e32 v5, 31, v4
	v_lshl_add_u64 v[8:9], v[4:5], 2, s[8:9]
	global_load_dword v1, v[8:9], off
	s_waitcnt vmcnt(0)
	v_subrev_u32_e32 v18, s24, v1
.LBB198_2:
	s_or_b64 exec, exec, s[10:11]
	s_and_saveexec_b64 s[10:11], s[2:3]
	s_cbranch_execz .LBB198_4
; %bb.3:
	v_ashrrev_i32_e32 v5, 31, v4
	v_lshl_add_u64 v[4:5], v[4:5], 2, s[8:9]
	global_load_dword v1, v[4:5], off offset:4
	s_waitcnt vmcnt(0)
	v_subrev_u32_e32 v21, s24, v1
.LBB198_4:
	s_or_b64 exec, exec, s[10:11]
	s_load_dword s25, s[0:1], 0x38
	v_cmp_gt_i32_e64 s[2:3], s4, v6
	v_mov_b32_e32 v4, 0
	s_and_saveexec_b64 s[8:9], s[2:3]
	s_cbranch_execz .LBB198_6
; %bb.5:
	s_load_dwordx2 s[2:3], s[0:1], 0x48
	v_ashrrev_i32_e32 v7, 31, v6
	s_waitcnt lgkmcnt(0)
	v_lshl_add_u64 v[4:5], v[6:7], 2, s[2:3]
	global_load_dword v1, v[4:5], off
	s_waitcnt vmcnt(0)
	v_subrev_u32_e32 v4, s25, v1
.LBB198_6:
	s_or_b64 exec, exec, s[8:9]
	s_cmp_lt_i32 s5, 1
	s_cbranch_scc1 .LBB198_32
; %bb.7:
	v_and_b32_e32 v22, 3, v0
	v_lshlrev_b32_e32 v0, 6, v20
	s_load_dwordx2 s[8:9], s[0:1], 0x20
	s_load_dwordx2 s[10:11], s[0:1], 0x50
	;; [unrolled: 1-line block ×4, first 2 shown]
	v_lshl_or_b32 v23, v2, 3, v0
	v_mbcnt_lo_u32_b32 v0, -1, 0
	v_mbcnt_hi_u32_b32 v0, -1, v0
	v_lshlrev_b32_e32 v3, 2, v0
	v_mul_lo_u32 v0, v2, s7
	v_mov_b32_e32 v7, 0
	s_cmp_lg_u32 s14, 0
	v_lshlrev_b32_e32 v6, 4, v2
	v_ashrrev_i32_e32 v1, 31, v0
	s_cselect_b64 s[14:15], -1, 0
	s_waitcnt lgkmcnt(0)
	v_lshl_add_u64 v[8:9], s[2:3], 0, v[6:7]
	v_lshl_add_u64 v[0:1], v[0:1], 4, s[2:3]
	v_lshlrev_b32_e32 v6, 4, v22
	s_abs_i32 s28, s7
	v_lshl_add_u64 v[10:11], v[0:1], 0, v[6:7]
	v_cvt_f32_u32_e32 v0, s28
	s_ashr_i32 s4, s7, 31
	s_mul_hi_u32 s0, s7, s6
	s_mul_i32 s1, s4, s6
	v_rcp_iflag_f32_e32 v0, v0
	s_add_i32 s26, s0, s1
	v_cmp_gt_u32_e64 s[0:1], s7, v22
	v_or_b32_e32 v1, 4, v22
	v_mul_f32_e32 v0, 0x4f7ffffe, v0
	v_cvt_u32_f32_e32 v0, v0
	s_and_b64 s[16:17], s[0:1], vcc
	s_sub_i32 s0, 0, s28
	v_or_b32_e32 v5, v23, v22
	v_cmp_gt_u32_e64 s[2:3], s7, v1
	v_mul_lo_u32 v1, s0, v0
	v_lshlrev_b32_e32 v26, 4, v5
	v_mul_lo_u32 v6, v22, s6
	v_mul_hi_u32 v1, v0, v1
	v_or_b32_e32 v24, 12, v3
	s_mul_i32 s27, s7, s6
	v_or_b32_e32 v25, 0x7c, v3
	v_or_b32_e32 v27, 64, v26
	v_lshl_add_u32 v12, s6, 2, v6
	v_mov_b32_e32 v13, v7
	s_and_b64 s[2:3], vcc, s[2:3]
	v_add_u32_e32 v28, v0, v1
	v_or_b32_e32 v29, -4, v22
	s_mov_b64 s[18:19], 0
	v_mov_b32_e32 v0, v7
	v_mov_b32_e32 v1, v7
	;; [unrolled: 1-line block ×6, first 2 shown]
	s_branch .LBB198_11
.LBB198_8:                              ;   in Loop: Header=BB198_11 Depth=1
	v_mov_b32_e32 v19, s6
.LBB198_9:                              ;   in Loop: Header=BB198_11 Depth=1
	s_or_b64 exec, exec, s[20:21]
.LBB198_10:                             ;   in Loop: Header=BB198_11 Depth=1
	s_or_b64 exec, exec, s[0:1]
	v_mov_b32_dpp v5, v31 row_shr:1 row_mask:0xf bank_mask:0xf
	v_min_i32_e32 v5, v5, v31
	v_add_u32_e32 v4, v19, v4
	s_waitcnt lgkmcnt(0)
	v_mov_b32_dpp v14, v5 row_shr:2 row_mask:0xf bank_mask:0xf
	v_min_i32_e32 v5, v14, v5
	s_nop 1
	v_mov_b32_dpp v14, v5 row_shr:4 row_mask:0xf bank_mask:0xe
	v_min_i32_e32 v5, v14, v5
	s_nop 1
	;; [unrolled: 3-line block ×3, first 2 shown]
	v_mov_b32_dpp v14, v5 row_bcast:15 row_mask:0xa bank_mask:0xf
	v_min_i32_e32 v5, v14, v5
	ds_bpermute_b32 v5, v25, v5
	s_waitcnt lgkmcnt(0)
	v_cmp_le_i32_e32 vcc, s5, v5
	s_or_b64 s[18:19], vcc, s[18:19]
	s_andn2_b64 exec, exec, s[18:19]
	s_cbranch_execz .LBB198_32
.LBB198_11:                             ; =>This Loop Header: Depth=1
                                        ;     Child Loop BB198_12 Depth 2
                                        ;     Child Loop BB198_16 Depth 2
	s_mov_b64 s[0:1], 0
	v_mov_b32_e32 v14, v26
	v_mov_b32_e32 v15, v29
	ds_write_b8 v20, v7 offset:8192
.LBB198_12:                             ;   Parent Loop BB198_11 Depth=1
                                        ; =>  This Inner Loop Header: Depth=2
	v_add_co_u32_e32 v15, vcc, 4, v15
	s_xor_b64 s[20:21], vcc, -1
	s_and_b64 s[20:21], exec, s[20:21]
	ds_write_b128 v14, v[0:3]
	s_or_b64 s[0:1], s[20:21], s[0:1]
	v_add_u32_e32 v14, 64, v14
	s_andn2_b64 exec, exec, s[0:1]
	s_cbranch_execnz .LBB198_12
; %bb.13:                               ;   in Loop: Header=BB198_11 Depth=1
	s_or_b64 exec, exec, s[0:1]
	v_add_u32_e32 v14, v18, v22
	v_cmp_lt_i32_e32 vcc, v14, v21
	v_mov_b32_e32 v31, s5
	v_mov_b32_e32 v15, v21
	s_waitcnt lgkmcnt(0)
	s_and_saveexec_b64 s[20:21], vcc
	s_cbranch_execz .LBB198_21
; %bb.14:                               ;   in Loop: Header=BB198_11 Depth=1
	v_ashrrev_i32_e32 v15, 31, v14
	v_mul_lo_u32 v32, v5, s7
	v_lshl_add_u64 v[16:17], v[14:15], 2, s[12:13]
	v_lshl_add_u64 v[18:19], v[14:15], 4, s[8:9]
	s_mov_b64 s[22:23], 0
	v_mov_b32_e32 v31, s5
	v_mov_b32_e32 v15, v21
	s_branch .LBB198_16
.LBB198_15:                             ;   in Loop: Header=BB198_16 Depth=2
	s_or_b64 exec, exec, s[0:1]
	v_add_u32_e32 v14, 4, v14
	v_cmp_ge_i32_e64 s[0:1], v14, v21
	s_xor_b64 s[30:31], vcc, -1
	s_or_b64 s[0:1], s[30:31], s[0:1]
	s_and_b64 s[0:1], exec, s[0:1]
	v_lshl_add_u64 v[16:17], v[16:17], 0, 16
	s_or_b64 s[22:23], s[0:1], s[22:23]
	v_lshl_add_u64 v[18:19], v[18:19], 0, 64
	s_andn2_b64 exec, exec, s[22:23]
	s_cbranch_execz .LBB198_20
.LBB198_16:                             ;   Parent Loop BB198_11 Depth=1
                                        ; =>  This Inner Loop Header: Depth=2
	global_load_dword v33, v[16:17], off
	s_waitcnt vmcnt(0)
	v_subrev_u32_e32 v33, s24, v33
	v_sub_u32_e32 v35, 0, v33
	v_max_i32_e32 v35, v33, v35
	v_mul_hi_u32 v36, v35, v28
	v_mul_lo_u32 v37, v36, s28
	v_sub_u32_e32 v35, v35, v37
	v_add_u32_e32 v38, 1, v36
	v_cmp_le_u32_e32 vcc, s28, v35
	v_subrev_u32_e32 v37, s28, v35
	v_ashrrev_i32_e32 v34, 31, v33
	v_cndmask_b32_e32 v36, v36, v38, vcc
	v_cndmask_b32_e32 v35, v35, v37, vcc
	v_add_u32_e32 v37, 1, v36
	v_cmp_le_u32_e32 vcc, s28, v35
	v_xor_b32_e32 v34, s4, v34
	s_nop 0
	v_cndmask_b32_e32 v35, v36, v37, vcc
	v_xor_b32_e32 v35, v35, v34
	v_sub_u32_e32 v35, v35, v34
	v_cmp_eq_u32_e32 vcc, v35, v5
	v_cmp_ne_u32_e64 s[0:1], v35, v5
	v_mov_b32_e32 v34, v15
	s_and_saveexec_b64 s[30:31], s[0:1]
	s_xor_b64 s[0:1], exec, s[30:31]
; %bb.17:                               ;   in Loop: Header=BB198_16 Depth=2
	v_min_i32_e32 v31, v35, v31
                                        ; implicit-def: $vgpr33
                                        ; implicit-def: $vgpr34
; %bb.18:                               ;   in Loop: Header=BB198_16 Depth=2
	s_or_saveexec_b64 s[0:1], s[0:1]
	v_mov_b32_e32 v15, v14
	s_xor_b64 exec, exec, s[0:1]
	s_cbranch_execz .LBB198_15
; %bb.19:                               ;   in Loop: Header=BB198_16 Depth=2
	global_load_dwordx4 v[36:39], v[18:19], off
	v_sub_u32_e32 v15, v33, v32
	v_add_lshl_u32 v15, v23, v15, 4
	ds_write_b8 v20, v30 offset:8192
	s_waitcnt vmcnt(0)
	ds_write2_b64 v15, v[36:37], v[38:39] offset1:1
	v_mov_b32_e32 v15, v34
	s_branch .LBB198_15
.LBB198_20:                             ;   in Loop: Header=BB198_11 Depth=1
	s_or_b64 exec, exec, s[22:23]
.LBB198_21:                             ;   in Loop: Header=BB198_11 Depth=1
	s_or_b64 exec, exec, s[20:21]
	v_mov_b32_dpp v14, v15 row_shr:1 row_mask:0xf bank_mask:0xf
	v_min_i32_e32 v14, v14, v15
	s_waitcnt lgkmcnt(0)
	ds_read_u8 v15, v20 offset:8192
	v_mov_b32_dpp v16, v14 row_shr:2 row_mask:0xf bank_mask:0xf
	v_min_i32_e32 v14, v16, v14
	ds_bpermute_b32 v18, v24, v14
	v_mov_b32_e32 v19, 0
	s_waitcnt lgkmcnt(1)
	v_and_b32_e32 v14, 1, v15
	v_cmp_eq_u32_e32 vcc, 1, v14
	s_and_saveexec_b64 s[0:1], vcc
	s_cbranch_execz .LBB198_10
; %bb.22:                               ;   in Loop: Header=BB198_11 Depth=1
	v_add_u32_e32 v16, s25, v5
	v_ashrrev_i32_e32 v5, 31, v4
	v_lshl_add_u64 v[14:15], v[4:5], 2, s[10:11]
	global_store_dword v[14:15], v16, off
	v_mul_lo_u32 v16, s26, v4
	v_mul_lo_u32 v5, s27, v5
	v_mad_u64_u32 v[14:15], s[20:21], s27, v4, 0
	v_add3_u32 v15, v15, v5, v16
	v_lshlrev_b64 v[14:15], 4, v[14:15]
	v_lshl_add_u64 v[16:17], v[8:9], 0, v[14:15]
	v_lshl_add_u64 v[14:15], v[10:11], 0, v[14:15]
	s_and_saveexec_b64 s[20:21], s[16:17]
	s_cbranch_execz .LBB198_26
; %bb.23:                               ;   in Loop: Header=BB198_11 Depth=1
	s_and_b64 vcc, exec, s[14:15]
	s_cbranch_vccz .LBB198_29
; %bb.24:                               ;   in Loop: Header=BB198_11 Depth=1
	ds_read2_b64 v[32:35], v26 offset1:1
	v_lshl_add_u64 v[36:37], v[6:7], 4, v[16:17]
	s_waitcnt lgkmcnt(0)
	global_store_dwordx4 v[36:37], v[32:35], off
	s_cbranch_execnz .LBB198_26
.LBB198_25:                             ;   in Loop: Header=BB198_11 Depth=1
	ds_read2_b64 v[32:35], v26 offset1:1
	s_waitcnt lgkmcnt(0)
	global_store_dwordx4 v[14:15], v[32:35], off
.LBB198_26:                             ;   in Loop: Header=BB198_11 Depth=1
	s_or_b64 exec, exec, s[20:21]
	v_mov_b32_e32 v19, 1
	s_and_saveexec_b64 s[20:21], s[2:3]
	s_cbranch_execz .LBB198_9
; %bb.27:                               ;   in Loop: Header=BB198_11 Depth=1
	s_andn2_b64 vcc, exec, s[14:15]
	s_cbranch_vccnz .LBB198_30
; %bb.28:                               ;   in Loop: Header=BB198_11 Depth=1
	ds_read2_b64 v[32:35], v27 offset1:1
	v_lshl_add_u64 v[16:17], v[12:13], 4, v[16:17]
	s_mov_b32 s6, 1
	s_waitcnt lgkmcnt(0)
	global_store_dwordx4 v[16:17], v[32:35], off
	s_cbranch_execnz .LBB198_8
	s_branch .LBB198_31
.LBB198_29:                             ;   in Loop: Header=BB198_11 Depth=1
	s_branch .LBB198_25
.LBB198_30:                             ;   in Loop: Header=BB198_11 Depth=1
                                        ; implicit-def: $sgpr6
.LBB198_31:                             ;   in Loop: Header=BB198_11 Depth=1
	ds_read2_b64 v[32:35], v27 offset1:1
	s_mov_b32 s6, 1
	s_waitcnt lgkmcnt(0)
	global_store_dwordx4 v[14:15], v[32:35], off offset:64
	s_branch .LBB198_8
.LBB198_32:
	s_endpgm
	.section	.rodata,"a",@progbits
	.p2align	6, 0x0
	.amdhsa_kernel _ZN9rocsparseL44csr2gebsr_wavefront_per_row_multipass_kernelILi256ELi8ELi8ELi32E21rocsparse_complex_numIdEEEv20rocsparse_direction_iiiiii21rocsparse_index_base_PKT3_PKiS9_S4_PS5_PiSB_
		.amdhsa_group_segment_fixed_size 8200
		.amdhsa_private_segment_fixed_size 0
		.amdhsa_kernarg_size 88
		.amdhsa_user_sgpr_count 2
		.amdhsa_user_sgpr_dispatch_ptr 0
		.amdhsa_user_sgpr_queue_ptr 0
		.amdhsa_user_sgpr_kernarg_segment_ptr 1
		.amdhsa_user_sgpr_dispatch_id 0
		.amdhsa_user_sgpr_kernarg_preload_length 0
		.amdhsa_user_sgpr_kernarg_preload_offset 0
		.amdhsa_user_sgpr_private_segment_size 0
		.amdhsa_uses_dynamic_stack 0
		.amdhsa_enable_private_segment 0
		.amdhsa_system_sgpr_workgroup_id_x 1
		.amdhsa_system_sgpr_workgroup_id_y 0
		.amdhsa_system_sgpr_workgroup_id_z 0
		.amdhsa_system_sgpr_workgroup_info 0
		.amdhsa_system_vgpr_workitem_id 0
		.amdhsa_next_free_vgpr 40
		.amdhsa_next_free_sgpr 32
		.amdhsa_accum_offset 40
		.amdhsa_reserve_vcc 1
		.amdhsa_float_round_mode_32 0
		.amdhsa_float_round_mode_16_64 0
		.amdhsa_float_denorm_mode_32 3
		.amdhsa_float_denorm_mode_16_64 3
		.amdhsa_dx10_clamp 1
		.amdhsa_ieee_mode 1
		.amdhsa_fp16_overflow 0
		.amdhsa_tg_split 0
		.amdhsa_exception_fp_ieee_invalid_op 0
		.amdhsa_exception_fp_denorm_src 0
		.amdhsa_exception_fp_ieee_div_zero 0
		.amdhsa_exception_fp_ieee_overflow 0
		.amdhsa_exception_fp_ieee_underflow 0
		.amdhsa_exception_fp_ieee_inexact 0
		.amdhsa_exception_int_div_zero 0
	.end_amdhsa_kernel
	.section	.text._ZN9rocsparseL44csr2gebsr_wavefront_per_row_multipass_kernelILi256ELi8ELi8ELi32E21rocsparse_complex_numIdEEEv20rocsparse_direction_iiiiii21rocsparse_index_base_PKT3_PKiS9_S4_PS5_PiSB_,"axG",@progbits,_ZN9rocsparseL44csr2gebsr_wavefront_per_row_multipass_kernelILi256ELi8ELi8ELi32E21rocsparse_complex_numIdEEEv20rocsparse_direction_iiiiii21rocsparse_index_base_PKT3_PKiS9_S4_PS5_PiSB_,comdat
.Lfunc_end198:
	.size	_ZN9rocsparseL44csr2gebsr_wavefront_per_row_multipass_kernelILi256ELi8ELi8ELi32E21rocsparse_complex_numIdEEEv20rocsparse_direction_iiiiii21rocsparse_index_base_PKT3_PKiS9_S4_PS5_PiSB_, .Lfunc_end198-_ZN9rocsparseL44csr2gebsr_wavefront_per_row_multipass_kernelILi256ELi8ELi8ELi32E21rocsparse_complex_numIdEEEv20rocsparse_direction_iiiiii21rocsparse_index_base_PKT3_PKiS9_S4_PS5_PiSB_
                                        ; -- End function
	.section	.AMDGPU.csdata,"",@progbits
; Kernel info:
; codeLenInByte = 1372
; NumSgprs: 38
; NumVgprs: 40
; NumAgprs: 0
; TotalNumVgprs: 40
; ScratchSize: 0
; MemoryBound: 0
; FloatMode: 240
; IeeeMode: 1
; LDSByteSize: 8200 bytes/workgroup (compile time only)
; SGPRBlocks: 4
; VGPRBlocks: 4
; NumSGPRsForWavesPerEU: 38
; NumVGPRsForWavesPerEU: 40
; AccumOffset: 40
; Occupancy: 7
; WaveLimiterHint : 0
; COMPUTE_PGM_RSRC2:SCRATCH_EN: 0
; COMPUTE_PGM_RSRC2:USER_SGPR: 2
; COMPUTE_PGM_RSRC2:TRAP_HANDLER: 0
; COMPUTE_PGM_RSRC2:TGID_X_EN: 1
; COMPUTE_PGM_RSRC2:TGID_Y_EN: 0
; COMPUTE_PGM_RSRC2:TGID_Z_EN: 0
; COMPUTE_PGM_RSRC2:TIDIG_COMP_CNT: 0
; COMPUTE_PGM_RSRC3_GFX90A:ACCUM_OFFSET: 9
; COMPUTE_PGM_RSRC3_GFX90A:TG_SPLIT: 0
	.section	.text._ZN9rocsparseL44csr2gebsr_wavefront_per_row_multipass_kernelILi256ELi8ELi16ELi64E21rocsparse_complex_numIdEEEv20rocsparse_direction_iiiiii21rocsparse_index_base_PKT3_PKiS9_S4_PS5_PiSB_,"axG",@progbits,_ZN9rocsparseL44csr2gebsr_wavefront_per_row_multipass_kernelILi256ELi8ELi16ELi64E21rocsparse_complex_numIdEEEv20rocsparse_direction_iiiiii21rocsparse_index_base_PKT3_PKiS9_S4_PS5_PiSB_,comdat
	.globl	_ZN9rocsparseL44csr2gebsr_wavefront_per_row_multipass_kernelILi256ELi8ELi16ELi64E21rocsparse_complex_numIdEEEv20rocsparse_direction_iiiiii21rocsparse_index_base_PKT3_PKiS9_S4_PS5_PiSB_ ; -- Begin function _ZN9rocsparseL44csr2gebsr_wavefront_per_row_multipass_kernelILi256ELi8ELi16ELi64E21rocsparse_complex_numIdEEEv20rocsparse_direction_iiiiii21rocsparse_index_base_PKT3_PKiS9_S4_PS5_PiSB_
	.p2align	8
	.type	_ZN9rocsparseL44csr2gebsr_wavefront_per_row_multipass_kernelILi256ELi8ELi16ELi64E21rocsparse_complex_numIdEEEv20rocsparse_direction_iiiiii21rocsparse_index_base_PKT3_PKiS9_S4_PS5_PiSB_,@function
_ZN9rocsparseL44csr2gebsr_wavefront_per_row_multipass_kernelILi256ELi8ELi16ELi64E21rocsparse_complex_numIdEEEv20rocsparse_direction_iiiiii21rocsparse_index_base_PKT3_PKiS9_S4_PS5_PiSB_: ; @_ZN9rocsparseL44csr2gebsr_wavefront_per_row_multipass_kernelILi256ELi8ELi16ELi64E21rocsparse_complex_numIdEEEv20rocsparse_direction_iiiiii21rocsparse_index_base_PKT3_PKiS9_S4_PS5_PiSB_
; %bb.0:
	s_load_dwordx2 s[14:15], s[0:1], 0x0
	s_load_dwordx4 s[4:7], s[0:1], 0xc
	s_load_dword s26, s[0:1], 0x1c
	s_load_dwordx2 s[8:9], s[0:1], 0x28
	v_lshrrev_b32_e32 v20, 6, v0
	v_bfe_u32 v2, v0, 3, 3
	v_lshl_or_b32 v6, s2, 2, v20
	s_waitcnt lgkmcnt(0)
	v_mad_u64_u32 v[4:5], s[2:3], v6, s6, v[2:3]
	v_cmp_gt_i32_e64 s[2:3], s15, v4
	v_cmp_gt_i32_e32 vcc, s6, v2
	s_and_b64 s[2:3], vcc, s[2:3]
	v_mov_b32_e32 v21, 0
	v_mov_b32_e32 v18, 0
	s_and_saveexec_b64 s[10:11], s[2:3]
	s_cbranch_execz .LBB199_2
; %bb.1:
	v_ashrrev_i32_e32 v5, 31, v4
	v_lshl_add_u64 v[8:9], v[4:5], 2, s[8:9]
	global_load_dword v1, v[8:9], off
	s_waitcnt vmcnt(0)
	v_subrev_u32_e32 v18, s26, v1
.LBB199_2:
	s_or_b64 exec, exec, s[10:11]
	s_and_saveexec_b64 s[10:11], s[2:3]
	s_cbranch_execz .LBB199_4
; %bb.3:
	v_ashrrev_i32_e32 v5, 31, v4
	v_lshl_add_u64 v[4:5], v[4:5], 2, s[8:9]
	global_load_dword v1, v[4:5], off offset:4
	s_waitcnt vmcnt(0)
	v_subrev_u32_e32 v21, s26, v1
.LBB199_4:
	s_or_b64 exec, exec, s[10:11]
	s_load_dword s27, s[0:1], 0x38
	v_cmp_gt_i32_e64 s[2:3], s4, v6
	v_mov_b32_e32 v4, 0
	s_and_saveexec_b64 s[8:9], s[2:3]
	s_cbranch_execz .LBB199_6
; %bb.5:
	s_load_dwordx2 s[2:3], s[0:1], 0x48
	v_ashrrev_i32_e32 v7, 31, v6
	s_waitcnt lgkmcnt(0)
	v_lshl_add_u64 v[4:5], v[6:7], 2, s[2:3]
	global_load_dword v1, v[4:5], off
	s_waitcnt vmcnt(0)
	v_subrev_u32_e32 v4, s27, v1
.LBB199_6:
	s_or_b64 exec, exec, s[8:9]
	s_cmp_lt_i32 s5, 1
	s_cbranch_scc1 .LBB199_32
; %bb.7:
	s_load_dwordx2 s[8:9], s[0:1], 0x20
	s_load_dwordx2 s[10:11], s[0:1], 0x50
	;; [unrolled: 1-line block ×4, first 2 shown]
	v_and_b32_e32 v22, 7, v0
	v_mbcnt_lo_u32_b32 v0, -1, 0
	v_mbcnt_hi_u32_b32 v0, -1, v0
	v_lshlrev_b32_e32 v3, 2, v0
	v_mul_lo_u32 v0, v2, s7
	v_lshlrev_b32_e32 v6, 4, v2
	v_mov_b32_e32 v7, 0
	s_cmp_lg_u32 s14, 0
	v_ashrrev_i32_e32 v1, 31, v0
	v_lshl_or_b32 v23, v20, 7, v6
	s_cselect_b64 s[14:15], -1, 0
	s_waitcnt lgkmcnt(0)
	v_lshl_add_u64 v[8:9], s[2:3], 0, v[6:7]
	v_lshl_add_u64 v[0:1], v[0:1], 4, s[2:3]
	v_lshlrev_b32_e32 v6, 4, v22
	s_abs_i32 s30, s7
	v_lshl_add_u64 v[10:11], v[0:1], 0, v[6:7]
	v_cvt_f32_u32_e32 v0, s30
	s_ashr_i32 s4, s7, 31
	s_mul_hi_u32 s0, s7, s6
	s_mul_i32 s1, s4, s6
	v_rcp_iflag_f32_e32 v0, v0
	s_add_i32 s28, s0, s1
	v_cmp_gt_u32_e64 s[0:1], s7, v22
	v_or_b32_e32 v1, 8, v22
	v_mul_f32_e32 v0, 0x4f7ffffe, v0
	v_cvt_u32_f32_e32 v0, v0
	s_and_b64 s[16:17], s[0:1], vcc
	s_sub_i32 s0, 0, s30
	v_or_b32_e32 v5, v23, v22
	v_cmp_gt_u32_e64 s[2:3], s7, v1
	v_mul_lo_u32 v1, s0, v0
	v_lshlrev_b32_e32 v26, 4, v5
	v_mul_lo_u32 v6, v22, s6
	v_mul_hi_u32 v1, v0, v1
	v_or_b32_e32 v24, 28, v3
	s_mul_i32 s29, s7, s6
	v_or_b32_e32 v25, 0xfc, v3
	v_or_b32_e32 v27, 0x80, v26
	v_lshl_add_u32 v12, s6, 3, v6
	v_mov_b32_e32 v13, v7
	s_and_b64 s[2:3], vcc, s[2:3]
	v_add_u32_e32 v28, v0, v1
	v_or_b32_e32 v29, -8, v22
	s_mov_b64 s[18:19], 0
	v_mov_b32_e32 v0, v7
	v_mov_b32_e32 v1, v7
	;; [unrolled: 1-line block ×4, first 2 shown]
	s_mov_b64 s[20:21], 0x80
	v_mov_b32_e32 v30, 1
	v_mov_b32_e32 v5, v7
	s_branch .LBB199_11
.LBB199_8:                              ;   in Loop: Header=BB199_11 Depth=1
	v_mov_b32_e32 v19, s6
.LBB199_9:                              ;   in Loop: Header=BB199_11 Depth=1
	s_or_b64 exec, exec, s[22:23]
.LBB199_10:                             ;   in Loop: Header=BB199_11 Depth=1
	s_or_b64 exec, exec, s[0:1]
	v_mov_b32_dpp v5, v31 row_shr:1 row_mask:0xf bank_mask:0xf
	v_min_i32_e32 v5, v5, v31
	v_add_u32_e32 v4, v19, v4
	s_waitcnt lgkmcnt(0)
	v_mov_b32_dpp v14, v5 row_shr:2 row_mask:0xf bank_mask:0xf
	v_min_i32_e32 v5, v14, v5
	s_nop 1
	v_mov_b32_dpp v14, v5 row_shr:4 row_mask:0xf bank_mask:0xe
	v_min_i32_e32 v5, v14, v5
	s_nop 1
	;; [unrolled: 3-line block ×3, first 2 shown]
	v_mov_b32_dpp v14, v5 row_bcast:15 row_mask:0xa bank_mask:0xf
	v_min_i32_e32 v5, v14, v5
	s_nop 1
	v_mov_b32_dpp v14, v5 row_bcast:31 row_mask:0xc bank_mask:0xf
	v_min_i32_e32 v5, v14, v5
	ds_bpermute_b32 v5, v25, v5
	s_waitcnt lgkmcnt(0)
	v_cmp_le_i32_e32 vcc, s5, v5
	s_or_b64 s[18:19], vcc, s[18:19]
	s_andn2_b64 exec, exec, s[18:19]
	s_cbranch_execz .LBB199_32
.LBB199_11:                             ; =>This Loop Header: Depth=1
                                        ;     Child Loop BB199_12 Depth 2
                                        ;     Child Loop BB199_16 Depth 2
	s_mov_b64 s[0:1], 0
	v_mov_b32_e32 v14, v26
	v_mov_b32_e32 v15, v29
	ds_write_b8 v20, v7 offset:8192
.LBB199_12:                             ;   Parent Loop BB199_11 Depth=1
                                        ; =>  This Inner Loop Header: Depth=2
	v_add_co_u32_e32 v15, vcc, 8, v15
	s_xor_b64 s[22:23], vcc, -1
	s_and_b64 s[22:23], exec, s[22:23]
	ds_write_b128 v14, v[0:3]
	s_or_b64 s[0:1], s[22:23], s[0:1]
	v_add_u32_e32 v14, 0x80, v14
	s_andn2_b64 exec, exec, s[0:1]
	s_cbranch_execnz .LBB199_12
; %bb.13:                               ;   in Loop: Header=BB199_11 Depth=1
	s_or_b64 exec, exec, s[0:1]
	v_add_u32_e32 v14, v18, v22
	v_cmp_lt_i32_e32 vcc, v14, v21
	v_mov_b32_e32 v31, s5
	v_mov_b32_e32 v15, v21
	s_waitcnt lgkmcnt(0)
	s_and_saveexec_b64 s[22:23], vcc
	s_cbranch_execz .LBB199_21
; %bb.14:                               ;   in Loop: Header=BB199_11 Depth=1
	v_ashrrev_i32_e32 v15, 31, v14
	v_mul_lo_u32 v32, v5, s7
	v_lshl_add_u64 v[16:17], v[14:15], 2, s[12:13]
	v_lshl_add_u64 v[18:19], v[14:15], 4, s[8:9]
	s_mov_b64 s[24:25], 0
	v_mov_b32_e32 v31, s5
	v_mov_b32_e32 v15, v21
	s_branch .LBB199_16
.LBB199_15:                             ;   in Loop: Header=BB199_16 Depth=2
	s_or_b64 exec, exec, s[0:1]
	v_add_u32_e32 v14, 8, v14
	v_cmp_ge_i32_e64 s[0:1], v14, v21
	s_xor_b64 s[34:35], vcc, -1
	s_or_b64 s[0:1], s[34:35], s[0:1]
	s_and_b64 s[0:1], exec, s[0:1]
	v_lshl_add_u64 v[16:17], v[16:17], 0, 32
	s_or_b64 s[24:25], s[0:1], s[24:25]
	v_lshl_add_u64 v[18:19], v[18:19], 0, s[20:21]
	s_andn2_b64 exec, exec, s[24:25]
	s_cbranch_execz .LBB199_20
.LBB199_16:                             ;   Parent Loop BB199_11 Depth=1
                                        ; =>  This Inner Loop Header: Depth=2
	global_load_dword v33, v[16:17], off
	s_waitcnt vmcnt(0)
	v_subrev_u32_e32 v33, s26, v33
	v_sub_u32_e32 v35, 0, v33
	v_max_i32_e32 v35, v33, v35
	v_mul_hi_u32 v36, v35, v28
	v_mul_lo_u32 v37, v36, s30
	v_sub_u32_e32 v35, v35, v37
	v_add_u32_e32 v38, 1, v36
	v_cmp_le_u32_e32 vcc, s30, v35
	v_subrev_u32_e32 v37, s30, v35
	v_ashrrev_i32_e32 v34, 31, v33
	v_cndmask_b32_e32 v36, v36, v38, vcc
	v_cndmask_b32_e32 v35, v35, v37, vcc
	v_add_u32_e32 v37, 1, v36
	v_cmp_le_u32_e32 vcc, s30, v35
	v_xor_b32_e32 v34, s4, v34
	s_nop 0
	v_cndmask_b32_e32 v35, v36, v37, vcc
	v_xor_b32_e32 v35, v35, v34
	v_sub_u32_e32 v35, v35, v34
	v_cmp_eq_u32_e32 vcc, v35, v5
	v_cmp_ne_u32_e64 s[0:1], v35, v5
	v_mov_b32_e32 v34, v15
	s_and_saveexec_b64 s[34:35], s[0:1]
	s_xor_b64 s[0:1], exec, s[34:35]
; %bb.17:                               ;   in Loop: Header=BB199_16 Depth=2
	v_min_i32_e32 v31, v35, v31
                                        ; implicit-def: $vgpr33
                                        ; implicit-def: $vgpr34
; %bb.18:                               ;   in Loop: Header=BB199_16 Depth=2
	s_or_saveexec_b64 s[0:1], s[0:1]
	v_mov_b32_e32 v15, v14
	s_xor_b64 exec, exec, s[0:1]
	s_cbranch_execz .LBB199_15
; %bb.19:                               ;   in Loop: Header=BB199_16 Depth=2
	global_load_dwordx4 v[36:39], v[18:19], off
	v_sub_u32_e32 v15, v33, v32
	v_add_lshl_u32 v15, v23, v15, 4
	ds_write_b8 v20, v30 offset:8192
	s_waitcnt vmcnt(0)
	ds_write2_b64 v15, v[36:37], v[38:39] offset1:1
	v_mov_b32_e32 v15, v34
	s_branch .LBB199_15
.LBB199_20:                             ;   in Loop: Header=BB199_11 Depth=1
	s_or_b64 exec, exec, s[24:25]
.LBB199_21:                             ;   in Loop: Header=BB199_11 Depth=1
	s_or_b64 exec, exec, s[22:23]
	v_mov_b32_dpp v14, v15 row_shr:1 row_mask:0xf bank_mask:0xf
	v_min_i32_e32 v14, v14, v15
	s_waitcnt lgkmcnt(0)
	v_mov_b32_e32 v19, 0
	v_mov_b32_dpp v15, v14 row_shr:2 row_mask:0xf bank_mask:0xf
	v_min_i32_e32 v14, v15, v14
	ds_read_u8 v15, v20 offset:8192
	s_nop 0
	v_mov_b32_dpp v16, v14 row_shr:4 row_mask:0xf bank_mask:0xe
	v_min_i32_e32 v14, v16, v14
	ds_bpermute_b32 v18, v24, v14
	s_waitcnt lgkmcnt(1)
	v_and_b32_e32 v14, 1, v15
	v_cmp_eq_u32_e32 vcc, 1, v14
	s_and_saveexec_b64 s[0:1], vcc
	s_cbranch_execz .LBB199_10
; %bb.22:                               ;   in Loop: Header=BB199_11 Depth=1
	v_add_u32_e32 v16, s27, v5
	v_ashrrev_i32_e32 v5, 31, v4
	v_lshl_add_u64 v[14:15], v[4:5], 2, s[10:11]
	global_store_dword v[14:15], v16, off
	v_mul_lo_u32 v16, s28, v4
	v_mul_lo_u32 v5, s29, v5
	v_mad_u64_u32 v[14:15], s[22:23], s29, v4, 0
	v_add3_u32 v15, v15, v5, v16
	v_lshlrev_b64 v[14:15], 4, v[14:15]
	v_lshl_add_u64 v[16:17], v[8:9], 0, v[14:15]
	v_lshl_add_u64 v[14:15], v[10:11], 0, v[14:15]
	s_and_saveexec_b64 s[22:23], s[16:17]
	s_cbranch_execz .LBB199_26
; %bb.23:                               ;   in Loop: Header=BB199_11 Depth=1
	s_and_b64 vcc, exec, s[14:15]
	s_cbranch_vccz .LBB199_29
; %bb.24:                               ;   in Loop: Header=BB199_11 Depth=1
	ds_read2_b64 v[32:35], v26 offset1:1
	v_lshl_add_u64 v[36:37], v[6:7], 4, v[16:17]
	s_waitcnt lgkmcnt(0)
	global_store_dwordx4 v[36:37], v[32:35], off
	s_cbranch_execnz .LBB199_26
.LBB199_25:                             ;   in Loop: Header=BB199_11 Depth=1
	ds_read2_b64 v[32:35], v26 offset1:1
	s_waitcnt lgkmcnt(0)
	global_store_dwordx4 v[14:15], v[32:35], off
.LBB199_26:                             ;   in Loop: Header=BB199_11 Depth=1
	s_or_b64 exec, exec, s[22:23]
	v_mov_b32_e32 v19, 1
	s_and_saveexec_b64 s[22:23], s[2:3]
	s_cbranch_execz .LBB199_9
; %bb.27:                               ;   in Loop: Header=BB199_11 Depth=1
	s_andn2_b64 vcc, exec, s[14:15]
	s_cbranch_vccnz .LBB199_30
; %bb.28:                               ;   in Loop: Header=BB199_11 Depth=1
	ds_read2_b64 v[32:35], v27 offset1:1
	v_lshl_add_u64 v[16:17], v[12:13], 4, v[16:17]
	s_mov_b32 s6, 1
	s_waitcnt lgkmcnt(0)
	global_store_dwordx4 v[16:17], v[32:35], off
	s_cbranch_execnz .LBB199_8
	s_branch .LBB199_31
.LBB199_29:                             ;   in Loop: Header=BB199_11 Depth=1
	s_branch .LBB199_25
.LBB199_30:                             ;   in Loop: Header=BB199_11 Depth=1
                                        ; implicit-def: $sgpr6
.LBB199_31:                             ;   in Loop: Header=BB199_11 Depth=1
	ds_read2_b64 v[32:35], v27 offset1:1
	s_mov_b32 s6, 1
	s_waitcnt lgkmcnt(0)
	global_store_dwordx4 v[14:15], v[32:35], off offset:128
	s_branch .LBB199_8
.LBB199_32:
	s_endpgm
	.section	.rodata,"a",@progbits
	.p2align	6, 0x0
	.amdhsa_kernel _ZN9rocsparseL44csr2gebsr_wavefront_per_row_multipass_kernelILi256ELi8ELi16ELi64E21rocsparse_complex_numIdEEEv20rocsparse_direction_iiiiii21rocsparse_index_base_PKT3_PKiS9_S4_PS5_PiSB_
		.amdhsa_group_segment_fixed_size 8200
		.amdhsa_private_segment_fixed_size 0
		.amdhsa_kernarg_size 88
		.amdhsa_user_sgpr_count 2
		.amdhsa_user_sgpr_dispatch_ptr 0
		.amdhsa_user_sgpr_queue_ptr 0
		.amdhsa_user_sgpr_kernarg_segment_ptr 1
		.amdhsa_user_sgpr_dispatch_id 0
		.amdhsa_user_sgpr_kernarg_preload_length 0
		.amdhsa_user_sgpr_kernarg_preload_offset 0
		.amdhsa_user_sgpr_private_segment_size 0
		.amdhsa_uses_dynamic_stack 0
		.amdhsa_enable_private_segment 0
		.amdhsa_system_sgpr_workgroup_id_x 1
		.amdhsa_system_sgpr_workgroup_id_y 0
		.amdhsa_system_sgpr_workgroup_id_z 0
		.amdhsa_system_sgpr_workgroup_info 0
		.amdhsa_system_vgpr_workitem_id 0
		.amdhsa_next_free_vgpr 40
		.amdhsa_next_free_sgpr 36
		.amdhsa_accum_offset 40
		.amdhsa_reserve_vcc 1
		.amdhsa_float_round_mode_32 0
		.amdhsa_float_round_mode_16_64 0
		.amdhsa_float_denorm_mode_32 3
		.amdhsa_float_denorm_mode_16_64 3
		.amdhsa_dx10_clamp 1
		.amdhsa_ieee_mode 1
		.amdhsa_fp16_overflow 0
		.amdhsa_tg_split 0
		.amdhsa_exception_fp_ieee_invalid_op 0
		.amdhsa_exception_fp_denorm_src 0
		.amdhsa_exception_fp_ieee_div_zero 0
		.amdhsa_exception_fp_ieee_overflow 0
		.amdhsa_exception_fp_ieee_underflow 0
		.amdhsa_exception_fp_ieee_inexact 0
		.amdhsa_exception_int_div_zero 0
	.end_amdhsa_kernel
	.section	.text._ZN9rocsparseL44csr2gebsr_wavefront_per_row_multipass_kernelILi256ELi8ELi16ELi64E21rocsparse_complex_numIdEEEv20rocsparse_direction_iiiiii21rocsparse_index_base_PKT3_PKiS9_S4_PS5_PiSB_,"axG",@progbits,_ZN9rocsparseL44csr2gebsr_wavefront_per_row_multipass_kernelILi256ELi8ELi16ELi64E21rocsparse_complex_numIdEEEv20rocsparse_direction_iiiiii21rocsparse_index_base_PKT3_PKiS9_S4_PS5_PiSB_,comdat
.Lfunc_end199:
	.size	_ZN9rocsparseL44csr2gebsr_wavefront_per_row_multipass_kernelILi256ELi8ELi16ELi64E21rocsparse_complex_numIdEEEv20rocsparse_direction_iiiiii21rocsparse_index_base_PKT3_PKiS9_S4_PS5_PiSB_, .Lfunc_end199-_ZN9rocsparseL44csr2gebsr_wavefront_per_row_multipass_kernelILi256ELi8ELi16ELi64E21rocsparse_complex_numIdEEEv20rocsparse_direction_iiiiii21rocsparse_index_base_PKT3_PKiS9_S4_PS5_PiSB_
                                        ; -- End function
	.section	.AMDGPU.csdata,"",@progbits
; Kernel info:
; codeLenInByte = 1416
; NumSgprs: 42
; NumVgprs: 40
; NumAgprs: 0
; TotalNumVgprs: 40
; ScratchSize: 0
; MemoryBound: 0
; FloatMode: 240
; IeeeMode: 1
; LDSByteSize: 8200 bytes/workgroup (compile time only)
; SGPRBlocks: 5
; VGPRBlocks: 4
; NumSGPRsForWavesPerEU: 42
; NumVGPRsForWavesPerEU: 40
; AccumOffset: 40
; Occupancy: 7
; WaveLimiterHint : 0
; COMPUTE_PGM_RSRC2:SCRATCH_EN: 0
; COMPUTE_PGM_RSRC2:USER_SGPR: 2
; COMPUTE_PGM_RSRC2:TRAP_HANDLER: 0
; COMPUTE_PGM_RSRC2:TGID_X_EN: 1
; COMPUTE_PGM_RSRC2:TGID_Y_EN: 0
; COMPUTE_PGM_RSRC2:TGID_Z_EN: 0
; COMPUTE_PGM_RSRC2:TIDIG_COMP_CNT: 0
; COMPUTE_PGM_RSRC3_GFX90A:ACCUM_OFFSET: 9
; COMPUTE_PGM_RSRC3_GFX90A:TG_SPLIT: 0
	.section	.text._ZN9rocsparseL44csr2gebsr_wavefront_per_row_multipass_kernelILi256ELi8ELi16ELi32E21rocsparse_complex_numIdEEEv20rocsparse_direction_iiiiii21rocsparse_index_base_PKT3_PKiS9_S4_PS5_PiSB_,"axG",@progbits,_ZN9rocsparseL44csr2gebsr_wavefront_per_row_multipass_kernelILi256ELi8ELi16ELi32E21rocsparse_complex_numIdEEEv20rocsparse_direction_iiiiii21rocsparse_index_base_PKT3_PKiS9_S4_PS5_PiSB_,comdat
	.globl	_ZN9rocsparseL44csr2gebsr_wavefront_per_row_multipass_kernelILi256ELi8ELi16ELi32E21rocsparse_complex_numIdEEEv20rocsparse_direction_iiiiii21rocsparse_index_base_PKT3_PKiS9_S4_PS5_PiSB_ ; -- Begin function _ZN9rocsparseL44csr2gebsr_wavefront_per_row_multipass_kernelILi256ELi8ELi16ELi32E21rocsparse_complex_numIdEEEv20rocsparse_direction_iiiiii21rocsparse_index_base_PKT3_PKiS9_S4_PS5_PiSB_
	.p2align	8
	.type	_ZN9rocsparseL44csr2gebsr_wavefront_per_row_multipass_kernelILi256ELi8ELi16ELi32E21rocsparse_complex_numIdEEEv20rocsparse_direction_iiiiii21rocsparse_index_base_PKT3_PKiS9_S4_PS5_PiSB_,@function
_ZN9rocsparseL44csr2gebsr_wavefront_per_row_multipass_kernelILi256ELi8ELi16ELi32E21rocsparse_complex_numIdEEEv20rocsparse_direction_iiiiii21rocsparse_index_base_PKT3_PKiS9_S4_PS5_PiSB_: ; @_ZN9rocsparseL44csr2gebsr_wavefront_per_row_multipass_kernelILi256ELi8ELi16ELi32E21rocsparse_complex_numIdEEEv20rocsparse_direction_iiiiii21rocsparse_index_base_PKT3_PKiS9_S4_PS5_PiSB_
; %bb.0:
	s_load_dwordx2 s[4:5], s[0:1], 0x0
	s_load_dwordx4 s[8:11], s[0:1], 0xc
	s_load_dword s30, s[0:1], 0x1c
	s_load_dwordx2 s[6:7], s[0:1], 0x28
	v_lshrrev_b32_e32 v24, 5, v0
	v_bfe_u32 v2, v0, 2, 3
	v_lshl_or_b32 v6, s2, 3, v24
	s_waitcnt lgkmcnt(0)
	v_mad_u64_u32 v[4:5], s[2:3], v6, s10, v[2:3]
	v_cmp_gt_i32_e64 s[2:3], s5, v4
	v_cmp_gt_i32_e32 vcc, s10, v2
	s_and_b64 s[2:3], vcc, s[2:3]
	v_mov_b32_e32 v25, 0
	v_mov_b32_e32 v22, 0
	s_and_saveexec_b64 s[12:13], s[2:3]
	s_cbranch_execz .LBB200_2
; %bb.1:
	v_ashrrev_i32_e32 v5, 31, v4
	v_lshl_add_u64 v[8:9], v[4:5], 2, s[6:7]
	global_load_dword v1, v[8:9], off
	s_waitcnt vmcnt(0)
	v_subrev_u32_e32 v22, s30, v1
.LBB200_2:
	s_or_b64 exec, exec, s[12:13]
	s_and_saveexec_b64 s[12:13], s[2:3]
	s_cbranch_execz .LBB200_4
; %bb.3:
	v_ashrrev_i32_e32 v5, 31, v4
	v_lshl_add_u64 v[4:5], v[4:5], 2, s[6:7]
	global_load_dword v1, v[4:5], off offset:4
	s_waitcnt vmcnt(0)
	v_subrev_u32_e32 v25, s30, v1
.LBB200_4:
	s_or_b64 exec, exec, s[12:13]
	s_load_dword s31, s[0:1], 0x38
	v_cmp_gt_i32_e64 s[2:3], s8, v6
	v_mov_b32_e32 v4, 0
	s_and_saveexec_b64 s[6:7], s[2:3]
	s_cbranch_execz .LBB200_6
; %bb.5:
	s_load_dwordx2 s[2:3], s[0:1], 0x48
	v_ashrrev_i32_e32 v7, 31, v6
	s_waitcnt lgkmcnt(0)
	v_lshl_add_u64 v[4:5], v[6:7], 2, s[2:3]
	global_load_dword v1, v[4:5], off
	s_waitcnt vmcnt(0)
	v_subrev_u32_e32 v4, s31, v1
.LBB200_6:
	s_or_b64 exec, exec, s[6:7]
	s_cmp_lt_i32 s9, 1
	s_cbranch_scc1 .LBB200_42
; %bb.7:
	s_load_dwordx2 s[12:13], s[0:1], 0x20
	s_load_dwordx2 s[14:15], s[0:1], 0x50
	;; [unrolled: 1-line block ×4, first 2 shown]
	v_and_b32_e32 v26, 3, v0
	v_mbcnt_lo_u32_b32 v0, -1, 0
	v_mbcnt_hi_u32_b32 v0, -1, v0
	v_lshlrev_b32_e32 v3, 2, v0
	v_mul_lo_u32 v0, v2, s11
	v_lshlrev_b32_e32 v6, 4, v2
	v_mov_b32_e32 v7, 0
	s_cmp_lg_u32 s4, 0
	v_ashrrev_i32_e32 v1, 31, v0
	v_lshl_or_b32 v27, v24, 7, v6
	s_cselect_b64 s[18:19], -1, 0
	s_ashr_i32 s8, s11, 31
	s_waitcnt lgkmcnt(0)
	v_lshl_add_u64 v[8:9], s[2:3], 0, v[6:7]
	v_lshl_add_u64 v[0:1], v[0:1], 4, s[2:3]
	v_lshlrev_b32_e32 v6, 4, v26
	s_mul_hi_u32 s0, s11, s10
	s_mul_i32 s1, s8, s10
	s_mul_i32 s34, s11, s10
	v_lshl_add_u64 v[10:11], v[0:1], 0, v[6:7]
	v_mul_lo_u32 v6, v26, s10
	s_lshl_b32 s20, s10, 2
	s_abs_i32 s10, s11
	v_cvt_f32_u32_e32 v1, s10
	v_or_b32_e32 v0, 4, v26
	v_cmp_gt_u32_e64 s[2:3], s11, v0
	v_or_b32_e32 v0, 8, v26
	v_cmp_gt_u32_e64 s[4:5], s11, v0
	v_or_b32_e32 v0, 12, v26
	v_cmp_gt_u32_e64 s[6:7], s11, v0
	v_rcp_iflag_f32_e32 v0, v1
	v_add_u32_e32 v12, s20, v6
	s_add_i32 s33, s0, s1
	v_cmp_gt_u32_e64 s[0:1], s11, v26
	v_mul_f32_e32 v0, 0x4f7ffffe, v0
	v_cvt_u32_f32_e32 v0, v0
	v_add_u32_e32 v14, s20, v12
	v_add_u32_e32 v16, s20, v14
	s_and_b64 s[20:21], s[0:1], vcc
	s_sub_i32 s0, 0, s10
	v_or_b32_e32 v5, v27, v26
	v_mul_lo_u32 v1, s0, v0
	v_lshlrev_b32_e32 v30, 4, v5
	v_mul_hi_u32 v1, v0, v1
	v_cndmask_b32_e64 v5, 0, 1, s[18:19]
	v_or_b32_e32 v28, 12, v3
	v_or_b32_e32 v29, 0x7c, v3
	;; [unrolled: 1-line block ×3, first 2 shown]
	v_mov_b32_e32 v13, v7
	v_or_b32_e32 v32, 0x80, v30
	v_mov_b32_e32 v15, v7
	v_or_b32_e32 v33, 0xc0, v30
	v_mov_b32_e32 v17, v7
	s_and_b64 s[22:23], vcc, s[2:3]
	s_and_b64 s[4:5], vcc, s[4:5]
	;; [unrolled: 1-line block ×3, first 2 shown]
	v_add_u32_e32 v34, v0, v1
	v_or_b32_e32 v35, -4, v26
	s_mov_b64 s[24:25], 0
	v_mov_b32_e32 v0, v7
	v_mov_b32_e32 v1, v7
	;; [unrolled: 1-line block ×4, first 2 shown]
	v_cmp_ne_u32_e64 s[0:1], 1, v5
	v_mov_b32_e32 v36, 1
	v_mov_b32_e32 v5, v7
	s_branch .LBB200_11
.LBB200_8:                              ;   in Loop: Header=BB200_11 Depth=1
	v_mov_b32_e32 v23, s35
.LBB200_9:                              ;   in Loop: Header=BB200_11 Depth=1
	s_or_b64 exec, exec, s[26:27]
.LBB200_10:                             ;   in Loop: Header=BB200_11 Depth=1
	s_or_b64 exec, exec, s[2:3]
	v_mov_b32_dpp v5, v37 row_shr:1 row_mask:0xf bank_mask:0xf
	v_min_i32_e32 v5, v5, v37
	v_add_u32_e32 v4, v23, v4
	s_waitcnt lgkmcnt(0)
	v_mov_b32_dpp v18, v5 row_shr:2 row_mask:0xf bank_mask:0xf
	v_min_i32_e32 v5, v18, v5
	s_nop 1
	v_mov_b32_dpp v18, v5 row_shr:4 row_mask:0xf bank_mask:0xe
	v_min_i32_e32 v5, v18, v5
	s_nop 1
	;; [unrolled: 3-line block ×3, first 2 shown]
	v_mov_b32_dpp v18, v5 row_bcast:15 row_mask:0xa bank_mask:0xf
	v_min_i32_e32 v5, v18, v5
	ds_bpermute_b32 v5, v29, v5
	s_waitcnt lgkmcnt(0)
	v_cmp_le_i32_e32 vcc, s9, v5
	s_or_b64 s[24:25], vcc, s[24:25]
	s_andn2_b64 exec, exec, s[24:25]
	s_cbranch_execz .LBB200_42
.LBB200_11:                             ; =>This Loop Header: Depth=1
                                        ;     Child Loop BB200_12 Depth 2
                                        ;     Child Loop BB200_16 Depth 2
	s_mov_b64 s[2:3], 0
	v_mov_b32_e32 v18, v30
	v_mov_b32_e32 v19, v35
	ds_write_b8 v24, v7 offset:16384
.LBB200_12:                             ;   Parent Loop BB200_11 Depth=1
                                        ; =>  This Inner Loop Header: Depth=2
	v_add_u32_e32 v19, 4, v19
	v_cmp_lt_u32_e32 vcc, 11, v19
	ds_write_b128 v18, v[0:3]
	s_or_b64 s[2:3], vcc, s[2:3]
	v_add_u32_e32 v18, 64, v18
	s_andn2_b64 exec, exec, s[2:3]
	s_cbranch_execnz .LBB200_12
; %bb.13:                               ;   in Loop: Header=BB200_11 Depth=1
	s_or_b64 exec, exec, s[2:3]
	v_add_u32_e32 v18, v22, v26
	v_cmp_lt_i32_e32 vcc, v18, v25
	v_mov_b32_e32 v37, s9
	v_mov_b32_e32 v19, v25
	s_waitcnt lgkmcnt(0)
	s_and_saveexec_b64 s[26:27], vcc
	s_cbranch_execz .LBB200_21
; %bb.14:                               ;   in Loop: Header=BB200_11 Depth=1
	v_ashrrev_i32_e32 v19, 31, v18
	v_mul_lo_u32 v38, v5, s11
	v_lshl_add_u64 v[20:21], v[18:19], 2, s[16:17]
	v_lshl_add_u64 v[22:23], v[18:19], 4, s[12:13]
	s_mov_b64 s[28:29], 0
	v_mov_b32_e32 v37, s9
	v_mov_b32_e32 v19, v25
	s_branch .LBB200_16
.LBB200_15:                             ;   in Loop: Header=BB200_16 Depth=2
	s_or_b64 exec, exec, s[2:3]
	v_add_u32_e32 v18, 4, v18
	v_cmp_ge_i32_e64 s[2:3], v18, v25
	s_xor_b64 s[36:37], vcc, -1
	s_or_b64 s[2:3], s[36:37], s[2:3]
	s_and_b64 s[2:3], exec, s[2:3]
	v_lshl_add_u64 v[20:21], v[20:21], 0, 16
	s_or_b64 s[28:29], s[2:3], s[28:29]
	v_lshl_add_u64 v[22:23], v[22:23], 0, 64
	s_andn2_b64 exec, exec, s[28:29]
	s_cbranch_execz .LBB200_20
.LBB200_16:                             ;   Parent Loop BB200_11 Depth=1
                                        ; =>  This Inner Loop Header: Depth=2
	global_load_dword v39, v[20:21], off
	s_waitcnt vmcnt(0)
	v_subrev_u32_e32 v39, s30, v39
	v_sub_u32_e32 v41, 0, v39
	v_max_i32_e32 v41, v39, v41
	v_mul_hi_u32 v42, v41, v34
	v_mul_lo_u32 v43, v42, s10
	v_sub_u32_e32 v41, v41, v43
	v_add_u32_e32 v44, 1, v42
	v_cmp_le_u32_e32 vcc, s10, v41
	v_subrev_u32_e32 v43, s10, v41
	v_ashrrev_i32_e32 v40, 31, v39
	v_cndmask_b32_e32 v42, v42, v44, vcc
	v_cndmask_b32_e32 v41, v41, v43, vcc
	v_add_u32_e32 v43, 1, v42
	v_cmp_le_u32_e32 vcc, s10, v41
	v_xor_b32_e32 v40, s8, v40
	s_nop 0
	v_cndmask_b32_e32 v41, v42, v43, vcc
	v_xor_b32_e32 v41, v41, v40
	v_sub_u32_e32 v41, v41, v40
	v_cmp_eq_u32_e32 vcc, v41, v5
	v_cmp_ne_u32_e64 s[2:3], v41, v5
	v_mov_b32_e32 v40, v19
	s_and_saveexec_b64 s[36:37], s[2:3]
	s_xor_b64 s[2:3], exec, s[36:37]
; %bb.17:                               ;   in Loop: Header=BB200_16 Depth=2
	v_min_i32_e32 v37, v41, v37
                                        ; implicit-def: $vgpr39
                                        ; implicit-def: $vgpr40
; %bb.18:                               ;   in Loop: Header=BB200_16 Depth=2
	s_or_saveexec_b64 s[2:3], s[2:3]
	v_mov_b32_e32 v19, v18
	s_xor_b64 exec, exec, s[2:3]
	s_cbranch_execz .LBB200_15
; %bb.19:                               ;   in Loop: Header=BB200_16 Depth=2
	global_load_dwordx4 v[42:45], v[22:23], off
	v_sub_u32_e32 v19, v39, v38
	v_add_lshl_u32 v19, v27, v19, 4
	ds_write_b8 v24, v36 offset:16384
	s_waitcnt vmcnt(0)
	ds_write2_b64 v19, v[42:43], v[44:45] offset1:1
	v_mov_b32_e32 v19, v40
	s_branch .LBB200_15
.LBB200_20:                             ;   in Loop: Header=BB200_11 Depth=1
	s_or_b64 exec, exec, s[28:29]
.LBB200_21:                             ;   in Loop: Header=BB200_11 Depth=1
	s_or_b64 exec, exec, s[26:27]
	v_mov_b32_dpp v18, v19 row_shr:1 row_mask:0xf bank_mask:0xf
	v_min_i32_e32 v18, v18, v19
	s_waitcnt lgkmcnt(0)
	ds_read_u8 v19, v24 offset:16384
	v_mov_b32_dpp v20, v18 row_shr:2 row_mask:0xf bank_mask:0xf
	v_min_i32_e32 v18, v20, v18
	ds_bpermute_b32 v22, v28, v18
	v_mov_b32_e32 v23, 0
	s_waitcnt lgkmcnt(1)
	v_and_b32_e32 v18, 1, v19
	v_cmp_eq_u32_e32 vcc, 1, v18
	s_and_saveexec_b64 s[2:3], vcc
	s_cbranch_execz .LBB200_10
; %bb.22:                               ;   in Loop: Header=BB200_11 Depth=1
	v_add_u32_e32 v20, s31, v5
	v_ashrrev_i32_e32 v5, 31, v4
	v_lshl_add_u64 v[18:19], v[4:5], 2, s[14:15]
	global_store_dword v[18:19], v20, off
	v_mul_lo_u32 v20, s33, v4
	v_mul_lo_u32 v5, s34, v5
	v_mad_u64_u32 v[18:19], s[26:27], s34, v4, 0
	v_add3_u32 v19, v19, v5, v20
	v_lshlrev_b64 v[18:19], 4, v[18:19]
	v_lshl_add_u64 v[20:21], v[8:9], 0, v[18:19]
	v_lshl_add_u64 v[18:19], v[10:11], 0, v[18:19]
	s_and_saveexec_b64 s[26:27], s[20:21]
	s_cbranch_execz .LBB200_26
; %bb.23:                               ;   in Loop: Header=BB200_11 Depth=1
	s_and_b64 vcc, exec, s[18:19]
	s_cbranch_vccz .LBB200_37
; %bb.24:                               ;   in Loop: Header=BB200_11 Depth=1
	ds_read2_b64 v[38:41], v30 offset1:1
	v_lshl_add_u64 v[42:43], v[6:7], 4, v[20:21]
	s_waitcnt lgkmcnt(0)
	global_store_dwordx4 v[42:43], v[38:41], off
	s_cbranch_execnz .LBB200_26
.LBB200_25:                             ;   in Loop: Header=BB200_11 Depth=1
	ds_read2_b64 v[38:41], v30 offset1:1
	s_waitcnt lgkmcnt(0)
	global_store_dwordx4 v[18:19], v[38:41], off
.LBB200_26:                             ;   in Loop: Header=BB200_11 Depth=1
	s_or_b64 exec, exec, s[26:27]
	s_and_saveexec_b64 s[26:27], s[22:23]
	s_cbranch_execz .LBB200_30
; %bb.27:                               ;   in Loop: Header=BB200_11 Depth=1
	s_and_b64 vcc, exec, s[0:1]
	s_cbranch_vccnz .LBB200_38
; %bb.28:                               ;   in Loop: Header=BB200_11 Depth=1
	ds_read2_b64 v[38:41], v31 offset1:1
	v_lshl_add_u64 v[42:43], v[12:13], 4, v[20:21]
	s_waitcnt lgkmcnt(0)
	global_store_dwordx4 v[42:43], v[38:41], off
	s_cbranch_execnz .LBB200_30
.LBB200_29:                             ;   in Loop: Header=BB200_11 Depth=1
	ds_read2_b64 v[38:41], v31 offset1:1
	s_waitcnt lgkmcnt(0)
	global_store_dwordx4 v[18:19], v[38:41], off offset:64
.LBB200_30:                             ;   in Loop: Header=BB200_11 Depth=1
	s_or_b64 exec, exec, s[26:27]
	s_and_saveexec_b64 s[26:27], s[4:5]
	s_cbranch_execz .LBB200_34
; %bb.31:                               ;   in Loop: Header=BB200_11 Depth=1
	s_and_b64 vcc, exec, s[0:1]
	s_cbranch_vccnz .LBB200_39
; %bb.32:                               ;   in Loop: Header=BB200_11 Depth=1
	ds_read2_b64 v[38:41], v32 offset1:1
	v_lshl_add_u64 v[42:43], v[14:15], 4, v[20:21]
	s_waitcnt lgkmcnt(0)
	global_store_dwordx4 v[42:43], v[38:41], off
	s_cbranch_execnz .LBB200_34
.LBB200_33:                             ;   in Loop: Header=BB200_11 Depth=1
	ds_read2_b64 v[38:41], v32 offset1:1
	s_waitcnt lgkmcnt(0)
	global_store_dwordx4 v[18:19], v[38:41], off offset:128
.LBB200_34:                             ;   in Loop: Header=BB200_11 Depth=1
	s_or_b64 exec, exec, s[26:27]
	v_mov_b32_e32 v23, 1
	s_and_saveexec_b64 s[26:27], s[6:7]
	s_cbranch_execz .LBB200_9
; %bb.35:                               ;   in Loop: Header=BB200_11 Depth=1
	s_and_b64 vcc, exec, s[0:1]
	s_cbranch_vccnz .LBB200_40
; %bb.36:                               ;   in Loop: Header=BB200_11 Depth=1
	ds_read2_b64 v[38:41], v33 offset1:1
	v_lshl_add_u64 v[20:21], v[16:17], 4, v[20:21]
	s_mov_b32 s35, 1
	s_waitcnt lgkmcnt(0)
	global_store_dwordx4 v[20:21], v[38:41], off
	s_cbranch_execnz .LBB200_8
	s_branch .LBB200_41
.LBB200_37:                             ;   in Loop: Header=BB200_11 Depth=1
	s_branch .LBB200_25
.LBB200_38:                             ;   in Loop: Header=BB200_11 Depth=1
	s_branch .LBB200_29
.LBB200_39:                             ;   in Loop: Header=BB200_11 Depth=1
	s_branch .LBB200_33
.LBB200_40:                             ;   in Loop: Header=BB200_11 Depth=1
                                        ; implicit-def: $sgpr35
.LBB200_41:                             ;   in Loop: Header=BB200_11 Depth=1
	ds_read2_b64 v[38:41], v33 offset1:1
	s_mov_b32 s35, 1
	s_waitcnt lgkmcnt(0)
	global_store_dwordx4 v[18:19], v[38:41], off offset:192
	s_branch .LBB200_8
.LBB200_42:
	s_endpgm
	.section	.rodata,"a",@progbits
	.p2align	6, 0x0
	.amdhsa_kernel _ZN9rocsparseL44csr2gebsr_wavefront_per_row_multipass_kernelILi256ELi8ELi16ELi32E21rocsparse_complex_numIdEEEv20rocsparse_direction_iiiiii21rocsparse_index_base_PKT3_PKiS9_S4_PS5_PiSB_
		.amdhsa_group_segment_fixed_size 16392
		.amdhsa_private_segment_fixed_size 0
		.amdhsa_kernarg_size 88
		.amdhsa_user_sgpr_count 2
		.amdhsa_user_sgpr_dispatch_ptr 0
		.amdhsa_user_sgpr_queue_ptr 0
		.amdhsa_user_sgpr_kernarg_segment_ptr 1
		.amdhsa_user_sgpr_dispatch_id 0
		.amdhsa_user_sgpr_kernarg_preload_length 0
		.amdhsa_user_sgpr_kernarg_preload_offset 0
		.amdhsa_user_sgpr_private_segment_size 0
		.amdhsa_uses_dynamic_stack 0
		.amdhsa_enable_private_segment 0
		.amdhsa_system_sgpr_workgroup_id_x 1
		.amdhsa_system_sgpr_workgroup_id_y 0
		.amdhsa_system_sgpr_workgroup_id_z 0
		.amdhsa_system_sgpr_workgroup_info 0
		.amdhsa_system_vgpr_workitem_id 0
		.amdhsa_next_free_vgpr 46
		.amdhsa_next_free_sgpr 38
		.amdhsa_accum_offset 48
		.amdhsa_reserve_vcc 1
		.amdhsa_float_round_mode_32 0
		.amdhsa_float_round_mode_16_64 0
		.amdhsa_float_denorm_mode_32 3
		.amdhsa_float_denorm_mode_16_64 3
		.amdhsa_dx10_clamp 1
		.amdhsa_ieee_mode 1
		.amdhsa_fp16_overflow 0
		.amdhsa_tg_split 0
		.amdhsa_exception_fp_ieee_invalid_op 0
		.amdhsa_exception_fp_denorm_src 0
		.amdhsa_exception_fp_ieee_div_zero 0
		.amdhsa_exception_fp_ieee_overflow 0
		.amdhsa_exception_fp_ieee_underflow 0
		.amdhsa_exception_fp_ieee_inexact 0
		.amdhsa_exception_int_div_zero 0
	.end_amdhsa_kernel
	.section	.text._ZN9rocsparseL44csr2gebsr_wavefront_per_row_multipass_kernelILi256ELi8ELi16ELi32E21rocsparse_complex_numIdEEEv20rocsparse_direction_iiiiii21rocsparse_index_base_PKT3_PKiS9_S4_PS5_PiSB_,"axG",@progbits,_ZN9rocsparseL44csr2gebsr_wavefront_per_row_multipass_kernelILi256ELi8ELi16ELi32E21rocsparse_complex_numIdEEEv20rocsparse_direction_iiiiii21rocsparse_index_base_PKT3_PKiS9_S4_PS5_PiSB_,comdat
.Lfunc_end200:
	.size	_ZN9rocsparseL44csr2gebsr_wavefront_per_row_multipass_kernelILi256ELi8ELi16ELi32E21rocsparse_complex_numIdEEEv20rocsparse_direction_iiiiii21rocsparse_index_base_PKT3_PKiS9_S4_PS5_PiSB_, .Lfunc_end200-_ZN9rocsparseL44csr2gebsr_wavefront_per_row_multipass_kernelILi256ELi8ELi16ELi32E21rocsparse_complex_numIdEEEv20rocsparse_direction_iiiiii21rocsparse_index_base_PKT3_PKiS9_S4_PS5_PiSB_
                                        ; -- End function
	.section	.AMDGPU.csdata,"",@progbits
; Kernel info:
; codeLenInByte = 1596
; NumSgprs: 44
; NumVgprs: 46
; NumAgprs: 0
; TotalNumVgprs: 46
; ScratchSize: 0
; MemoryBound: 0
; FloatMode: 240
; IeeeMode: 1
; LDSByteSize: 16392 bytes/workgroup (compile time only)
; SGPRBlocks: 5
; VGPRBlocks: 5
; NumSGPRsForWavesPerEU: 44
; NumVGPRsForWavesPerEU: 46
; AccumOffset: 48
; Occupancy: 3
; WaveLimiterHint : 0
; COMPUTE_PGM_RSRC2:SCRATCH_EN: 0
; COMPUTE_PGM_RSRC2:USER_SGPR: 2
; COMPUTE_PGM_RSRC2:TRAP_HANDLER: 0
; COMPUTE_PGM_RSRC2:TGID_X_EN: 1
; COMPUTE_PGM_RSRC2:TGID_Y_EN: 0
; COMPUTE_PGM_RSRC2:TGID_Z_EN: 0
; COMPUTE_PGM_RSRC2:TIDIG_COMP_CNT: 0
; COMPUTE_PGM_RSRC3_GFX90A:ACCUM_OFFSET: 11
; COMPUTE_PGM_RSRC3_GFX90A:TG_SPLIT: 0
	.section	.text._ZN9rocsparseL44csr2gebsr_wavefront_per_row_multipass_kernelILi256ELi8ELi32ELi64E21rocsparse_complex_numIdEEEv20rocsparse_direction_iiiiii21rocsparse_index_base_PKT3_PKiS9_S4_PS5_PiSB_,"axG",@progbits,_ZN9rocsparseL44csr2gebsr_wavefront_per_row_multipass_kernelILi256ELi8ELi32ELi64E21rocsparse_complex_numIdEEEv20rocsparse_direction_iiiiii21rocsparse_index_base_PKT3_PKiS9_S4_PS5_PiSB_,comdat
	.globl	_ZN9rocsparseL44csr2gebsr_wavefront_per_row_multipass_kernelILi256ELi8ELi32ELi64E21rocsparse_complex_numIdEEEv20rocsparse_direction_iiiiii21rocsparse_index_base_PKT3_PKiS9_S4_PS5_PiSB_ ; -- Begin function _ZN9rocsparseL44csr2gebsr_wavefront_per_row_multipass_kernelILi256ELi8ELi32ELi64E21rocsparse_complex_numIdEEEv20rocsparse_direction_iiiiii21rocsparse_index_base_PKT3_PKiS9_S4_PS5_PiSB_
	.p2align	8
	.type	_ZN9rocsparseL44csr2gebsr_wavefront_per_row_multipass_kernelILi256ELi8ELi32ELi64E21rocsparse_complex_numIdEEEv20rocsparse_direction_iiiiii21rocsparse_index_base_PKT3_PKiS9_S4_PS5_PiSB_,@function
_ZN9rocsparseL44csr2gebsr_wavefront_per_row_multipass_kernelILi256ELi8ELi32ELi64E21rocsparse_complex_numIdEEEv20rocsparse_direction_iiiiii21rocsparse_index_base_PKT3_PKiS9_S4_PS5_PiSB_: ; @_ZN9rocsparseL44csr2gebsr_wavefront_per_row_multipass_kernelILi256ELi8ELi32ELi64E21rocsparse_complex_numIdEEEv20rocsparse_direction_iiiiii21rocsparse_index_base_PKT3_PKiS9_S4_PS5_PiSB_
; %bb.0:
	s_load_dwordx2 s[4:5], s[0:1], 0x0
	s_load_dwordx4 s[8:11], s[0:1], 0xc
	s_load_dword s33, s[0:1], 0x1c
	s_load_dwordx2 s[6:7], s[0:1], 0x28
	v_lshrrev_b32_e32 v24, 6, v0
	v_bfe_u32 v2, v0, 3, 3
	v_lshl_or_b32 v6, s2, 2, v24
	s_waitcnt lgkmcnt(0)
	v_mad_u64_u32 v[4:5], s[2:3], v6, s10, v[2:3]
	v_cmp_gt_i32_e64 s[2:3], s5, v4
	v_cmp_gt_i32_e32 vcc, s10, v2
	s_and_b64 s[2:3], vcc, s[2:3]
	v_mov_b32_e32 v25, 0
	v_mov_b32_e32 v22, 0
	s_and_saveexec_b64 s[12:13], s[2:3]
	s_cbranch_execz .LBB201_2
; %bb.1:
	v_ashrrev_i32_e32 v5, 31, v4
	v_lshl_add_u64 v[8:9], v[4:5], 2, s[6:7]
	global_load_dword v1, v[8:9], off
	s_waitcnt vmcnt(0)
	v_subrev_u32_e32 v22, s33, v1
.LBB201_2:
	s_or_b64 exec, exec, s[12:13]
	s_and_saveexec_b64 s[12:13], s[2:3]
	s_cbranch_execz .LBB201_4
; %bb.3:
	v_ashrrev_i32_e32 v5, 31, v4
	v_lshl_add_u64 v[4:5], v[4:5], 2, s[6:7]
	global_load_dword v1, v[4:5], off offset:4
	s_waitcnt vmcnt(0)
	v_subrev_u32_e32 v25, s33, v1
.LBB201_4:
	s_or_b64 exec, exec, s[12:13]
	s_load_dword s34, s[0:1], 0x38
	v_cmp_gt_i32_e64 s[2:3], s8, v6
	v_mov_b32_e32 v4, 0
	s_and_saveexec_b64 s[6:7], s[2:3]
	s_cbranch_execz .LBB201_6
; %bb.5:
	s_load_dwordx2 s[2:3], s[0:1], 0x48
	v_ashrrev_i32_e32 v7, 31, v6
	s_waitcnt lgkmcnt(0)
	v_lshl_add_u64 v[4:5], v[6:7], 2, s[2:3]
	global_load_dword v1, v[4:5], off
	s_waitcnt vmcnt(0)
	v_subrev_u32_e32 v4, s34, v1
.LBB201_6:
	s_or_b64 exec, exec, s[6:7]
	s_cmp_lt_i32 s9, 1
	s_cbranch_scc1 .LBB201_42
; %bb.7:
	v_and_b32_e32 v26, 7, v0
	v_lshlrev_b32_e32 v0, 8, v24
	s_load_dwordx2 s[12:13], s[0:1], 0x20
	s_load_dwordx2 s[14:15], s[0:1], 0x50
	;; [unrolled: 1-line block ×4, first 2 shown]
	v_lshl_or_b32 v27, v2, 5, v0
	v_mbcnt_lo_u32_b32 v0, -1, 0
	v_mbcnt_hi_u32_b32 v0, -1, v0
	v_lshlrev_b32_e32 v3, 2, v0
	v_mul_lo_u32 v0, v2, s11
	v_mov_b32_e32 v7, 0
	s_cmp_lg_u32 s4, 0
	v_lshlrev_b32_e32 v6, 4, v2
	v_ashrrev_i32_e32 v1, 31, v0
	s_cselect_b64 s[18:19], -1, 0
	s_ashr_i32 s8, s11, 31
	s_waitcnt lgkmcnt(0)
	v_lshl_add_u64 v[8:9], s[2:3], 0, v[6:7]
	v_lshl_add_u64 v[0:1], v[0:1], 4, s[2:3]
	v_lshlrev_b32_e32 v6, 4, v26
	s_mul_hi_u32 s0, s11, s10
	s_mul_i32 s1, s8, s10
	s_mul_i32 s36, s11, s10
	v_lshl_add_u64 v[10:11], v[0:1], 0, v[6:7]
	v_mul_lo_u32 v6, v26, s10
	s_lshl_b32 s20, s10, 3
	s_abs_i32 s10, s11
	v_cvt_f32_u32_e32 v1, s10
	v_or_b32_e32 v0, 8, v26
	v_cmp_gt_u32_e64 s[2:3], s11, v0
	v_or_b32_e32 v0, 16, v26
	v_cmp_gt_u32_e64 s[4:5], s11, v0
	;; [unrolled: 2-line block ×3, first 2 shown]
	v_rcp_iflag_f32_e32 v0, v1
	v_add_u32_e32 v12, s20, v6
	s_add_i32 s35, s0, s1
	v_cmp_gt_u32_e64 s[0:1], s11, v26
	v_mul_f32_e32 v0, 0x4f7ffffe, v0
	v_cvt_u32_f32_e32 v0, v0
	v_add_u32_e32 v14, s20, v12
	v_add_u32_e32 v16, s20, v14
	s_and_b64 s[20:21], s[0:1], vcc
	s_sub_i32 s0, 0, s10
	v_or_b32_e32 v5, v27, v26
	v_mul_lo_u32 v1, s0, v0
	v_lshlrev_b32_e32 v30, 4, v5
	v_mul_hi_u32 v1, v0, v1
	v_cndmask_b32_e64 v5, 0, 1, s[18:19]
	v_or_b32_e32 v28, 28, v3
	v_or_b32_e32 v29, 0xfc, v3
	;; [unrolled: 1-line block ×3, first 2 shown]
	v_mov_b32_e32 v13, v7
	v_or_b32_e32 v32, 0x100, v30
	v_mov_b32_e32 v15, v7
	v_or_b32_e32 v33, 0x180, v30
	v_mov_b32_e32 v17, v7
	s_and_b64 s[22:23], vcc, s[2:3]
	s_and_b64 s[4:5], vcc, s[4:5]
	s_and_b64 s[6:7], vcc, s[6:7]
	v_add_u32_e32 v34, v0, v1
	v_or_b32_e32 v35, -8, v26
	s_mov_b64 s[24:25], 0
	v_mov_b32_e32 v0, v7
	v_mov_b32_e32 v1, v7
	;; [unrolled: 1-line block ×4, first 2 shown]
	s_mov_b64 s[26:27], 0x80
	v_cmp_ne_u32_e64 s[0:1], 1, v5
	v_mov_b32_e32 v36, 1
	v_mov_b32_e32 v5, v7
	s_branch .LBB201_11
.LBB201_8:                              ;   in Loop: Header=BB201_11 Depth=1
	v_mov_b32_e32 v23, s37
.LBB201_9:                              ;   in Loop: Header=BB201_11 Depth=1
	s_or_b64 exec, exec, s[28:29]
.LBB201_10:                             ;   in Loop: Header=BB201_11 Depth=1
	s_or_b64 exec, exec, s[2:3]
	v_mov_b32_dpp v5, v37 row_shr:1 row_mask:0xf bank_mask:0xf
	v_min_i32_e32 v5, v5, v37
	v_add_u32_e32 v4, v23, v4
	s_waitcnt lgkmcnt(0)
	v_mov_b32_dpp v18, v5 row_shr:2 row_mask:0xf bank_mask:0xf
	v_min_i32_e32 v5, v18, v5
	s_nop 1
	v_mov_b32_dpp v18, v5 row_shr:4 row_mask:0xf bank_mask:0xe
	v_min_i32_e32 v5, v18, v5
	s_nop 1
	v_mov_b32_dpp v18, v5 row_shr:8 row_mask:0xf bank_mask:0xc
	v_min_i32_e32 v5, v18, v5
	s_nop 1
	v_mov_b32_dpp v18, v5 row_bcast:15 row_mask:0xa bank_mask:0xf
	v_min_i32_e32 v5, v18, v5
	s_nop 1
	v_mov_b32_dpp v18, v5 row_bcast:31 row_mask:0xc bank_mask:0xf
	v_min_i32_e32 v5, v18, v5
	ds_bpermute_b32 v5, v29, v5
	s_waitcnt lgkmcnt(0)
	v_cmp_le_i32_e32 vcc, s9, v5
	s_or_b64 s[24:25], vcc, s[24:25]
	s_andn2_b64 exec, exec, s[24:25]
	s_cbranch_execz .LBB201_42
.LBB201_11:                             ; =>This Loop Header: Depth=1
                                        ;     Child Loop BB201_12 Depth 2
                                        ;     Child Loop BB201_16 Depth 2
	s_mov_b64 s[2:3], 0
	v_mov_b32_e32 v18, v30
	v_mov_b32_e32 v19, v35
	ds_write_b8 v24, v7 offset:16384
.LBB201_12:                             ;   Parent Loop BB201_11 Depth=1
                                        ; =>  This Inner Loop Header: Depth=2
	v_add_u32_e32 v19, 8, v19
	v_cmp_lt_u32_e32 vcc, 23, v19
	ds_write_b128 v18, v[0:3]
	s_or_b64 s[2:3], vcc, s[2:3]
	v_add_u32_e32 v18, 0x80, v18
	s_andn2_b64 exec, exec, s[2:3]
	s_cbranch_execnz .LBB201_12
; %bb.13:                               ;   in Loop: Header=BB201_11 Depth=1
	s_or_b64 exec, exec, s[2:3]
	v_add_u32_e32 v18, v22, v26
	v_cmp_lt_i32_e32 vcc, v18, v25
	v_mov_b32_e32 v37, s9
	v_mov_b32_e32 v19, v25
	s_waitcnt lgkmcnt(0)
	s_and_saveexec_b64 s[28:29], vcc
	s_cbranch_execz .LBB201_21
; %bb.14:                               ;   in Loop: Header=BB201_11 Depth=1
	v_ashrrev_i32_e32 v19, 31, v18
	v_mul_lo_u32 v38, v5, s11
	v_lshl_add_u64 v[20:21], v[18:19], 2, s[16:17]
	v_lshl_add_u64 v[22:23], v[18:19], 4, s[12:13]
	s_mov_b64 s[30:31], 0
	v_mov_b32_e32 v37, s9
	v_mov_b32_e32 v19, v25
	s_branch .LBB201_16
.LBB201_15:                             ;   in Loop: Header=BB201_16 Depth=2
	s_or_b64 exec, exec, s[2:3]
	v_add_u32_e32 v18, 8, v18
	v_cmp_ge_i32_e64 s[2:3], v18, v25
	s_xor_b64 s[38:39], vcc, -1
	s_or_b64 s[2:3], s[38:39], s[2:3]
	s_and_b64 s[2:3], exec, s[2:3]
	v_lshl_add_u64 v[20:21], v[20:21], 0, 32
	s_or_b64 s[30:31], s[2:3], s[30:31]
	v_lshl_add_u64 v[22:23], v[22:23], 0, s[26:27]
	s_andn2_b64 exec, exec, s[30:31]
	s_cbranch_execz .LBB201_20
.LBB201_16:                             ;   Parent Loop BB201_11 Depth=1
                                        ; =>  This Inner Loop Header: Depth=2
	global_load_dword v39, v[20:21], off
	s_waitcnt vmcnt(0)
	v_subrev_u32_e32 v39, s33, v39
	v_sub_u32_e32 v41, 0, v39
	v_max_i32_e32 v41, v39, v41
	v_mul_hi_u32 v42, v41, v34
	v_mul_lo_u32 v43, v42, s10
	v_sub_u32_e32 v41, v41, v43
	v_add_u32_e32 v44, 1, v42
	v_cmp_le_u32_e32 vcc, s10, v41
	v_subrev_u32_e32 v43, s10, v41
	v_ashrrev_i32_e32 v40, 31, v39
	v_cndmask_b32_e32 v42, v42, v44, vcc
	v_cndmask_b32_e32 v41, v41, v43, vcc
	v_add_u32_e32 v43, 1, v42
	v_cmp_le_u32_e32 vcc, s10, v41
	v_xor_b32_e32 v40, s8, v40
	s_nop 0
	v_cndmask_b32_e32 v41, v42, v43, vcc
	v_xor_b32_e32 v41, v41, v40
	v_sub_u32_e32 v41, v41, v40
	v_cmp_eq_u32_e32 vcc, v41, v5
	v_cmp_ne_u32_e64 s[2:3], v41, v5
	v_mov_b32_e32 v40, v19
	s_and_saveexec_b64 s[38:39], s[2:3]
	s_xor_b64 s[2:3], exec, s[38:39]
; %bb.17:                               ;   in Loop: Header=BB201_16 Depth=2
	v_min_i32_e32 v37, v41, v37
                                        ; implicit-def: $vgpr39
                                        ; implicit-def: $vgpr40
; %bb.18:                               ;   in Loop: Header=BB201_16 Depth=2
	s_or_saveexec_b64 s[2:3], s[2:3]
	v_mov_b32_e32 v19, v18
	s_xor_b64 exec, exec, s[2:3]
	s_cbranch_execz .LBB201_15
; %bb.19:                               ;   in Loop: Header=BB201_16 Depth=2
	global_load_dwordx4 v[42:45], v[22:23], off
	v_sub_u32_e32 v19, v39, v38
	v_add_lshl_u32 v19, v27, v19, 4
	ds_write_b8 v24, v36 offset:16384
	s_waitcnt vmcnt(0)
	ds_write2_b64 v19, v[42:43], v[44:45] offset1:1
	v_mov_b32_e32 v19, v40
	s_branch .LBB201_15
.LBB201_20:                             ;   in Loop: Header=BB201_11 Depth=1
	s_or_b64 exec, exec, s[30:31]
.LBB201_21:                             ;   in Loop: Header=BB201_11 Depth=1
	s_or_b64 exec, exec, s[28:29]
	v_mov_b32_dpp v18, v19 row_shr:1 row_mask:0xf bank_mask:0xf
	v_min_i32_e32 v18, v18, v19
	s_waitcnt lgkmcnt(0)
	v_mov_b32_e32 v23, 0
	v_mov_b32_dpp v19, v18 row_shr:2 row_mask:0xf bank_mask:0xf
	v_min_i32_e32 v18, v19, v18
	ds_read_u8 v19, v24 offset:16384
	s_nop 0
	v_mov_b32_dpp v20, v18 row_shr:4 row_mask:0xf bank_mask:0xe
	v_min_i32_e32 v18, v20, v18
	ds_bpermute_b32 v22, v28, v18
	s_waitcnt lgkmcnt(1)
	v_and_b32_e32 v18, 1, v19
	v_cmp_eq_u32_e32 vcc, 1, v18
	s_and_saveexec_b64 s[2:3], vcc
	s_cbranch_execz .LBB201_10
; %bb.22:                               ;   in Loop: Header=BB201_11 Depth=1
	v_add_u32_e32 v20, s34, v5
	v_ashrrev_i32_e32 v5, 31, v4
	v_lshl_add_u64 v[18:19], v[4:5], 2, s[14:15]
	global_store_dword v[18:19], v20, off
	v_mul_lo_u32 v20, s35, v4
	v_mul_lo_u32 v5, s36, v5
	v_mad_u64_u32 v[18:19], s[28:29], s36, v4, 0
	v_add3_u32 v19, v19, v5, v20
	v_lshlrev_b64 v[18:19], 4, v[18:19]
	v_lshl_add_u64 v[20:21], v[8:9], 0, v[18:19]
	v_lshl_add_u64 v[18:19], v[10:11], 0, v[18:19]
	s_and_saveexec_b64 s[28:29], s[20:21]
	s_cbranch_execz .LBB201_26
; %bb.23:                               ;   in Loop: Header=BB201_11 Depth=1
	s_and_b64 vcc, exec, s[18:19]
	s_cbranch_vccz .LBB201_37
; %bb.24:                               ;   in Loop: Header=BB201_11 Depth=1
	ds_read2_b64 v[38:41], v30 offset1:1
	v_lshl_add_u64 v[42:43], v[6:7], 4, v[20:21]
	s_waitcnt lgkmcnt(0)
	global_store_dwordx4 v[42:43], v[38:41], off
	s_cbranch_execnz .LBB201_26
.LBB201_25:                             ;   in Loop: Header=BB201_11 Depth=1
	ds_read2_b64 v[38:41], v30 offset1:1
	s_waitcnt lgkmcnt(0)
	global_store_dwordx4 v[18:19], v[38:41], off
.LBB201_26:                             ;   in Loop: Header=BB201_11 Depth=1
	s_or_b64 exec, exec, s[28:29]
	s_and_saveexec_b64 s[28:29], s[22:23]
	s_cbranch_execz .LBB201_30
; %bb.27:                               ;   in Loop: Header=BB201_11 Depth=1
	s_and_b64 vcc, exec, s[0:1]
	s_cbranch_vccnz .LBB201_38
; %bb.28:                               ;   in Loop: Header=BB201_11 Depth=1
	ds_read2_b64 v[38:41], v31 offset1:1
	v_lshl_add_u64 v[42:43], v[12:13], 4, v[20:21]
	s_waitcnt lgkmcnt(0)
	global_store_dwordx4 v[42:43], v[38:41], off
	s_cbranch_execnz .LBB201_30
.LBB201_29:                             ;   in Loop: Header=BB201_11 Depth=1
	ds_read2_b64 v[38:41], v31 offset1:1
	s_waitcnt lgkmcnt(0)
	global_store_dwordx4 v[18:19], v[38:41], off offset:128
.LBB201_30:                             ;   in Loop: Header=BB201_11 Depth=1
	s_or_b64 exec, exec, s[28:29]
	s_and_saveexec_b64 s[28:29], s[4:5]
	s_cbranch_execz .LBB201_34
; %bb.31:                               ;   in Loop: Header=BB201_11 Depth=1
	s_and_b64 vcc, exec, s[0:1]
	s_cbranch_vccnz .LBB201_39
; %bb.32:                               ;   in Loop: Header=BB201_11 Depth=1
	ds_read2_b64 v[38:41], v32 offset1:1
	v_lshl_add_u64 v[42:43], v[14:15], 4, v[20:21]
	s_waitcnt lgkmcnt(0)
	global_store_dwordx4 v[42:43], v[38:41], off
	s_cbranch_execnz .LBB201_34
.LBB201_33:                             ;   in Loop: Header=BB201_11 Depth=1
	ds_read2_b64 v[38:41], v32 offset1:1
	s_waitcnt lgkmcnt(0)
	global_store_dwordx4 v[18:19], v[38:41], off offset:256
.LBB201_34:                             ;   in Loop: Header=BB201_11 Depth=1
	s_or_b64 exec, exec, s[28:29]
	v_mov_b32_e32 v23, 1
	s_and_saveexec_b64 s[28:29], s[6:7]
	s_cbranch_execz .LBB201_9
; %bb.35:                               ;   in Loop: Header=BB201_11 Depth=1
	s_and_b64 vcc, exec, s[0:1]
	s_cbranch_vccnz .LBB201_40
; %bb.36:                               ;   in Loop: Header=BB201_11 Depth=1
	ds_read2_b64 v[38:41], v33 offset1:1
	v_lshl_add_u64 v[20:21], v[16:17], 4, v[20:21]
	s_mov_b32 s37, 1
	s_waitcnt lgkmcnt(0)
	global_store_dwordx4 v[20:21], v[38:41], off
	s_cbranch_execnz .LBB201_8
	s_branch .LBB201_41
.LBB201_37:                             ;   in Loop: Header=BB201_11 Depth=1
	s_branch .LBB201_25
.LBB201_38:                             ;   in Loop: Header=BB201_11 Depth=1
	s_branch .LBB201_29
.LBB201_39:                             ;   in Loop: Header=BB201_11 Depth=1
	s_branch .LBB201_33
.LBB201_40:                             ;   in Loop: Header=BB201_11 Depth=1
                                        ; implicit-def: $sgpr37
.LBB201_41:                             ;   in Loop: Header=BB201_11 Depth=1
	ds_read2_b64 v[38:41], v33 offset1:1
	s_mov_b32 s37, 1
	s_waitcnt lgkmcnt(0)
	global_store_dwordx4 v[18:19], v[38:41], off offset:384
	s_branch .LBB201_8
.LBB201_42:
	s_endpgm
	.section	.rodata,"a",@progbits
	.p2align	6, 0x0
	.amdhsa_kernel _ZN9rocsparseL44csr2gebsr_wavefront_per_row_multipass_kernelILi256ELi8ELi32ELi64E21rocsparse_complex_numIdEEEv20rocsparse_direction_iiiiii21rocsparse_index_base_PKT3_PKiS9_S4_PS5_PiSB_
		.amdhsa_group_segment_fixed_size 16392
		.amdhsa_private_segment_fixed_size 0
		.amdhsa_kernarg_size 88
		.amdhsa_user_sgpr_count 2
		.amdhsa_user_sgpr_dispatch_ptr 0
		.amdhsa_user_sgpr_queue_ptr 0
		.amdhsa_user_sgpr_kernarg_segment_ptr 1
		.amdhsa_user_sgpr_dispatch_id 0
		.amdhsa_user_sgpr_kernarg_preload_length 0
		.amdhsa_user_sgpr_kernarg_preload_offset 0
		.amdhsa_user_sgpr_private_segment_size 0
		.amdhsa_uses_dynamic_stack 0
		.amdhsa_enable_private_segment 0
		.amdhsa_system_sgpr_workgroup_id_x 1
		.amdhsa_system_sgpr_workgroup_id_y 0
		.amdhsa_system_sgpr_workgroup_id_z 0
		.amdhsa_system_sgpr_workgroup_info 0
		.amdhsa_system_vgpr_workitem_id 0
		.amdhsa_next_free_vgpr 46
		.amdhsa_next_free_sgpr 40
		.amdhsa_accum_offset 48
		.amdhsa_reserve_vcc 1
		.amdhsa_float_round_mode_32 0
		.amdhsa_float_round_mode_16_64 0
		.amdhsa_float_denorm_mode_32 3
		.amdhsa_float_denorm_mode_16_64 3
		.amdhsa_dx10_clamp 1
		.amdhsa_ieee_mode 1
		.amdhsa_fp16_overflow 0
		.amdhsa_tg_split 0
		.amdhsa_exception_fp_ieee_invalid_op 0
		.amdhsa_exception_fp_denorm_src 0
		.amdhsa_exception_fp_ieee_div_zero 0
		.amdhsa_exception_fp_ieee_overflow 0
		.amdhsa_exception_fp_ieee_underflow 0
		.amdhsa_exception_fp_ieee_inexact 0
		.amdhsa_exception_int_div_zero 0
	.end_amdhsa_kernel
	.section	.text._ZN9rocsparseL44csr2gebsr_wavefront_per_row_multipass_kernelILi256ELi8ELi32ELi64E21rocsparse_complex_numIdEEEv20rocsparse_direction_iiiiii21rocsparse_index_base_PKT3_PKiS9_S4_PS5_PiSB_,"axG",@progbits,_ZN9rocsparseL44csr2gebsr_wavefront_per_row_multipass_kernelILi256ELi8ELi32ELi64E21rocsparse_complex_numIdEEEv20rocsparse_direction_iiiiii21rocsparse_index_base_PKT3_PKiS9_S4_PS5_PiSB_,comdat
.Lfunc_end201:
	.size	_ZN9rocsparseL44csr2gebsr_wavefront_per_row_multipass_kernelILi256ELi8ELi32ELi64E21rocsparse_complex_numIdEEEv20rocsparse_direction_iiiiii21rocsparse_index_base_PKT3_PKiS9_S4_PS5_PiSB_, .Lfunc_end201-_ZN9rocsparseL44csr2gebsr_wavefront_per_row_multipass_kernelILi256ELi8ELi32ELi64E21rocsparse_complex_numIdEEEv20rocsparse_direction_iiiiii21rocsparse_index_base_PKT3_PKiS9_S4_PS5_PiSB_
                                        ; -- End function
	.section	.AMDGPU.csdata,"",@progbits
; Kernel info:
; codeLenInByte = 1648
; NumSgprs: 46
; NumVgprs: 46
; NumAgprs: 0
; TotalNumVgprs: 46
; ScratchSize: 0
; MemoryBound: 0
; FloatMode: 240
; IeeeMode: 1
; LDSByteSize: 16392 bytes/workgroup (compile time only)
; SGPRBlocks: 5
; VGPRBlocks: 5
; NumSGPRsForWavesPerEU: 46
; NumVGPRsForWavesPerEU: 46
; AccumOffset: 48
; Occupancy: 3
; WaveLimiterHint : 0
; COMPUTE_PGM_RSRC2:SCRATCH_EN: 0
; COMPUTE_PGM_RSRC2:USER_SGPR: 2
; COMPUTE_PGM_RSRC2:TRAP_HANDLER: 0
; COMPUTE_PGM_RSRC2:TGID_X_EN: 1
; COMPUTE_PGM_RSRC2:TGID_Y_EN: 0
; COMPUTE_PGM_RSRC2:TGID_Z_EN: 0
; COMPUTE_PGM_RSRC2:TIDIG_COMP_CNT: 0
; COMPUTE_PGM_RSRC3_GFX90A:ACCUM_OFFSET: 11
; COMPUTE_PGM_RSRC3_GFX90A:TG_SPLIT: 0
	.section	.text._ZN9rocsparseL44csr2gebsr_wavefront_per_row_multipass_kernelILi256ELi8ELi32ELi32E21rocsparse_complex_numIdEEEv20rocsparse_direction_iiiiii21rocsparse_index_base_PKT3_PKiS9_S4_PS5_PiSB_,"axG",@progbits,_ZN9rocsparseL44csr2gebsr_wavefront_per_row_multipass_kernelILi256ELi8ELi32ELi32E21rocsparse_complex_numIdEEEv20rocsparse_direction_iiiiii21rocsparse_index_base_PKT3_PKiS9_S4_PS5_PiSB_,comdat
	.globl	_ZN9rocsparseL44csr2gebsr_wavefront_per_row_multipass_kernelILi256ELi8ELi32ELi32E21rocsparse_complex_numIdEEEv20rocsparse_direction_iiiiii21rocsparse_index_base_PKT3_PKiS9_S4_PS5_PiSB_ ; -- Begin function _ZN9rocsparseL44csr2gebsr_wavefront_per_row_multipass_kernelILi256ELi8ELi32ELi32E21rocsparse_complex_numIdEEEv20rocsparse_direction_iiiiii21rocsparse_index_base_PKT3_PKiS9_S4_PS5_PiSB_
	.p2align	8
	.type	_ZN9rocsparseL44csr2gebsr_wavefront_per_row_multipass_kernelILi256ELi8ELi32ELi32E21rocsparse_complex_numIdEEEv20rocsparse_direction_iiiiii21rocsparse_index_base_PKT3_PKiS9_S4_PS5_PiSB_,@function
_ZN9rocsparseL44csr2gebsr_wavefront_per_row_multipass_kernelILi256ELi8ELi32ELi32E21rocsparse_complex_numIdEEEv20rocsparse_direction_iiiiii21rocsparse_index_base_PKT3_PKiS9_S4_PS5_PiSB_: ; @_ZN9rocsparseL44csr2gebsr_wavefront_per_row_multipass_kernelILi256ELi8ELi32ELi32E21rocsparse_complex_numIdEEEv20rocsparse_direction_iiiiii21rocsparse_index_base_PKT3_PKiS9_S4_PS5_PiSB_
; %bb.0:
	s_load_dwordx2 s[4:5], s[0:1], 0x0
	s_load_dwordx4 s[16:19], s[0:1], 0xc
	s_load_dword s33, s[0:1], 0x1c
	s_load_dwordx2 s[6:7], s[0:1], 0x28
	v_lshrrev_b32_e32 v34, 5, v0
	v_bfe_u32 v2, v0, 2, 3
	v_lshl_or_b32 v6, s2, 3, v34
	s_waitcnt lgkmcnt(0)
	v_mad_u64_u32 v[4:5], s[2:3], v6, s18, v[2:3]
	v_cmp_gt_i32_e64 s[2:3], s5, v4
	v_cmp_gt_i32_e32 vcc, s18, v2
	s_and_b64 s[2:3], vcc, s[2:3]
	v_mov_b32_e32 v35, 0
	v_mov_b32_e32 v24, 0
	s_and_saveexec_b64 s[8:9], s[2:3]
	s_cbranch_execz .LBB202_2
; %bb.1:
	v_ashrrev_i32_e32 v5, 31, v4
	v_lshl_add_u64 v[8:9], v[4:5], 2, s[6:7]
	global_load_dword v1, v[8:9], off
	s_waitcnt vmcnt(0)
	v_subrev_u32_e32 v24, s33, v1
.LBB202_2:
	s_or_b64 exec, exec, s[8:9]
	s_and_saveexec_b64 s[8:9], s[2:3]
	s_cbranch_execz .LBB202_4
; %bb.3:
	v_ashrrev_i32_e32 v5, 31, v4
	v_lshl_add_u64 v[4:5], v[4:5], 2, s[6:7]
	global_load_dword v1, v[4:5], off offset:4
	s_waitcnt vmcnt(0)
	v_subrev_u32_e32 v35, s33, v1
.LBB202_4:
	s_or_b64 exec, exec, s[8:9]
	s_load_dword s40, s[0:1], 0x38
	v_cmp_gt_i32_e64 s[2:3], s16, v6
	v_mov_b32_e32 v4, 0
	s_and_saveexec_b64 s[6:7], s[2:3]
	s_cbranch_execz .LBB202_6
; %bb.5:
	s_load_dwordx2 s[2:3], s[0:1], 0x48
	v_ashrrev_i32_e32 v7, 31, v6
	s_waitcnt lgkmcnt(0)
	v_lshl_add_u64 v[4:5], v[6:7], 2, s[2:3]
	global_load_dword v1, v[4:5], off
	s_waitcnt vmcnt(0)
	v_subrev_u32_e32 v4, s40, v1
.LBB202_6:
	s_or_b64 exec, exec, s[6:7]
	s_cmp_lt_i32 s17, 1
	s_cbranch_scc1 .LBB202_60
; %bb.7:
	v_and_b32_e32 v6, 3, v0
	v_lshlrev_b32_e32 v0, 8, v34
	s_load_dwordx2 s[24:25], s[0:1], 0x20
	s_load_dwordx2 s[26:27], s[0:1], 0x50
	;; [unrolled: 1-line block ×4, first 2 shown]
	v_lshl_or_b32 v36, v2, 5, v0
	v_mbcnt_lo_u32_b32 v0, -1, 0
	v_mbcnt_hi_u32_b32 v0, -1, v0
	v_lshlrev_b32_e32 v3, 2, v0
	v_mul_lo_u32 v0, v2, s19
	s_cmp_lg_u32 s4, 0
	v_lshlrev_b32_e32 v8, 4, v2
	v_mov_b32_e32 v9, 0
	v_ashrrev_i32_e32 v1, 31, v0
	s_cselect_b64 s[30:31], -1, 0
	s_ashr_i32 s16, s19, 31
	s_waitcnt lgkmcnt(0)
	v_lshl_add_u64 v[10:11], s[2:3], 0, v[8:9]
	v_lshl_add_u64 v[0:1], v[0:1], 4, s[2:3]
	v_lshlrev_b32_e32 v8, 4, v6
	s_mul_hi_u32 s0, s19, s18
	s_mul_i32 s1, s16, s18
	s_mul_i32 s42, s19, s18
	v_lshl_add_u64 v[12:13], v[0:1], 0, v[8:9]
	v_mul_lo_u32 v8, v6, s18
	s_lshl_b32 s18, s18, 2
	v_or_b32_e32 v0, 4, v6
	v_add_u32_e32 v14, s18, v8
	v_cmp_gt_u32_e64 s[2:3], s19, v0
	v_or_b32_e32 v0, 8, v6
	v_add_u32_e32 v16, s18, v14
	v_cmp_gt_u32_e64 s[4:5], s19, v0
	;; [unrolled: 3-line block ×6, first 2 shown]
	v_or_b32_e32 v0, 28, v6
	v_add_u32_e32 v28, s18, v26
	s_abs_i32 s18, s19
	v_cmp_gt_u32_e64 s[14:15], s19, v0
	v_cvt_f32_u32_e32 v0, s18
	s_add_i32 s41, s0, s1
	v_cmp_gt_u32_e64 s[0:1], s19, v6
	s_and_b64 s[34:35], s[0:1], vcc
	v_rcp_iflag_f32_e32 v0, v0
	s_sub_i32 s0, 0, s18
	s_mov_b32 s20, 0
	v_or_b32_e32 v5, v36, v6
	v_mul_f32_e32 v0, 0x4f7ffffe, v0
	v_cvt_u32_f32_e32 v0, v0
	s_mov_b32 s21, s20
	v_or_b32_e32 v38, 12, v3
	v_or_b32_e32 v39, 0x7c, v3
	v_mul_lo_u32 v1, s0, v0
	v_mul_hi_u32 v1, v0, v1
	v_lshlrev_b32_e32 v40, 4, v5
	v_add_u32_e32 v48, v0, v1
	s_mov_b32 s22, s20
	s_mov_b32 s23, s20
	v_mov_b64_e32 v[0:1], s[20:21]
	v_cndmask_b32_e64 v5, 0, 1, s[30:31]
	v_mov_b32_e32 v37, 0
	v_mov_b32_e32 v7, v9
	v_or_b32_e32 v41, 64, v40
	v_mov_b32_e32 v15, v9
	v_or_b32_e32 v42, 0x80, v40
	;; [unrolled: 2-line block ×7, first 2 shown]
	v_mov_b32_e32 v29, v9
	s_and_b64 s[36:37], vcc, s[2:3]
	s_and_b64 s[4:5], vcc, s[4:5]
	;; [unrolled: 1-line block ×7, first 2 shown]
	s_mov_b64 s[38:39], 0
	v_mov_b64_e32 v[2:3], s[22:23]
	v_cmp_ne_u32_e64 s[0:1], 1, v5
	v_mov_b32_e32 v49, 1
	v_mov_b32_e32 v5, 0
	s_branch .LBB202_11
.LBB202_8:                              ;   in Loop: Header=BB202_11 Depth=1
	v_mov_b32_e32 v25, s43
.LBB202_9:                              ;   in Loop: Header=BB202_11 Depth=1
	s_or_b64 exec, exec, s[20:21]
.LBB202_10:                             ;   in Loop: Header=BB202_11 Depth=1
	s_or_b64 exec, exec, s[2:3]
	v_mov_b32_dpp v5, v50 row_shr:1 row_mask:0xf bank_mask:0xf
	v_min_i32_e32 v5, v5, v50
	v_add_u32_e32 v4, v25, v4
	s_waitcnt lgkmcnt(0)
	v_mov_b32_dpp v30, v5 row_shr:2 row_mask:0xf bank_mask:0xf
	v_min_i32_e32 v5, v30, v5
	s_nop 1
	v_mov_b32_dpp v30, v5 row_shr:4 row_mask:0xf bank_mask:0xe
	v_min_i32_e32 v5, v30, v5
	s_nop 1
	;; [unrolled: 3-line block ×3, first 2 shown]
	v_mov_b32_dpp v30, v5 row_bcast:15 row_mask:0xa bank_mask:0xf
	v_min_i32_e32 v5, v30, v5
	ds_bpermute_b32 v5, v39, v5
	s_waitcnt lgkmcnt(0)
	v_cmp_le_i32_e32 vcc, s17, v5
	s_or_b64 s[38:39], vcc, s[38:39]
	s_andn2_b64 exec, exec, s[38:39]
	s_cbranch_execz .LBB202_60
.LBB202_11:                             ; =>This Loop Header: Depth=1
                                        ;     Child Loop BB202_14 Depth 2
	v_add_u32_e32 v32, v24, v6
	v_cmp_lt_i32_e32 vcc, v32, v35
	v_mov_b32_e32 v50, s17
	v_mov_b32_e32 v51, v35
	ds_write_b8 v34, v37 offset:32768
	ds_write_b128 v40, v[0:3]
	ds_write_b128 v40, v[0:3] offset:64
	ds_write_b128 v40, v[0:3] offset:128
	;; [unrolled: 1-line block ×7, first 2 shown]
	s_waitcnt lgkmcnt(0)
	s_and_saveexec_b64 s[20:21], vcc
	s_cbranch_execz .LBB202_19
; %bb.12:                               ;   in Loop: Header=BB202_11 Depth=1
	v_ashrrev_i32_e32 v25, 31, v24
	v_lshl_add_u64 v[30:31], v[6:7], 0, v[24:25]
	v_mul_lo_u32 v33, v5, s19
	v_lshl_add_u64 v[24:25], v[30:31], 2, s[28:29]
	v_lshl_add_u64 v[30:31], v[30:31], 4, s[24:25]
	s_mov_b64 s[22:23], 0
	v_mov_b32_e32 v50, s17
	v_mov_b32_e32 v51, v35
	s_branch .LBB202_14
.LBB202_13:                             ;   in Loop: Header=BB202_14 Depth=2
	s_or_b64 exec, exec, s[2:3]
	v_add_u32_e32 v32, 4, v32
	v_cmp_ge_i32_e64 s[2:3], v32, v35
	s_xor_b64 s[44:45], vcc, -1
	s_or_b64 s[2:3], s[44:45], s[2:3]
	s_and_b64 s[2:3], exec, s[2:3]
	v_lshl_add_u64 v[24:25], v[24:25], 0, 16
	s_or_b64 s[22:23], s[2:3], s[22:23]
	v_lshl_add_u64 v[30:31], v[30:31], 0, 64
	s_andn2_b64 exec, exec, s[22:23]
	s_cbranch_execz .LBB202_18
.LBB202_14:                             ;   Parent Loop BB202_11 Depth=1
                                        ; =>  This Inner Loop Header: Depth=2
	global_load_dword v52, v[24:25], off
	s_waitcnt vmcnt(0)
	v_subrev_u32_e32 v52, s33, v52
	v_sub_u32_e32 v54, 0, v52
	v_max_i32_e32 v54, v52, v54
	v_mul_hi_u32 v55, v54, v48
	v_mul_lo_u32 v56, v55, s18
	v_sub_u32_e32 v54, v54, v56
	v_add_u32_e32 v57, 1, v55
	v_cmp_le_u32_e32 vcc, s18, v54
	v_subrev_u32_e32 v56, s18, v54
	v_ashrrev_i32_e32 v53, 31, v52
	v_cndmask_b32_e32 v55, v55, v57, vcc
	v_cndmask_b32_e32 v54, v54, v56, vcc
	v_add_u32_e32 v56, 1, v55
	v_cmp_le_u32_e32 vcc, s18, v54
	v_xor_b32_e32 v53, s16, v53
	s_nop 0
	v_cndmask_b32_e32 v54, v55, v56, vcc
	v_xor_b32_e32 v54, v54, v53
	v_sub_u32_e32 v54, v54, v53
	v_cmp_eq_u32_e32 vcc, v54, v5
	v_cmp_ne_u32_e64 s[2:3], v54, v5
	v_mov_b32_e32 v53, v51
	s_and_saveexec_b64 s[44:45], s[2:3]
	s_xor_b64 s[2:3], exec, s[44:45]
; %bb.15:                               ;   in Loop: Header=BB202_14 Depth=2
	v_min_i32_e32 v50, v54, v50
                                        ; implicit-def: $vgpr52
                                        ; implicit-def: $vgpr53
; %bb.16:                               ;   in Loop: Header=BB202_14 Depth=2
	s_or_saveexec_b64 s[2:3], s[2:3]
	v_mov_b32_e32 v51, v32
	s_xor_b64 exec, exec, s[2:3]
	s_cbranch_execz .LBB202_13
; %bb.17:                               ;   in Loop: Header=BB202_14 Depth=2
	global_load_dwordx4 v[54:57], v[30:31], off
	v_sub_u32_e32 v51, v52, v33
	v_add_lshl_u32 v51, v36, v51, 4
	ds_write_b8 v34, v49 offset:32768
	s_waitcnt vmcnt(0)
	ds_write2_b64 v51, v[54:55], v[56:57] offset1:1
	v_mov_b32_e32 v51, v53
	s_branch .LBB202_13
.LBB202_18:                             ;   in Loop: Header=BB202_11 Depth=1
	s_or_b64 exec, exec, s[22:23]
.LBB202_19:                             ;   in Loop: Header=BB202_11 Depth=1
	s_or_b64 exec, exec, s[20:21]
	v_mov_b32_dpp v24, v51 row_shr:1 row_mask:0xf bank_mask:0xf
	v_min_i32_e32 v24, v24, v51
	s_waitcnt lgkmcnt(0)
	ds_read_u8 v25, v34 offset:32768
	v_mov_b32_dpp v30, v24 row_shr:2 row_mask:0xf bank_mask:0xf
	v_min_i32_e32 v24, v30, v24
	ds_bpermute_b32 v24, v38, v24
	s_waitcnt lgkmcnt(1)
	v_and_b32_e32 v25, 1, v25
	v_cmp_eq_u32_e32 vcc, 1, v25
	v_mov_b32_e32 v25, 0
	s_and_saveexec_b64 s[2:3], vcc
	s_cbranch_execz .LBB202_10
; %bb.20:                               ;   in Loop: Header=BB202_11 Depth=1
	v_add_u32_e32 v25, s40, v5
	v_ashrrev_i32_e32 v5, 31, v4
	v_lshl_add_u64 v[30:31], v[4:5], 2, s[26:27]
	global_store_dword v[30:31], v25, off
	v_mul_lo_u32 v25, s41, v4
	v_mul_lo_u32 v5, s42, v5
	v_mad_u64_u32 v[30:31], s[20:21], s42, v4, 0
	v_add3_u32 v31, v31, v5, v25
	v_lshlrev_b64 v[30:31], 4, v[30:31]
	v_lshl_add_u64 v[32:33], v[10:11], 0, v[30:31]
	v_lshl_add_u64 v[30:31], v[12:13], 0, v[30:31]
	s_and_saveexec_b64 s[20:21], s[34:35]
	s_cbranch_execz .LBB202_24
; %bb.21:                               ;   in Loop: Header=BB202_11 Depth=1
	s_and_b64 vcc, exec, s[30:31]
	s_cbranch_vccz .LBB202_51
; %bb.22:                               ;   in Loop: Header=BB202_11 Depth=1
	ds_read2_b64 v[52:55], v40 offset1:1
	v_lshl_add_u64 v[56:57], v[8:9], 4, v[32:33]
	s_waitcnt lgkmcnt(0)
	global_store_dwordx4 v[56:57], v[52:55], off
	s_cbranch_execnz .LBB202_24
.LBB202_23:                             ;   in Loop: Header=BB202_11 Depth=1
	ds_read2_b64 v[52:55], v40 offset1:1
	s_waitcnt lgkmcnt(0)
	global_store_dwordx4 v[30:31], v[52:55], off
.LBB202_24:                             ;   in Loop: Header=BB202_11 Depth=1
	s_or_b64 exec, exec, s[20:21]
	s_and_saveexec_b64 s[20:21], s[36:37]
	s_cbranch_execz .LBB202_28
; %bb.25:                               ;   in Loop: Header=BB202_11 Depth=1
	s_and_b64 vcc, exec, s[0:1]
	s_cbranch_vccnz .LBB202_52
; %bb.26:                               ;   in Loop: Header=BB202_11 Depth=1
	ds_read2_b64 v[52:55], v41 offset1:1
	v_lshl_add_u64 v[56:57], v[14:15], 4, v[32:33]
	s_waitcnt lgkmcnt(0)
	global_store_dwordx4 v[56:57], v[52:55], off
	s_cbranch_execnz .LBB202_28
.LBB202_27:                             ;   in Loop: Header=BB202_11 Depth=1
	ds_read2_b64 v[52:55], v41 offset1:1
	s_waitcnt lgkmcnt(0)
	global_store_dwordx4 v[30:31], v[52:55], off offset:64
.LBB202_28:                             ;   in Loop: Header=BB202_11 Depth=1
	s_or_b64 exec, exec, s[20:21]
	s_and_saveexec_b64 s[20:21], s[4:5]
	s_cbranch_execz .LBB202_32
; %bb.29:                               ;   in Loop: Header=BB202_11 Depth=1
	s_and_b64 vcc, exec, s[0:1]
	s_cbranch_vccnz .LBB202_53
; %bb.30:                               ;   in Loop: Header=BB202_11 Depth=1
	ds_read2_b64 v[52:55], v42 offset1:1
	v_lshl_add_u64 v[56:57], v[16:17], 4, v[32:33]
	s_waitcnt lgkmcnt(0)
	global_store_dwordx4 v[56:57], v[52:55], off
	s_cbranch_execnz .LBB202_32
.LBB202_31:                             ;   in Loop: Header=BB202_11 Depth=1
	ds_read2_b64 v[52:55], v42 offset1:1
	s_waitcnt lgkmcnt(0)
	global_store_dwordx4 v[30:31], v[52:55], off offset:128
.LBB202_32:                             ;   in Loop: Header=BB202_11 Depth=1
	s_or_b64 exec, exec, s[20:21]
	s_and_saveexec_b64 s[20:21], s[6:7]
	s_cbranch_execz .LBB202_36
; %bb.33:                               ;   in Loop: Header=BB202_11 Depth=1
	s_and_b64 vcc, exec, s[0:1]
	s_cbranch_vccnz .LBB202_54
; %bb.34:                               ;   in Loop: Header=BB202_11 Depth=1
	ds_read2_b64 v[52:55], v43 offset1:1
	v_lshl_add_u64 v[56:57], v[18:19], 4, v[32:33]
	s_waitcnt lgkmcnt(0)
	global_store_dwordx4 v[56:57], v[52:55], off
	s_cbranch_execnz .LBB202_36
.LBB202_35:                             ;   in Loop: Header=BB202_11 Depth=1
	ds_read2_b64 v[52:55], v43 offset1:1
	s_waitcnt lgkmcnt(0)
	global_store_dwordx4 v[30:31], v[52:55], off offset:192
.LBB202_36:                             ;   in Loop: Header=BB202_11 Depth=1
	s_or_b64 exec, exec, s[20:21]
	s_and_saveexec_b64 s[20:21], s[8:9]
	s_cbranch_execz .LBB202_40
; %bb.37:                               ;   in Loop: Header=BB202_11 Depth=1
	s_and_b64 vcc, exec, s[0:1]
	s_cbranch_vccnz .LBB202_55
; %bb.38:                               ;   in Loop: Header=BB202_11 Depth=1
	ds_read2_b64 v[52:55], v44 offset1:1
	v_lshl_add_u64 v[56:57], v[20:21], 4, v[32:33]
	s_waitcnt lgkmcnt(0)
	global_store_dwordx4 v[56:57], v[52:55], off
	s_cbranch_execnz .LBB202_40
.LBB202_39:                             ;   in Loop: Header=BB202_11 Depth=1
	ds_read2_b64 v[52:55], v44 offset1:1
	s_waitcnt lgkmcnt(0)
	global_store_dwordx4 v[30:31], v[52:55], off offset:256
.LBB202_40:                             ;   in Loop: Header=BB202_11 Depth=1
	s_or_b64 exec, exec, s[20:21]
	s_and_saveexec_b64 s[20:21], s[10:11]
	s_cbranch_execz .LBB202_44
; %bb.41:                               ;   in Loop: Header=BB202_11 Depth=1
	s_and_b64 vcc, exec, s[0:1]
	s_cbranch_vccnz .LBB202_56
; %bb.42:                               ;   in Loop: Header=BB202_11 Depth=1
	ds_read2_b64 v[52:55], v45 offset1:1
	v_lshl_add_u64 v[56:57], v[22:23], 4, v[32:33]
	s_waitcnt lgkmcnt(0)
	global_store_dwordx4 v[56:57], v[52:55], off
	s_cbranch_execnz .LBB202_44
.LBB202_43:                             ;   in Loop: Header=BB202_11 Depth=1
	ds_read2_b64 v[52:55], v45 offset1:1
	s_waitcnt lgkmcnt(0)
	global_store_dwordx4 v[30:31], v[52:55], off offset:320
.LBB202_44:                             ;   in Loop: Header=BB202_11 Depth=1
	s_or_b64 exec, exec, s[20:21]
	s_and_saveexec_b64 s[20:21], s[12:13]
	s_cbranch_execz .LBB202_48
; %bb.45:                               ;   in Loop: Header=BB202_11 Depth=1
	s_and_b64 vcc, exec, s[0:1]
	s_cbranch_vccnz .LBB202_57
; %bb.46:                               ;   in Loop: Header=BB202_11 Depth=1
	ds_read2_b64 v[52:55], v46 offset1:1
	v_lshl_add_u64 v[56:57], v[26:27], 4, v[32:33]
	s_waitcnt lgkmcnt(0)
	global_store_dwordx4 v[56:57], v[52:55], off
	s_cbranch_execnz .LBB202_48
.LBB202_47:                             ;   in Loop: Header=BB202_11 Depth=1
	ds_read2_b64 v[52:55], v46 offset1:1
	s_waitcnt lgkmcnt(0)
	global_store_dwordx4 v[30:31], v[52:55], off offset:384
.LBB202_48:                             ;   in Loop: Header=BB202_11 Depth=1
	s_or_b64 exec, exec, s[20:21]
	v_mov_b32_e32 v25, 1
	s_and_saveexec_b64 s[20:21], s[14:15]
	s_cbranch_execz .LBB202_9
; %bb.49:                               ;   in Loop: Header=BB202_11 Depth=1
	s_and_b64 vcc, exec, s[0:1]
	s_cbranch_vccnz .LBB202_58
; %bb.50:                               ;   in Loop: Header=BB202_11 Depth=1
	ds_read2_b64 v[52:55], v47 offset1:1
	v_lshl_add_u64 v[32:33], v[28:29], 4, v[32:33]
	s_mov_b32 s43, 1
	s_waitcnt lgkmcnt(0)
	global_store_dwordx4 v[32:33], v[52:55], off
	s_cbranch_execnz .LBB202_8
	s_branch .LBB202_59
.LBB202_51:                             ;   in Loop: Header=BB202_11 Depth=1
	s_branch .LBB202_23
.LBB202_52:                             ;   in Loop: Header=BB202_11 Depth=1
	s_branch .LBB202_27
.LBB202_53:                             ;   in Loop: Header=BB202_11 Depth=1
	s_branch .LBB202_31
.LBB202_54:                             ;   in Loop: Header=BB202_11 Depth=1
	s_branch .LBB202_35
.LBB202_55:                             ;   in Loop: Header=BB202_11 Depth=1
	s_branch .LBB202_39
.LBB202_56:                             ;   in Loop: Header=BB202_11 Depth=1
	s_branch .LBB202_43
.LBB202_57:                             ;   in Loop: Header=BB202_11 Depth=1
	s_branch .LBB202_47
.LBB202_58:                             ;   in Loop: Header=BB202_11 Depth=1
                                        ; implicit-def: $sgpr43
.LBB202_59:                             ;   in Loop: Header=BB202_11 Depth=1
	ds_read2_b64 v[52:55], v47 offset1:1
	s_mov_b32 s43, 1
	s_waitcnt lgkmcnt(0)
	global_store_dwordx4 v[30:31], v[52:55], off offset:448
	s_branch .LBB202_8
.LBB202_60:
	s_endpgm
	.section	.rodata,"a",@progbits
	.p2align	6, 0x0
	.amdhsa_kernel _ZN9rocsparseL44csr2gebsr_wavefront_per_row_multipass_kernelILi256ELi8ELi32ELi32E21rocsparse_complex_numIdEEEv20rocsparse_direction_iiiiii21rocsparse_index_base_PKT3_PKiS9_S4_PS5_PiSB_
		.amdhsa_group_segment_fixed_size 32776
		.amdhsa_private_segment_fixed_size 0
		.amdhsa_kernarg_size 88
		.amdhsa_user_sgpr_count 2
		.amdhsa_user_sgpr_dispatch_ptr 0
		.amdhsa_user_sgpr_queue_ptr 0
		.amdhsa_user_sgpr_kernarg_segment_ptr 1
		.amdhsa_user_sgpr_dispatch_id 0
		.amdhsa_user_sgpr_kernarg_preload_length 0
		.amdhsa_user_sgpr_kernarg_preload_offset 0
		.amdhsa_user_sgpr_private_segment_size 0
		.amdhsa_uses_dynamic_stack 0
		.amdhsa_enable_private_segment 0
		.amdhsa_system_sgpr_workgroup_id_x 1
		.amdhsa_system_sgpr_workgroup_id_y 0
		.amdhsa_system_sgpr_workgroup_id_z 0
		.amdhsa_system_sgpr_workgroup_info 0
		.amdhsa_system_vgpr_workitem_id 0
		.amdhsa_next_free_vgpr 58
		.amdhsa_next_free_sgpr 46
		.amdhsa_accum_offset 60
		.amdhsa_reserve_vcc 1
		.amdhsa_float_round_mode_32 0
		.amdhsa_float_round_mode_16_64 0
		.amdhsa_float_denorm_mode_32 3
		.amdhsa_float_denorm_mode_16_64 3
		.amdhsa_dx10_clamp 1
		.amdhsa_ieee_mode 1
		.amdhsa_fp16_overflow 0
		.amdhsa_tg_split 0
		.amdhsa_exception_fp_ieee_invalid_op 0
		.amdhsa_exception_fp_denorm_src 0
		.amdhsa_exception_fp_ieee_div_zero 0
		.amdhsa_exception_fp_ieee_overflow 0
		.amdhsa_exception_fp_ieee_underflow 0
		.amdhsa_exception_fp_ieee_inexact 0
		.amdhsa_exception_int_div_zero 0
	.end_amdhsa_kernel
	.section	.text._ZN9rocsparseL44csr2gebsr_wavefront_per_row_multipass_kernelILi256ELi8ELi32ELi32E21rocsparse_complex_numIdEEEv20rocsparse_direction_iiiiii21rocsparse_index_base_PKT3_PKiS9_S4_PS5_PiSB_,"axG",@progbits,_ZN9rocsparseL44csr2gebsr_wavefront_per_row_multipass_kernelILi256ELi8ELi32ELi32E21rocsparse_complex_numIdEEEv20rocsparse_direction_iiiiii21rocsparse_index_base_PKT3_PKiS9_S4_PS5_PiSB_,comdat
.Lfunc_end202:
	.size	_ZN9rocsparseL44csr2gebsr_wavefront_per_row_multipass_kernelILi256ELi8ELi32ELi32E21rocsparse_complex_numIdEEEv20rocsparse_direction_iiiiii21rocsparse_index_base_PKT3_PKiS9_S4_PS5_PiSB_, .Lfunc_end202-_ZN9rocsparseL44csr2gebsr_wavefront_per_row_multipass_kernelILi256ELi8ELi32ELi32E21rocsparse_complex_numIdEEEv20rocsparse_direction_iiiiii21rocsparse_index_base_PKT3_PKiS9_S4_PS5_PiSB_
                                        ; -- End function
	.section	.AMDGPU.csdata,"",@progbits
; Kernel info:
; codeLenInByte = 2068
; NumSgprs: 52
; NumVgprs: 58
; NumAgprs: 0
; TotalNumVgprs: 58
; ScratchSize: 0
; MemoryBound: 0
; FloatMode: 240
; IeeeMode: 1
; LDSByteSize: 32776 bytes/workgroup (compile time only)
; SGPRBlocks: 6
; VGPRBlocks: 7
; NumSGPRsForWavesPerEU: 52
; NumVGPRsForWavesPerEU: 58
; AccumOffset: 60
; Occupancy: 1
; WaveLimiterHint : 0
; COMPUTE_PGM_RSRC2:SCRATCH_EN: 0
; COMPUTE_PGM_RSRC2:USER_SGPR: 2
; COMPUTE_PGM_RSRC2:TRAP_HANDLER: 0
; COMPUTE_PGM_RSRC2:TGID_X_EN: 1
; COMPUTE_PGM_RSRC2:TGID_Y_EN: 0
; COMPUTE_PGM_RSRC2:TGID_Z_EN: 0
; COMPUTE_PGM_RSRC2:TIDIG_COMP_CNT: 0
; COMPUTE_PGM_RSRC3_GFX90A:ACCUM_OFFSET: 14
; COMPUTE_PGM_RSRC3_GFX90A:TG_SPLIT: 0
	.section	.text._ZN9rocsparseL44csr2gebsr_wavefront_per_row_multipass_kernelILi256ELi8ELi64ELi64E21rocsparse_complex_numIdEEEv20rocsparse_direction_iiiiii21rocsparse_index_base_PKT3_PKiS9_S4_PS5_PiSB_,"axG",@progbits,_ZN9rocsparseL44csr2gebsr_wavefront_per_row_multipass_kernelILi256ELi8ELi64ELi64E21rocsparse_complex_numIdEEEv20rocsparse_direction_iiiiii21rocsparse_index_base_PKT3_PKiS9_S4_PS5_PiSB_,comdat
	.globl	_ZN9rocsparseL44csr2gebsr_wavefront_per_row_multipass_kernelILi256ELi8ELi64ELi64E21rocsparse_complex_numIdEEEv20rocsparse_direction_iiiiii21rocsparse_index_base_PKT3_PKiS9_S4_PS5_PiSB_ ; -- Begin function _ZN9rocsparseL44csr2gebsr_wavefront_per_row_multipass_kernelILi256ELi8ELi64ELi64E21rocsparse_complex_numIdEEEv20rocsparse_direction_iiiiii21rocsparse_index_base_PKT3_PKiS9_S4_PS5_PiSB_
	.p2align	8
	.type	_ZN9rocsparseL44csr2gebsr_wavefront_per_row_multipass_kernelILi256ELi8ELi64ELi64E21rocsparse_complex_numIdEEEv20rocsparse_direction_iiiiii21rocsparse_index_base_PKT3_PKiS9_S4_PS5_PiSB_,@function
_ZN9rocsparseL44csr2gebsr_wavefront_per_row_multipass_kernelILi256ELi8ELi64ELi64E21rocsparse_complex_numIdEEEv20rocsparse_direction_iiiiii21rocsparse_index_base_PKT3_PKiS9_S4_PS5_PiSB_: ; @_ZN9rocsparseL44csr2gebsr_wavefront_per_row_multipass_kernelILi256ELi8ELi64ELi64E21rocsparse_complex_numIdEEEv20rocsparse_direction_iiiiii21rocsparse_index_base_PKT3_PKiS9_S4_PS5_PiSB_
; %bb.0:
	s_load_dwordx2 s[4:5], s[0:1], 0x0
	s_load_dwordx4 s[16:19], s[0:1], 0xc
	s_load_dword s33, s[0:1], 0x1c
	s_load_dwordx2 s[6:7], s[0:1], 0x28
	v_lshrrev_b32_e32 v34, 6, v0
	v_bfe_u32 v2, v0, 3, 3
	v_lshl_or_b32 v6, s2, 2, v34
	s_waitcnt lgkmcnt(0)
	v_mad_u64_u32 v[4:5], s[2:3], v6, s18, v[2:3]
	v_cmp_gt_i32_e64 s[2:3], s5, v4
	v_cmp_gt_i32_e32 vcc, s18, v2
	s_and_b64 s[2:3], vcc, s[2:3]
	v_mov_b32_e32 v35, 0
	v_mov_b32_e32 v24, 0
	s_and_saveexec_b64 s[8:9], s[2:3]
	s_cbranch_execz .LBB203_2
; %bb.1:
	v_ashrrev_i32_e32 v5, 31, v4
	v_lshl_add_u64 v[8:9], v[4:5], 2, s[6:7]
	global_load_dword v1, v[8:9], off
	s_waitcnt vmcnt(0)
	v_subrev_u32_e32 v24, s33, v1
.LBB203_2:
	s_or_b64 exec, exec, s[8:9]
	s_and_saveexec_b64 s[8:9], s[2:3]
	s_cbranch_execz .LBB203_4
; %bb.3:
	v_ashrrev_i32_e32 v5, 31, v4
	v_lshl_add_u64 v[4:5], v[4:5], 2, s[6:7]
	global_load_dword v1, v[4:5], off offset:4
	s_waitcnt vmcnt(0)
	v_subrev_u32_e32 v35, s33, v1
.LBB203_4:
	s_or_b64 exec, exec, s[8:9]
	s_load_dword s42, s[0:1], 0x38
	v_cmp_gt_i32_e64 s[2:3], s16, v6
	v_mov_b32_e32 v4, 0
	s_and_saveexec_b64 s[6:7], s[2:3]
	s_cbranch_execz .LBB203_6
; %bb.5:
	s_load_dwordx2 s[2:3], s[0:1], 0x48
	v_ashrrev_i32_e32 v7, 31, v6
	s_waitcnt lgkmcnt(0)
	v_lshl_add_u64 v[4:5], v[6:7], 2, s[2:3]
	global_load_dword v1, v[4:5], off
	s_waitcnt vmcnt(0)
	v_subrev_u32_e32 v4, s42, v1
.LBB203_6:
	s_or_b64 exec, exec, s[6:7]
	s_cmp_lt_i32 s17, 1
	s_cbranch_scc1 .LBB203_60
; %bb.7:
	v_and_b32_e32 v6, 7, v0
	v_lshlrev_b32_e32 v0, 9, v34
	s_load_dwordx2 s[24:25], s[0:1], 0x20
	s_load_dwordx2 s[26:27], s[0:1], 0x50
	;; [unrolled: 1-line block ×4, first 2 shown]
	v_lshl_or_b32 v36, v2, 6, v0
	v_mbcnt_lo_u32_b32 v0, -1, 0
	v_mbcnt_hi_u32_b32 v0, -1, v0
	v_lshlrev_b32_e32 v3, 2, v0
	v_mul_lo_u32 v0, v2, s19
	s_cmp_lg_u32 s4, 0
	v_lshlrev_b32_e32 v8, 4, v2
	v_mov_b32_e32 v9, 0
	v_ashrrev_i32_e32 v1, 31, v0
	s_cselect_b64 s[30:31], -1, 0
	s_ashr_i32 s16, s19, 31
	s_waitcnt lgkmcnt(0)
	v_lshl_add_u64 v[10:11], s[2:3], 0, v[8:9]
	v_lshl_add_u64 v[0:1], v[0:1], 4, s[2:3]
	v_lshlrev_b32_e32 v8, 4, v6
	s_mul_hi_u32 s0, s19, s18
	s_mul_i32 s1, s16, s18
	s_mul_i32 s44, s19, s18
	v_lshl_add_u64 v[12:13], v[0:1], 0, v[8:9]
	v_mul_lo_u32 v8, v6, s18
	s_lshl_b32 s18, s18, 3
	v_or_b32_e32 v0, 8, v6
	v_add_u32_e32 v14, s18, v8
	v_cmp_gt_u32_e64 s[2:3], s19, v0
	v_or_b32_e32 v0, 16, v6
	v_add_u32_e32 v16, s18, v14
	v_cmp_gt_u32_e64 s[4:5], s19, v0
	;; [unrolled: 3-line block ×6, first 2 shown]
	v_or_b32_e32 v0, 56, v6
	v_add_u32_e32 v28, s18, v26
	s_abs_i32 s18, s19
	v_cmp_gt_u32_e64 s[14:15], s19, v0
	v_cvt_f32_u32_e32 v0, s18
	s_add_i32 s43, s0, s1
	v_cmp_gt_u32_e64 s[0:1], s19, v6
	s_and_b64 s[34:35], s[0:1], vcc
	v_rcp_iflag_f32_e32 v0, v0
	s_sub_i32 s0, 0, s18
	s_mov_b32 s20, 0
	v_or_b32_e32 v5, v36, v6
	v_mul_f32_e32 v0, 0x4f7ffffe, v0
	v_cvt_u32_f32_e32 v0, v0
	s_mov_b32 s21, s20
	v_or_b32_e32 v38, 28, v3
	v_or_b32_e32 v39, 0xfc, v3
	v_mul_lo_u32 v1, s0, v0
	v_mul_hi_u32 v1, v0, v1
	v_lshlrev_b32_e32 v40, 4, v5
	v_add_u32_e32 v48, v0, v1
	s_mov_b32 s22, s20
	s_mov_b32 s23, s20
	v_mov_b64_e32 v[0:1], s[20:21]
	v_cndmask_b32_e64 v5, 0, 1, s[30:31]
	v_mov_b32_e32 v37, 0
	v_mov_b32_e32 v7, v9
	v_or_b32_e32 v41, 0x80, v40
	v_mov_b32_e32 v15, v9
	v_or_b32_e32 v42, 0x100, v40
	;; [unrolled: 2-line block ×7, first 2 shown]
	v_mov_b32_e32 v29, v9
	s_and_b64 s[36:37], vcc, s[2:3]
	s_and_b64 s[4:5], vcc, s[4:5]
	;; [unrolled: 1-line block ×7, first 2 shown]
	s_mov_b64 s[38:39], 0
	v_mov_b64_e32 v[2:3], s[22:23]
	s_mov_b64 s[20:21], 0x80
	v_cmp_ne_u32_e64 s[0:1], 1, v5
	v_mov_b32_e32 v49, 1
	v_mov_b32_e32 v5, 0
	s_branch .LBB203_11
.LBB203_8:                              ;   in Loop: Header=BB203_11 Depth=1
	v_mov_b32_e32 v25, s45
.LBB203_9:                              ;   in Loop: Header=BB203_11 Depth=1
	s_or_b64 exec, exec, s[22:23]
.LBB203_10:                             ;   in Loop: Header=BB203_11 Depth=1
	s_or_b64 exec, exec, s[2:3]
	v_mov_b32_dpp v5, v50 row_shr:1 row_mask:0xf bank_mask:0xf
	v_min_i32_e32 v5, v5, v50
	v_add_u32_e32 v4, v25, v4
	s_waitcnt lgkmcnt(0)
	v_mov_b32_dpp v30, v5 row_shr:2 row_mask:0xf bank_mask:0xf
	v_min_i32_e32 v5, v30, v5
	s_nop 1
	v_mov_b32_dpp v30, v5 row_shr:4 row_mask:0xf bank_mask:0xe
	v_min_i32_e32 v5, v30, v5
	s_nop 1
	;; [unrolled: 3-line block ×3, first 2 shown]
	v_mov_b32_dpp v30, v5 row_bcast:15 row_mask:0xa bank_mask:0xf
	v_min_i32_e32 v5, v30, v5
	s_nop 1
	v_mov_b32_dpp v30, v5 row_bcast:31 row_mask:0xc bank_mask:0xf
	v_min_i32_e32 v5, v30, v5
	ds_bpermute_b32 v5, v39, v5
	s_waitcnt lgkmcnt(0)
	v_cmp_le_i32_e32 vcc, s17, v5
	s_or_b64 s[38:39], vcc, s[38:39]
	s_andn2_b64 exec, exec, s[38:39]
	s_cbranch_execz .LBB203_60
.LBB203_11:                             ; =>This Loop Header: Depth=1
                                        ;     Child Loop BB203_14 Depth 2
	v_add_u32_e32 v32, v24, v6
	v_cmp_lt_i32_e32 vcc, v32, v35
	v_mov_b32_e32 v50, s17
	v_mov_b32_e32 v51, v35
	ds_write_b8 v34, v37 offset:32768
	ds_write_b128 v40, v[0:3]
	ds_write_b128 v40, v[0:3] offset:128
	ds_write_b128 v40, v[0:3] offset:256
	ds_write_b128 v40, v[0:3] offset:384
	ds_write_b128 v40, v[0:3] offset:512
	ds_write_b128 v40, v[0:3] offset:640
	ds_write_b128 v40, v[0:3] offset:768
	ds_write_b128 v40, v[0:3] offset:896
	s_waitcnt lgkmcnt(0)
	s_and_saveexec_b64 s[22:23], vcc
	s_cbranch_execz .LBB203_19
; %bb.12:                               ;   in Loop: Header=BB203_11 Depth=1
	v_ashrrev_i32_e32 v25, 31, v24
	v_lshl_add_u64 v[30:31], v[6:7], 0, v[24:25]
	v_mul_lo_u32 v33, v5, s19
	v_lshl_add_u64 v[24:25], v[30:31], 2, s[28:29]
	v_lshl_add_u64 v[30:31], v[30:31], 4, s[24:25]
	s_mov_b64 s[40:41], 0
	v_mov_b32_e32 v50, s17
	v_mov_b32_e32 v51, v35
	s_branch .LBB203_14
.LBB203_13:                             ;   in Loop: Header=BB203_14 Depth=2
	s_or_b64 exec, exec, s[2:3]
	v_add_u32_e32 v32, 8, v32
	v_cmp_ge_i32_e64 s[2:3], v32, v35
	s_xor_b64 s[46:47], vcc, -1
	s_or_b64 s[2:3], s[46:47], s[2:3]
	s_and_b64 s[2:3], exec, s[2:3]
	v_lshl_add_u64 v[24:25], v[24:25], 0, 32
	s_or_b64 s[40:41], s[2:3], s[40:41]
	v_lshl_add_u64 v[30:31], v[30:31], 0, s[20:21]
	s_andn2_b64 exec, exec, s[40:41]
	s_cbranch_execz .LBB203_18
.LBB203_14:                             ;   Parent Loop BB203_11 Depth=1
                                        ; =>  This Inner Loop Header: Depth=2
	global_load_dword v52, v[24:25], off
	s_waitcnt vmcnt(0)
	v_subrev_u32_e32 v52, s33, v52
	v_sub_u32_e32 v54, 0, v52
	v_max_i32_e32 v54, v52, v54
	v_mul_hi_u32 v55, v54, v48
	v_mul_lo_u32 v56, v55, s18
	v_sub_u32_e32 v54, v54, v56
	v_add_u32_e32 v57, 1, v55
	v_cmp_le_u32_e32 vcc, s18, v54
	v_subrev_u32_e32 v56, s18, v54
	v_ashrrev_i32_e32 v53, 31, v52
	v_cndmask_b32_e32 v55, v55, v57, vcc
	v_cndmask_b32_e32 v54, v54, v56, vcc
	v_add_u32_e32 v56, 1, v55
	v_cmp_le_u32_e32 vcc, s18, v54
	v_xor_b32_e32 v53, s16, v53
	s_nop 0
	v_cndmask_b32_e32 v54, v55, v56, vcc
	v_xor_b32_e32 v54, v54, v53
	v_sub_u32_e32 v54, v54, v53
	v_cmp_eq_u32_e32 vcc, v54, v5
	v_cmp_ne_u32_e64 s[2:3], v54, v5
	v_mov_b32_e32 v53, v51
	s_and_saveexec_b64 s[46:47], s[2:3]
	s_xor_b64 s[2:3], exec, s[46:47]
; %bb.15:                               ;   in Loop: Header=BB203_14 Depth=2
	v_min_i32_e32 v50, v54, v50
                                        ; implicit-def: $vgpr52
                                        ; implicit-def: $vgpr53
; %bb.16:                               ;   in Loop: Header=BB203_14 Depth=2
	s_or_saveexec_b64 s[2:3], s[2:3]
	v_mov_b32_e32 v51, v32
	s_xor_b64 exec, exec, s[2:3]
	s_cbranch_execz .LBB203_13
; %bb.17:                               ;   in Loop: Header=BB203_14 Depth=2
	global_load_dwordx4 v[54:57], v[30:31], off
	v_sub_u32_e32 v51, v52, v33
	v_add_lshl_u32 v51, v36, v51, 4
	ds_write_b8 v34, v49 offset:32768
	s_waitcnt vmcnt(0)
	ds_write2_b64 v51, v[54:55], v[56:57] offset1:1
	v_mov_b32_e32 v51, v53
	s_branch .LBB203_13
.LBB203_18:                             ;   in Loop: Header=BB203_11 Depth=1
	s_or_b64 exec, exec, s[40:41]
.LBB203_19:                             ;   in Loop: Header=BB203_11 Depth=1
	s_or_b64 exec, exec, s[22:23]
	v_mov_b32_dpp v24, v51 row_shr:1 row_mask:0xf bank_mask:0xf
	v_min_i32_e32 v24, v24, v51
	s_waitcnt lgkmcnt(0)
	s_nop 0
	v_mov_b32_dpp v25, v24 row_shr:2 row_mask:0xf bank_mask:0xf
	v_min_i32_e32 v24, v25, v24
	ds_read_u8 v25, v34 offset:32768
	s_waitcnt lgkmcnt(0)
	v_and_b32_e32 v25, 1, v25
	v_mov_b32_dpp v30, v24 row_shr:4 row_mask:0xf bank_mask:0xe
	v_min_i32_e32 v24, v30, v24
	ds_bpermute_b32 v24, v38, v24
	v_cmp_eq_u32_e32 vcc, 1, v25
	v_mov_b32_e32 v25, 0
	s_and_saveexec_b64 s[2:3], vcc
	s_cbranch_execz .LBB203_10
; %bb.20:                               ;   in Loop: Header=BB203_11 Depth=1
	v_add_u32_e32 v25, s42, v5
	v_ashrrev_i32_e32 v5, 31, v4
	v_lshl_add_u64 v[30:31], v[4:5], 2, s[26:27]
	global_store_dword v[30:31], v25, off
	v_mul_lo_u32 v25, s43, v4
	v_mul_lo_u32 v5, s44, v5
	v_mad_u64_u32 v[30:31], s[22:23], s44, v4, 0
	v_add3_u32 v31, v31, v5, v25
	v_lshlrev_b64 v[30:31], 4, v[30:31]
	v_lshl_add_u64 v[32:33], v[10:11], 0, v[30:31]
	v_lshl_add_u64 v[30:31], v[12:13], 0, v[30:31]
	s_and_saveexec_b64 s[22:23], s[34:35]
	s_cbranch_execz .LBB203_24
; %bb.21:                               ;   in Loop: Header=BB203_11 Depth=1
	s_and_b64 vcc, exec, s[30:31]
	s_cbranch_vccz .LBB203_51
; %bb.22:                               ;   in Loop: Header=BB203_11 Depth=1
	ds_read2_b64 v[52:55], v40 offset1:1
	v_lshl_add_u64 v[56:57], v[8:9], 4, v[32:33]
	s_waitcnt lgkmcnt(0)
	global_store_dwordx4 v[56:57], v[52:55], off
	s_cbranch_execnz .LBB203_24
.LBB203_23:                             ;   in Loop: Header=BB203_11 Depth=1
	ds_read2_b64 v[52:55], v40 offset1:1
	s_waitcnt lgkmcnt(0)
	global_store_dwordx4 v[30:31], v[52:55], off
.LBB203_24:                             ;   in Loop: Header=BB203_11 Depth=1
	s_or_b64 exec, exec, s[22:23]
	s_and_saveexec_b64 s[22:23], s[36:37]
	s_cbranch_execz .LBB203_28
; %bb.25:                               ;   in Loop: Header=BB203_11 Depth=1
	s_and_b64 vcc, exec, s[0:1]
	s_cbranch_vccnz .LBB203_52
; %bb.26:                               ;   in Loop: Header=BB203_11 Depth=1
	ds_read2_b64 v[52:55], v41 offset1:1
	v_lshl_add_u64 v[56:57], v[14:15], 4, v[32:33]
	s_waitcnt lgkmcnt(0)
	global_store_dwordx4 v[56:57], v[52:55], off
	s_cbranch_execnz .LBB203_28
.LBB203_27:                             ;   in Loop: Header=BB203_11 Depth=1
	ds_read2_b64 v[52:55], v41 offset1:1
	s_waitcnt lgkmcnt(0)
	global_store_dwordx4 v[30:31], v[52:55], off offset:128
.LBB203_28:                             ;   in Loop: Header=BB203_11 Depth=1
	s_or_b64 exec, exec, s[22:23]
	s_and_saveexec_b64 s[22:23], s[4:5]
	s_cbranch_execz .LBB203_32
; %bb.29:                               ;   in Loop: Header=BB203_11 Depth=1
	s_and_b64 vcc, exec, s[0:1]
	s_cbranch_vccnz .LBB203_53
; %bb.30:                               ;   in Loop: Header=BB203_11 Depth=1
	ds_read2_b64 v[52:55], v42 offset1:1
	v_lshl_add_u64 v[56:57], v[16:17], 4, v[32:33]
	s_waitcnt lgkmcnt(0)
	global_store_dwordx4 v[56:57], v[52:55], off
	s_cbranch_execnz .LBB203_32
.LBB203_31:                             ;   in Loop: Header=BB203_11 Depth=1
	ds_read2_b64 v[52:55], v42 offset1:1
	s_waitcnt lgkmcnt(0)
	global_store_dwordx4 v[30:31], v[52:55], off offset:256
.LBB203_32:                             ;   in Loop: Header=BB203_11 Depth=1
	s_or_b64 exec, exec, s[22:23]
	s_and_saveexec_b64 s[22:23], s[6:7]
	s_cbranch_execz .LBB203_36
; %bb.33:                               ;   in Loop: Header=BB203_11 Depth=1
	s_and_b64 vcc, exec, s[0:1]
	s_cbranch_vccnz .LBB203_54
; %bb.34:                               ;   in Loop: Header=BB203_11 Depth=1
	ds_read2_b64 v[52:55], v43 offset1:1
	v_lshl_add_u64 v[56:57], v[18:19], 4, v[32:33]
	s_waitcnt lgkmcnt(0)
	global_store_dwordx4 v[56:57], v[52:55], off
	s_cbranch_execnz .LBB203_36
.LBB203_35:                             ;   in Loop: Header=BB203_11 Depth=1
	ds_read2_b64 v[52:55], v43 offset1:1
	s_waitcnt lgkmcnt(0)
	global_store_dwordx4 v[30:31], v[52:55], off offset:384
.LBB203_36:                             ;   in Loop: Header=BB203_11 Depth=1
	s_or_b64 exec, exec, s[22:23]
	s_and_saveexec_b64 s[22:23], s[8:9]
	s_cbranch_execz .LBB203_40
; %bb.37:                               ;   in Loop: Header=BB203_11 Depth=1
	s_and_b64 vcc, exec, s[0:1]
	s_cbranch_vccnz .LBB203_55
; %bb.38:                               ;   in Loop: Header=BB203_11 Depth=1
	ds_read2_b64 v[52:55], v44 offset1:1
	v_lshl_add_u64 v[56:57], v[20:21], 4, v[32:33]
	s_waitcnt lgkmcnt(0)
	global_store_dwordx4 v[56:57], v[52:55], off
	s_cbranch_execnz .LBB203_40
.LBB203_39:                             ;   in Loop: Header=BB203_11 Depth=1
	ds_read2_b64 v[52:55], v44 offset1:1
	s_waitcnt lgkmcnt(0)
	global_store_dwordx4 v[30:31], v[52:55], off offset:512
.LBB203_40:                             ;   in Loop: Header=BB203_11 Depth=1
	s_or_b64 exec, exec, s[22:23]
	s_and_saveexec_b64 s[22:23], s[10:11]
	s_cbranch_execz .LBB203_44
; %bb.41:                               ;   in Loop: Header=BB203_11 Depth=1
	s_and_b64 vcc, exec, s[0:1]
	s_cbranch_vccnz .LBB203_56
; %bb.42:                               ;   in Loop: Header=BB203_11 Depth=1
	ds_read2_b64 v[52:55], v45 offset1:1
	v_lshl_add_u64 v[56:57], v[22:23], 4, v[32:33]
	s_waitcnt lgkmcnt(0)
	global_store_dwordx4 v[56:57], v[52:55], off
	s_cbranch_execnz .LBB203_44
.LBB203_43:                             ;   in Loop: Header=BB203_11 Depth=1
	ds_read2_b64 v[52:55], v45 offset1:1
	s_waitcnt lgkmcnt(0)
	global_store_dwordx4 v[30:31], v[52:55], off offset:640
.LBB203_44:                             ;   in Loop: Header=BB203_11 Depth=1
	s_or_b64 exec, exec, s[22:23]
	s_and_saveexec_b64 s[22:23], s[12:13]
	s_cbranch_execz .LBB203_48
; %bb.45:                               ;   in Loop: Header=BB203_11 Depth=1
	s_and_b64 vcc, exec, s[0:1]
	s_cbranch_vccnz .LBB203_57
; %bb.46:                               ;   in Loop: Header=BB203_11 Depth=1
	ds_read2_b64 v[52:55], v46 offset1:1
	v_lshl_add_u64 v[56:57], v[26:27], 4, v[32:33]
	s_waitcnt lgkmcnt(0)
	global_store_dwordx4 v[56:57], v[52:55], off
	s_cbranch_execnz .LBB203_48
.LBB203_47:                             ;   in Loop: Header=BB203_11 Depth=1
	ds_read2_b64 v[52:55], v46 offset1:1
	s_waitcnt lgkmcnt(0)
	global_store_dwordx4 v[30:31], v[52:55], off offset:768
.LBB203_48:                             ;   in Loop: Header=BB203_11 Depth=1
	s_or_b64 exec, exec, s[22:23]
	v_mov_b32_e32 v25, 1
	s_and_saveexec_b64 s[22:23], s[14:15]
	s_cbranch_execz .LBB203_9
; %bb.49:                               ;   in Loop: Header=BB203_11 Depth=1
	s_and_b64 vcc, exec, s[0:1]
	s_cbranch_vccnz .LBB203_58
; %bb.50:                               ;   in Loop: Header=BB203_11 Depth=1
	ds_read2_b64 v[52:55], v47 offset1:1
	v_lshl_add_u64 v[32:33], v[28:29], 4, v[32:33]
	s_mov_b32 s45, 1
	s_waitcnt lgkmcnt(0)
	global_store_dwordx4 v[32:33], v[52:55], off
	s_cbranch_execnz .LBB203_8
	s_branch .LBB203_59
.LBB203_51:                             ;   in Loop: Header=BB203_11 Depth=1
	s_branch .LBB203_23
.LBB203_52:                             ;   in Loop: Header=BB203_11 Depth=1
	s_branch .LBB203_27
.LBB203_53:                             ;   in Loop: Header=BB203_11 Depth=1
	s_branch .LBB203_31
.LBB203_54:                             ;   in Loop: Header=BB203_11 Depth=1
	s_branch .LBB203_35
.LBB203_55:                             ;   in Loop: Header=BB203_11 Depth=1
	s_branch .LBB203_39
.LBB203_56:                             ;   in Loop: Header=BB203_11 Depth=1
	s_branch .LBB203_43
.LBB203_57:                             ;   in Loop: Header=BB203_11 Depth=1
	s_branch .LBB203_47
.LBB203_58:                             ;   in Loop: Header=BB203_11 Depth=1
                                        ; implicit-def: $sgpr45
.LBB203_59:                             ;   in Loop: Header=BB203_11 Depth=1
	ds_read2_b64 v[52:55], v47 offset1:1
	s_mov_b32 s45, 1
	s_waitcnt lgkmcnt(0)
	global_store_dwordx4 v[30:31], v[52:55], off offset:896
	s_branch .LBB203_8
.LBB203_60:
	s_endpgm
	.section	.rodata,"a",@progbits
	.p2align	6, 0x0
	.amdhsa_kernel _ZN9rocsparseL44csr2gebsr_wavefront_per_row_multipass_kernelILi256ELi8ELi64ELi64E21rocsparse_complex_numIdEEEv20rocsparse_direction_iiiiii21rocsparse_index_base_PKT3_PKiS9_S4_PS5_PiSB_
		.amdhsa_group_segment_fixed_size 32776
		.amdhsa_private_segment_fixed_size 0
		.amdhsa_kernarg_size 88
		.amdhsa_user_sgpr_count 2
		.amdhsa_user_sgpr_dispatch_ptr 0
		.amdhsa_user_sgpr_queue_ptr 0
		.amdhsa_user_sgpr_kernarg_segment_ptr 1
		.amdhsa_user_sgpr_dispatch_id 0
		.amdhsa_user_sgpr_kernarg_preload_length 0
		.amdhsa_user_sgpr_kernarg_preload_offset 0
		.amdhsa_user_sgpr_private_segment_size 0
		.amdhsa_uses_dynamic_stack 0
		.amdhsa_enable_private_segment 0
		.amdhsa_system_sgpr_workgroup_id_x 1
		.amdhsa_system_sgpr_workgroup_id_y 0
		.amdhsa_system_sgpr_workgroup_id_z 0
		.amdhsa_system_sgpr_workgroup_info 0
		.amdhsa_system_vgpr_workitem_id 0
		.amdhsa_next_free_vgpr 58
		.amdhsa_next_free_sgpr 48
		.amdhsa_accum_offset 60
		.amdhsa_reserve_vcc 1
		.amdhsa_float_round_mode_32 0
		.amdhsa_float_round_mode_16_64 0
		.amdhsa_float_denorm_mode_32 3
		.amdhsa_float_denorm_mode_16_64 3
		.amdhsa_dx10_clamp 1
		.amdhsa_ieee_mode 1
		.amdhsa_fp16_overflow 0
		.amdhsa_tg_split 0
		.amdhsa_exception_fp_ieee_invalid_op 0
		.amdhsa_exception_fp_denorm_src 0
		.amdhsa_exception_fp_ieee_div_zero 0
		.amdhsa_exception_fp_ieee_overflow 0
		.amdhsa_exception_fp_ieee_underflow 0
		.amdhsa_exception_fp_ieee_inexact 0
		.amdhsa_exception_int_div_zero 0
	.end_amdhsa_kernel
	.section	.text._ZN9rocsparseL44csr2gebsr_wavefront_per_row_multipass_kernelILi256ELi8ELi64ELi64E21rocsparse_complex_numIdEEEv20rocsparse_direction_iiiiii21rocsparse_index_base_PKT3_PKiS9_S4_PS5_PiSB_,"axG",@progbits,_ZN9rocsparseL44csr2gebsr_wavefront_per_row_multipass_kernelILi256ELi8ELi64ELi64E21rocsparse_complex_numIdEEEv20rocsparse_direction_iiiiii21rocsparse_index_base_PKT3_PKiS9_S4_PS5_PiSB_,comdat
.Lfunc_end203:
	.size	_ZN9rocsparseL44csr2gebsr_wavefront_per_row_multipass_kernelILi256ELi8ELi64ELi64E21rocsparse_complex_numIdEEEv20rocsparse_direction_iiiiii21rocsparse_index_base_PKT3_PKiS9_S4_PS5_PiSB_, .Lfunc_end203-_ZN9rocsparseL44csr2gebsr_wavefront_per_row_multipass_kernelILi256ELi8ELi64ELi64E21rocsparse_complex_numIdEEEv20rocsparse_direction_iiiiii21rocsparse_index_base_PKT3_PKiS9_S4_PS5_PiSB_
                                        ; -- End function
	.section	.AMDGPU.csdata,"",@progbits
; Kernel info:
; codeLenInByte = 2112
; NumSgprs: 54
; NumVgprs: 58
; NumAgprs: 0
; TotalNumVgprs: 58
; ScratchSize: 0
; MemoryBound: 0
; FloatMode: 240
; IeeeMode: 1
; LDSByteSize: 32776 bytes/workgroup (compile time only)
; SGPRBlocks: 6
; VGPRBlocks: 7
; NumSGPRsForWavesPerEU: 54
; NumVGPRsForWavesPerEU: 58
; AccumOffset: 60
; Occupancy: 1
; WaveLimiterHint : 0
; COMPUTE_PGM_RSRC2:SCRATCH_EN: 0
; COMPUTE_PGM_RSRC2:USER_SGPR: 2
; COMPUTE_PGM_RSRC2:TRAP_HANDLER: 0
; COMPUTE_PGM_RSRC2:TGID_X_EN: 1
; COMPUTE_PGM_RSRC2:TGID_Y_EN: 0
; COMPUTE_PGM_RSRC2:TGID_Z_EN: 0
; COMPUTE_PGM_RSRC2:TIDIG_COMP_CNT: 0
; COMPUTE_PGM_RSRC3_GFX90A:ACCUM_OFFSET: 14
; COMPUTE_PGM_RSRC3_GFX90A:TG_SPLIT: 0
	.section	.text._ZN9rocsparseL44csr2gebsr_wavefront_per_row_multipass_kernelILi128ELi8ELi64ELi32E21rocsparse_complex_numIdEEEv20rocsparse_direction_iiiiii21rocsparse_index_base_PKT3_PKiS9_S4_PS5_PiSB_,"axG",@progbits,_ZN9rocsparseL44csr2gebsr_wavefront_per_row_multipass_kernelILi128ELi8ELi64ELi32E21rocsparse_complex_numIdEEEv20rocsparse_direction_iiiiii21rocsparse_index_base_PKT3_PKiS9_S4_PS5_PiSB_,comdat
	.globl	_ZN9rocsparseL44csr2gebsr_wavefront_per_row_multipass_kernelILi128ELi8ELi64ELi32E21rocsparse_complex_numIdEEEv20rocsparse_direction_iiiiii21rocsparse_index_base_PKT3_PKiS9_S4_PS5_PiSB_ ; -- Begin function _ZN9rocsparseL44csr2gebsr_wavefront_per_row_multipass_kernelILi128ELi8ELi64ELi32E21rocsparse_complex_numIdEEEv20rocsparse_direction_iiiiii21rocsparse_index_base_PKT3_PKiS9_S4_PS5_PiSB_
	.p2align	8
	.type	_ZN9rocsparseL44csr2gebsr_wavefront_per_row_multipass_kernelILi128ELi8ELi64ELi32E21rocsparse_complex_numIdEEEv20rocsparse_direction_iiiiii21rocsparse_index_base_PKT3_PKiS9_S4_PS5_PiSB_,@function
_ZN9rocsparseL44csr2gebsr_wavefront_per_row_multipass_kernelILi128ELi8ELi64ELi32E21rocsparse_complex_numIdEEEv20rocsparse_direction_iiiiii21rocsparse_index_base_PKT3_PKiS9_S4_PS5_PiSB_: ; @_ZN9rocsparseL44csr2gebsr_wavefront_per_row_multipass_kernelILi128ELi8ELi64ELi32E21rocsparse_complex_numIdEEEv20rocsparse_direction_iiiiii21rocsparse_index_base_PKT3_PKiS9_S4_PS5_PiSB_
; %bb.0:
	s_load_dwordx2 s[4:5], s[0:1], 0x0
	s_load_dwordx4 s[36:39], s[0:1], 0xc
	s_load_dword s33, s[0:1], 0x1c
	s_load_dwordx2 s[6:7], s[0:1], 0x28
	v_lshrrev_b32_e32 v48, 5, v0
	v_bfe_u32 v2, v0, 2, 3
	v_lshl_or_b32 v6, s2, 2, v48
	s_waitcnt lgkmcnt(0)
	v_mad_u64_u32 v[4:5], s[2:3], v6, s38, v[2:3]
	v_cmp_gt_i32_e64 s[2:3], s5, v4
	v_cmp_gt_i32_e32 vcc, s38, v2
	s_and_b64 s[2:3], vcc, s[2:3]
	v_mov_b32_e32 v49, 0
	v_mov_b32_e32 v46, 0
	s_and_saveexec_b64 s[8:9], s[2:3]
	s_cbranch_execz .LBB204_2
; %bb.1:
	v_ashrrev_i32_e32 v5, 31, v4
	v_lshl_add_u64 v[8:9], v[4:5], 2, s[6:7]
	global_load_dword v1, v[8:9], off
	s_waitcnt vmcnt(0)
	v_subrev_u32_e32 v46, s33, v1
.LBB204_2:
	s_or_b64 exec, exec, s[8:9]
	s_and_saveexec_b64 s[8:9], s[2:3]
	s_cbranch_execz .LBB204_4
; %bb.3:
	v_ashrrev_i32_e32 v5, 31, v4
	v_lshl_add_u64 v[4:5], v[4:5], 2, s[6:7]
	global_load_dword v1, v[4:5], off offset:4
	s_waitcnt vmcnt(0)
	v_subrev_u32_e32 v49, s33, v1
.LBB204_4:
	s_or_b64 exec, exec, s[8:9]
	s_load_dword s56, s[0:1], 0x38
	v_cmp_gt_i32_e64 s[2:3], s36, v6
	v_mov_b32_e32 v4, 0
	s_and_saveexec_b64 s[6:7], s[2:3]
	s_cbranch_execz .LBB204_6
; %bb.5:
	s_load_dwordx2 s[2:3], s[0:1], 0x48
	v_ashrrev_i32_e32 v7, 31, v6
	s_waitcnt lgkmcnt(0)
	v_lshl_add_u64 v[4:5], v[6:7], 2, s[2:3]
	global_load_dword v1, v[4:5], off
	s_waitcnt vmcnt(0)
	v_subrev_u32_e32 v4, s56, v1
.LBB204_6:
	s_or_b64 exec, exec, s[6:7]
	s_cmp_lt_i32 s37, 1
	s_cbranch_scc1 .LBB204_102
; %bb.7:
	v_and_b32_e32 v50, 3, v0
	v_lshlrev_b32_e32 v0, 9, v48
	s_load_dwordx2 s[34:35], s[0:1], 0x20
	s_load_dwordx2 s[40:41], s[0:1], 0x50
	;; [unrolled: 1-line block ×4, first 2 shown]
	v_lshl_or_b32 v51, v2, 6, v0
	v_mbcnt_lo_u32_b32 v0, -1, 0
	v_mbcnt_hi_u32_b32 v0, -1, v0
	v_lshlrev_b32_e32 v3, 2, v0
	v_mul_lo_u32 v0, v2, s39
	v_mov_b32_e32 v7, 0
	s_cmp_lg_u32 s4, 0
	v_lshlrev_b32_e32 v6, 4, v2
	v_ashrrev_i32_e32 v1, 31, v0
	s_cselect_b64 s[44:45], -1, 0
	s_ashr_i32 s36, s39, 31
	s_waitcnt lgkmcnt(0)
	v_lshl_add_u64 v[8:9], s[2:3], 0, v[6:7]
	v_lshl_add_u64 v[0:1], v[0:1], 4, s[2:3]
	v_lshlrev_b32_e32 v6, 4, v50
	s_mul_hi_u32 s0, s39, s38
	s_mul_i32 s1, s36, s38
	s_mul_i32 s58, s39, s38
	v_lshl_add_u64 v[10:11], v[0:1], 0, v[6:7]
	v_mul_lo_u32 v6, v50, s38
	s_lshl_b32 s38, s38, 2
	v_or_b32_e32 v0, 4, v50
	v_add_u32_e32 v12, s38, v6
	v_cmp_gt_u32_e64 s[2:3], s39, v0
	v_or_b32_e32 v0, 8, v50
	v_add_u32_e32 v14, s38, v12
	v_cmp_gt_u32_e64 s[4:5], s39, v0
	;; [unrolled: 3-line block ×14, first 2 shown]
	v_or_b32_e32 v0, 60, v50
	v_add_u32_e32 v40, s38, v38
	s_abs_i32 s38, s39
	v_cmp_gt_u32_e64 s[30:31], s39, v0
	v_cvt_f32_u32_e32 v0, s38
	s_add_i32 s57, s0, s1
	v_cmp_gt_u32_e64 s[0:1], s39, v50
	s_and_b64 s[46:47], s[0:1], vcc
	v_rcp_iflag_f32_e32 v0, v0
	s_sub_i32 s0, 0, s38
	v_or_b32_e32 v5, v51, v50
	v_lshlrev_b32_e32 v54, 4, v5
	v_mul_f32_e32 v0, 0x4f7ffffe, v0
	v_cvt_u32_f32_e32 v0, v0
	v_cndmask_b32_e64 v5, 0, 1, s[44:45]
	v_or_b32_e32 v52, 12, v3
	v_or_b32_e32 v53, 0x7c, v3
	v_mul_lo_u32 v1, s0, v0
	v_mul_hi_u32 v1, v0, v1
	v_or_b32_e32 v55, 64, v54
	v_mov_b32_e32 v13, v7
	v_or_b32_e32 v56, 0x80, v54
	v_mov_b32_e32 v15, v7
	;; [unrolled: 2-line block ×15, first 2 shown]
	s_and_b64 s[48:49], vcc, s[2:3]
	s_and_b64 s[4:5], vcc, s[4:5]
	;; [unrolled: 1-line block ×15, first 2 shown]
	v_add_u32_e32 v70, v0, v1
	v_or_b32_e32 v71, -4, v50
	s_mov_b64 s[50:51], 0
	v_mov_b32_e32 v0, v7
	v_mov_b32_e32 v1, v7
	;; [unrolled: 1-line block ×4, first 2 shown]
	v_cmp_ne_u32_e64 s[0:1], 1, v5
	v_mov_b32_e32 v72, 1
	v_mov_b32_e32 v5, v7
	s_branch .LBB204_11
.LBB204_8:                              ;   in Loop: Header=BB204_11 Depth=1
	v_mov_b32_e32 v47, s59
.LBB204_9:                              ;   in Loop: Header=BB204_11 Depth=1
	s_or_b64 exec, exec, s[52:53]
.LBB204_10:                             ;   in Loop: Header=BB204_11 Depth=1
	s_or_b64 exec, exec, s[2:3]
	v_mov_b32_dpp v5, v73 row_shr:1 row_mask:0xf bank_mask:0xf
	v_min_i32_e32 v5, v5, v73
	v_add_u32_e32 v4, v47, v4
	s_waitcnt lgkmcnt(0)
	v_mov_b32_dpp v42, v5 row_shr:2 row_mask:0xf bank_mask:0xf
	v_min_i32_e32 v5, v42, v5
	s_nop 1
	v_mov_b32_dpp v42, v5 row_shr:4 row_mask:0xf bank_mask:0xe
	v_min_i32_e32 v5, v42, v5
	s_nop 1
	;; [unrolled: 3-line block ×3, first 2 shown]
	v_mov_b32_dpp v42, v5 row_bcast:15 row_mask:0xa bank_mask:0xf
	v_min_i32_e32 v5, v42, v5
	ds_bpermute_b32 v5, v53, v5
	s_waitcnt lgkmcnt(0)
	v_cmp_le_i32_e32 vcc, s37, v5
	s_or_b64 s[50:51], vcc, s[50:51]
	s_andn2_b64 exec, exec, s[50:51]
	s_cbranch_execz .LBB204_102
.LBB204_11:                             ; =>This Loop Header: Depth=1
                                        ;     Child Loop BB204_12 Depth 2
                                        ;     Child Loop BB204_16 Depth 2
	s_mov_b64 s[2:3], 0
	v_mov_b32_e32 v42, v54
	v_mov_b32_e32 v43, v71
	ds_write_b8 v48, v7 offset:32768
.LBB204_12:                             ;   Parent Loop BB204_11 Depth=1
                                        ; =>  This Inner Loop Header: Depth=2
	v_add_u32_e32 v43, 4, v43
	v_cmp_lt_u32_e32 vcc, 59, v43
	ds_write_b128 v42, v[0:3]
	s_or_b64 s[2:3], vcc, s[2:3]
	v_add_u32_e32 v42, 64, v42
	s_andn2_b64 exec, exec, s[2:3]
	s_cbranch_execnz .LBB204_12
; %bb.13:                               ;   in Loop: Header=BB204_11 Depth=1
	s_or_b64 exec, exec, s[2:3]
	v_add_u32_e32 v42, v46, v50
	v_cmp_lt_i32_e32 vcc, v42, v49
	v_mov_b32_e32 v73, s37
	v_mov_b32_e32 v43, v49
	s_waitcnt lgkmcnt(0)
	s_and_saveexec_b64 s[52:53], vcc
	s_cbranch_execz .LBB204_21
; %bb.14:                               ;   in Loop: Header=BB204_11 Depth=1
	v_ashrrev_i32_e32 v43, 31, v42
	v_mul_lo_u32 v74, v5, s39
	v_lshl_add_u64 v[44:45], v[42:43], 2, s[42:43]
	v_lshl_add_u64 v[46:47], v[42:43], 4, s[34:35]
	s_mov_b64 s[54:55], 0
	v_mov_b32_e32 v73, s37
	v_mov_b32_e32 v43, v49
	s_branch .LBB204_16
.LBB204_15:                             ;   in Loop: Header=BB204_16 Depth=2
	s_or_b64 exec, exec, s[2:3]
	v_add_u32_e32 v42, 4, v42
	v_cmp_ge_i32_e64 s[2:3], v42, v49
	s_xor_b64 s[60:61], vcc, -1
	s_or_b64 s[2:3], s[60:61], s[2:3]
	s_and_b64 s[2:3], exec, s[2:3]
	v_lshl_add_u64 v[44:45], v[44:45], 0, 16
	s_or_b64 s[54:55], s[2:3], s[54:55]
	v_lshl_add_u64 v[46:47], v[46:47], 0, 64
	s_andn2_b64 exec, exec, s[54:55]
	s_cbranch_execz .LBB204_20
.LBB204_16:                             ;   Parent Loop BB204_11 Depth=1
                                        ; =>  This Inner Loop Header: Depth=2
	global_load_dword v75, v[44:45], off
	s_waitcnt vmcnt(0)
	v_subrev_u32_e32 v75, s33, v75
	v_sub_u32_e32 v77, 0, v75
	v_max_i32_e32 v77, v75, v77
	v_mul_hi_u32 v78, v77, v70
	v_mul_lo_u32 v79, v78, s38
	v_sub_u32_e32 v77, v77, v79
	v_add_u32_e32 v80, 1, v78
	v_cmp_le_u32_e32 vcc, s38, v77
	v_subrev_u32_e32 v79, s38, v77
	v_ashrrev_i32_e32 v76, 31, v75
	v_cndmask_b32_e32 v78, v78, v80, vcc
	v_cndmask_b32_e32 v77, v77, v79, vcc
	v_add_u32_e32 v79, 1, v78
	v_cmp_le_u32_e32 vcc, s38, v77
	v_xor_b32_e32 v76, s36, v76
	s_nop 0
	v_cndmask_b32_e32 v77, v78, v79, vcc
	v_xor_b32_e32 v77, v77, v76
	v_sub_u32_e32 v77, v77, v76
	v_cmp_eq_u32_e32 vcc, v77, v5
	v_cmp_ne_u32_e64 s[2:3], v77, v5
	v_mov_b32_e32 v76, v43
	s_and_saveexec_b64 s[60:61], s[2:3]
	s_xor_b64 s[2:3], exec, s[60:61]
; %bb.17:                               ;   in Loop: Header=BB204_16 Depth=2
	v_min_i32_e32 v73, v77, v73
                                        ; implicit-def: $vgpr75
                                        ; implicit-def: $vgpr76
; %bb.18:                               ;   in Loop: Header=BB204_16 Depth=2
	s_or_saveexec_b64 s[2:3], s[2:3]
	v_mov_b32_e32 v43, v42
	s_xor_b64 exec, exec, s[2:3]
	s_cbranch_execz .LBB204_15
; %bb.19:                               ;   in Loop: Header=BB204_16 Depth=2
	global_load_dwordx4 v[78:81], v[46:47], off
	v_sub_u32_e32 v43, v75, v74
	v_add_lshl_u32 v43, v51, v43, 4
	ds_write_b8 v48, v72 offset:32768
	s_waitcnt vmcnt(0)
	ds_write2_b64 v43, v[78:79], v[80:81] offset1:1
	v_mov_b32_e32 v43, v76
	s_branch .LBB204_15
.LBB204_20:                             ;   in Loop: Header=BB204_11 Depth=1
	s_or_b64 exec, exec, s[54:55]
.LBB204_21:                             ;   in Loop: Header=BB204_11 Depth=1
	s_or_b64 exec, exec, s[52:53]
	v_mov_b32_dpp v42, v43 row_shr:1 row_mask:0xf bank_mask:0xf
	v_min_i32_e32 v42, v42, v43
	s_waitcnt lgkmcnt(0)
	ds_read_u8 v43, v48 offset:32768
	v_mov_b32_dpp v44, v42 row_shr:2 row_mask:0xf bank_mask:0xf
	v_min_i32_e32 v42, v44, v42
	ds_bpermute_b32 v46, v52, v42
	v_mov_b32_e32 v47, 0
	s_waitcnt lgkmcnt(1)
	v_and_b32_e32 v42, 1, v43
	v_cmp_eq_u32_e32 vcc, 1, v42
	s_and_saveexec_b64 s[2:3], vcc
	s_cbranch_execz .LBB204_10
; %bb.22:                               ;   in Loop: Header=BB204_11 Depth=1
	v_add_u32_e32 v44, s56, v5
	v_ashrrev_i32_e32 v5, 31, v4
	v_lshl_add_u64 v[42:43], v[4:5], 2, s[40:41]
	global_store_dword v[42:43], v44, off
	v_mul_lo_u32 v44, s57, v4
	v_mul_lo_u32 v5, s58, v5
	v_mad_u64_u32 v[42:43], s[52:53], s58, v4, 0
	v_add3_u32 v43, v43, v5, v44
	v_lshlrev_b64 v[42:43], 4, v[42:43]
	v_lshl_add_u64 v[44:45], v[8:9], 0, v[42:43]
	v_lshl_add_u64 v[42:43], v[10:11], 0, v[42:43]
	s_and_saveexec_b64 s[52:53], s[46:47]
	s_cbranch_execz .LBB204_26
; %bb.23:                               ;   in Loop: Header=BB204_11 Depth=1
	s_and_b64 vcc, exec, s[44:45]
	s_cbranch_vccz .LBB204_85
; %bb.24:                               ;   in Loop: Header=BB204_11 Depth=1
	ds_read2_b64 v[74:77], v54 offset1:1
	v_lshl_add_u64 v[78:79], v[6:7], 4, v[44:45]
	s_waitcnt lgkmcnt(0)
	global_store_dwordx4 v[78:79], v[74:77], off
	s_cbranch_execnz .LBB204_26
.LBB204_25:                             ;   in Loop: Header=BB204_11 Depth=1
	ds_read2_b64 v[74:77], v54 offset1:1
	s_waitcnt lgkmcnt(0)
	global_store_dwordx4 v[42:43], v[74:77], off
.LBB204_26:                             ;   in Loop: Header=BB204_11 Depth=1
	s_or_b64 exec, exec, s[52:53]
	s_and_saveexec_b64 s[52:53], s[48:49]
	s_cbranch_execz .LBB204_30
; %bb.27:                               ;   in Loop: Header=BB204_11 Depth=1
	s_and_b64 vcc, exec, s[0:1]
	s_cbranch_vccnz .LBB204_86
; %bb.28:                               ;   in Loop: Header=BB204_11 Depth=1
	ds_read2_b64 v[74:77], v55 offset1:1
	v_lshl_add_u64 v[78:79], v[12:13], 4, v[44:45]
	s_waitcnt lgkmcnt(0)
	global_store_dwordx4 v[78:79], v[74:77], off
	s_cbranch_execnz .LBB204_30
.LBB204_29:                             ;   in Loop: Header=BB204_11 Depth=1
	ds_read2_b64 v[74:77], v55 offset1:1
	s_waitcnt lgkmcnt(0)
	global_store_dwordx4 v[42:43], v[74:77], off offset:64
.LBB204_30:                             ;   in Loop: Header=BB204_11 Depth=1
	s_or_b64 exec, exec, s[52:53]
	s_and_saveexec_b64 s[52:53], s[4:5]
	s_cbranch_execz .LBB204_34
; %bb.31:                               ;   in Loop: Header=BB204_11 Depth=1
	s_and_b64 vcc, exec, s[0:1]
	s_cbranch_vccnz .LBB204_87
; %bb.32:                               ;   in Loop: Header=BB204_11 Depth=1
	ds_read2_b64 v[74:77], v56 offset1:1
	v_lshl_add_u64 v[78:79], v[14:15], 4, v[44:45]
	s_waitcnt lgkmcnt(0)
	global_store_dwordx4 v[78:79], v[74:77], off
	s_cbranch_execnz .LBB204_34
.LBB204_33:                             ;   in Loop: Header=BB204_11 Depth=1
	ds_read2_b64 v[74:77], v56 offset1:1
	s_waitcnt lgkmcnt(0)
	global_store_dwordx4 v[42:43], v[74:77], off offset:128
.LBB204_34:                             ;   in Loop: Header=BB204_11 Depth=1
	s_or_b64 exec, exec, s[52:53]
	s_and_saveexec_b64 s[52:53], s[6:7]
	s_cbranch_execz .LBB204_38
; %bb.35:                               ;   in Loop: Header=BB204_11 Depth=1
	s_and_b64 vcc, exec, s[0:1]
	s_cbranch_vccnz .LBB204_88
; %bb.36:                               ;   in Loop: Header=BB204_11 Depth=1
	ds_read2_b64 v[74:77], v57 offset1:1
	v_lshl_add_u64 v[78:79], v[16:17], 4, v[44:45]
	s_waitcnt lgkmcnt(0)
	global_store_dwordx4 v[78:79], v[74:77], off
	s_cbranch_execnz .LBB204_38
.LBB204_37:                             ;   in Loop: Header=BB204_11 Depth=1
	ds_read2_b64 v[74:77], v57 offset1:1
	s_waitcnt lgkmcnt(0)
	global_store_dwordx4 v[42:43], v[74:77], off offset:192
.LBB204_38:                             ;   in Loop: Header=BB204_11 Depth=1
	s_or_b64 exec, exec, s[52:53]
	s_and_saveexec_b64 s[52:53], s[8:9]
	s_cbranch_execz .LBB204_42
; %bb.39:                               ;   in Loop: Header=BB204_11 Depth=1
	s_and_b64 vcc, exec, s[0:1]
	s_cbranch_vccnz .LBB204_89
; %bb.40:                               ;   in Loop: Header=BB204_11 Depth=1
	ds_read2_b64 v[74:77], v58 offset1:1
	v_lshl_add_u64 v[78:79], v[18:19], 4, v[44:45]
	s_waitcnt lgkmcnt(0)
	global_store_dwordx4 v[78:79], v[74:77], off
	s_cbranch_execnz .LBB204_42
.LBB204_41:                             ;   in Loop: Header=BB204_11 Depth=1
	ds_read2_b64 v[74:77], v58 offset1:1
	s_waitcnt lgkmcnt(0)
	global_store_dwordx4 v[42:43], v[74:77], off offset:256
.LBB204_42:                             ;   in Loop: Header=BB204_11 Depth=1
	s_or_b64 exec, exec, s[52:53]
	s_and_saveexec_b64 s[52:53], s[10:11]
	s_cbranch_execz .LBB204_46
; %bb.43:                               ;   in Loop: Header=BB204_11 Depth=1
	s_and_b64 vcc, exec, s[0:1]
	s_cbranch_vccnz .LBB204_90
; %bb.44:                               ;   in Loop: Header=BB204_11 Depth=1
	ds_read2_b64 v[74:77], v59 offset1:1
	v_lshl_add_u64 v[78:79], v[20:21], 4, v[44:45]
	s_waitcnt lgkmcnt(0)
	global_store_dwordx4 v[78:79], v[74:77], off
	s_cbranch_execnz .LBB204_46
.LBB204_45:                             ;   in Loop: Header=BB204_11 Depth=1
	ds_read2_b64 v[74:77], v59 offset1:1
	s_waitcnt lgkmcnt(0)
	global_store_dwordx4 v[42:43], v[74:77], off offset:320
.LBB204_46:                             ;   in Loop: Header=BB204_11 Depth=1
	s_or_b64 exec, exec, s[52:53]
	s_and_saveexec_b64 s[52:53], s[12:13]
	s_cbranch_execz .LBB204_50
; %bb.47:                               ;   in Loop: Header=BB204_11 Depth=1
	s_and_b64 vcc, exec, s[0:1]
	s_cbranch_vccnz .LBB204_91
; %bb.48:                               ;   in Loop: Header=BB204_11 Depth=1
	ds_read2_b64 v[74:77], v60 offset1:1
	v_lshl_add_u64 v[78:79], v[22:23], 4, v[44:45]
	s_waitcnt lgkmcnt(0)
	global_store_dwordx4 v[78:79], v[74:77], off
	s_cbranch_execnz .LBB204_50
.LBB204_49:                             ;   in Loop: Header=BB204_11 Depth=1
	ds_read2_b64 v[74:77], v60 offset1:1
	s_waitcnt lgkmcnt(0)
	global_store_dwordx4 v[42:43], v[74:77], off offset:384
.LBB204_50:                             ;   in Loop: Header=BB204_11 Depth=1
	s_or_b64 exec, exec, s[52:53]
	s_and_saveexec_b64 s[52:53], s[14:15]
	s_cbranch_execz .LBB204_54
; %bb.51:                               ;   in Loop: Header=BB204_11 Depth=1
	s_and_b64 vcc, exec, s[0:1]
	s_cbranch_vccnz .LBB204_92
; %bb.52:                               ;   in Loop: Header=BB204_11 Depth=1
	ds_read2_b64 v[74:77], v61 offset1:1
	v_lshl_add_u64 v[78:79], v[24:25], 4, v[44:45]
	s_waitcnt lgkmcnt(0)
	global_store_dwordx4 v[78:79], v[74:77], off
	s_cbranch_execnz .LBB204_54
.LBB204_53:                             ;   in Loop: Header=BB204_11 Depth=1
	ds_read2_b64 v[74:77], v61 offset1:1
	s_waitcnt lgkmcnt(0)
	global_store_dwordx4 v[42:43], v[74:77], off offset:448
.LBB204_54:                             ;   in Loop: Header=BB204_11 Depth=1
	s_or_b64 exec, exec, s[52:53]
	s_and_saveexec_b64 s[52:53], s[16:17]
	s_cbranch_execz .LBB204_58
; %bb.55:                               ;   in Loop: Header=BB204_11 Depth=1
	s_and_b64 vcc, exec, s[0:1]
	s_cbranch_vccnz .LBB204_93
; %bb.56:                               ;   in Loop: Header=BB204_11 Depth=1
	ds_read2_b64 v[74:77], v62 offset1:1
	v_lshl_add_u64 v[78:79], v[26:27], 4, v[44:45]
	s_waitcnt lgkmcnt(0)
	global_store_dwordx4 v[78:79], v[74:77], off
	s_cbranch_execnz .LBB204_58
.LBB204_57:                             ;   in Loop: Header=BB204_11 Depth=1
	ds_read2_b64 v[74:77], v62 offset1:1
	s_waitcnt lgkmcnt(0)
	global_store_dwordx4 v[42:43], v[74:77], off offset:512
.LBB204_58:                             ;   in Loop: Header=BB204_11 Depth=1
	s_or_b64 exec, exec, s[52:53]
	s_and_saveexec_b64 s[52:53], s[18:19]
	s_cbranch_execz .LBB204_62
; %bb.59:                               ;   in Loop: Header=BB204_11 Depth=1
	s_and_b64 vcc, exec, s[0:1]
	s_cbranch_vccnz .LBB204_94
; %bb.60:                               ;   in Loop: Header=BB204_11 Depth=1
	ds_read2_b64 v[74:77], v63 offset1:1
	v_lshl_add_u64 v[78:79], v[28:29], 4, v[44:45]
	s_waitcnt lgkmcnt(0)
	global_store_dwordx4 v[78:79], v[74:77], off
	s_cbranch_execnz .LBB204_62
.LBB204_61:                             ;   in Loop: Header=BB204_11 Depth=1
	ds_read2_b64 v[74:77], v63 offset1:1
	s_waitcnt lgkmcnt(0)
	global_store_dwordx4 v[42:43], v[74:77], off offset:576
.LBB204_62:                             ;   in Loop: Header=BB204_11 Depth=1
	s_or_b64 exec, exec, s[52:53]
	s_and_saveexec_b64 s[52:53], s[20:21]
	s_cbranch_execz .LBB204_66
; %bb.63:                               ;   in Loop: Header=BB204_11 Depth=1
	s_and_b64 vcc, exec, s[0:1]
	s_cbranch_vccnz .LBB204_95
; %bb.64:                               ;   in Loop: Header=BB204_11 Depth=1
	ds_read2_b64 v[74:77], v64 offset1:1
	v_lshl_add_u64 v[78:79], v[30:31], 4, v[44:45]
	s_waitcnt lgkmcnt(0)
	global_store_dwordx4 v[78:79], v[74:77], off
	s_cbranch_execnz .LBB204_66
.LBB204_65:                             ;   in Loop: Header=BB204_11 Depth=1
	ds_read2_b64 v[74:77], v64 offset1:1
	s_waitcnt lgkmcnt(0)
	global_store_dwordx4 v[42:43], v[74:77], off offset:640
.LBB204_66:                             ;   in Loop: Header=BB204_11 Depth=1
	s_or_b64 exec, exec, s[52:53]
	s_and_saveexec_b64 s[52:53], s[22:23]
	s_cbranch_execz .LBB204_70
; %bb.67:                               ;   in Loop: Header=BB204_11 Depth=1
	s_and_b64 vcc, exec, s[0:1]
	s_cbranch_vccnz .LBB204_96
; %bb.68:                               ;   in Loop: Header=BB204_11 Depth=1
	ds_read2_b64 v[74:77], v65 offset1:1
	v_lshl_add_u64 v[78:79], v[32:33], 4, v[44:45]
	s_waitcnt lgkmcnt(0)
	global_store_dwordx4 v[78:79], v[74:77], off
	s_cbranch_execnz .LBB204_70
.LBB204_69:                             ;   in Loop: Header=BB204_11 Depth=1
	ds_read2_b64 v[74:77], v65 offset1:1
	s_waitcnt lgkmcnt(0)
	global_store_dwordx4 v[42:43], v[74:77], off offset:704
.LBB204_70:                             ;   in Loop: Header=BB204_11 Depth=1
	s_or_b64 exec, exec, s[52:53]
	s_and_saveexec_b64 s[52:53], s[24:25]
	s_cbranch_execz .LBB204_74
; %bb.71:                               ;   in Loop: Header=BB204_11 Depth=1
	s_and_b64 vcc, exec, s[0:1]
	s_cbranch_vccnz .LBB204_97
; %bb.72:                               ;   in Loop: Header=BB204_11 Depth=1
	ds_read2_b64 v[74:77], v66 offset1:1
	v_lshl_add_u64 v[78:79], v[34:35], 4, v[44:45]
	s_waitcnt lgkmcnt(0)
	global_store_dwordx4 v[78:79], v[74:77], off
	s_cbranch_execnz .LBB204_74
.LBB204_73:                             ;   in Loop: Header=BB204_11 Depth=1
	ds_read2_b64 v[74:77], v66 offset1:1
	s_waitcnt lgkmcnt(0)
	global_store_dwordx4 v[42:43], v[74:77], off offset:768
.LBB204_74:                             ;   in Loop: Header=BB204_11 Depth=1
	s_or_b64 exec, exec, s[52:53]
	s_and_saveexec_b64 s[52:53], s[26:27]
	s_cbranch_execz .LBB204_78
; %bb.75:                               ;   in Loop: Header=BB204_11 Depth=1
	s_and_b64 vcc, exec, s[0:1]
	s_cbranch_vccnz .LBB204_98
; %bb.76:                               ;   in Loop: Header=BB204_11 Depth=1
	ds_read2_b64 v[74:77], v67 offset1:1
	v_lshl_add_u64 v[78:79], v[36:37], 4, v[44:45]
	s_waitcnt lgkmcnt(0)
	global_store_dwordx4 v[78:79], v[74:77], off
	s_cbranch_execnz .LBB204_78
.LBB204_77:                             ;   in Loop: Header=BB204_11 Depth=1
	ds_read2_b64 v[74:77], v67 offset1:1
	s_waitcnt lgkmcnt(0)
	global_store_dwordx4 v[42:43], v[74:77], off offset:832
.LBB204_78:                             ;   in Loop: Header=BB204_11 Depth=1
	s_or_b64 exec, exec, s[52:53]
	s_and_saveexec_b64 s[52:53], s[28:29]
	s_cbranch_execz .LBB204_82
; %bb.79:                               ;   in Loop: Header=BB204_11 Depth=1
	s_and_b64 vcc, exec, s[0:1]
	s_cbranch_vccnz .LBB204_99
; %bb.80:                               ;   in Loop: Header=BB204_11 Depth=1
	ds_read2_b64 v[74:77], v68 offset1:1
	v_lshl_add_u64 v[78:79], v[38:39], 4, v[44:45]
	s_waitcnt lgkmcnt(0)
	global_store_dwordx4 v[78:79], v[74:77], off
	s_cbranch_execnz .LBB204_82
.LBB204_81:                             ;   in Loop: Header=BB204_11 Depth=1
	ds_read2_b64 v[74:77], v68 offset1:1
	s_waitcnt lgkmcnt(0)
	global_store_dwordx4 v[42:43], v[74:77], off offset:896
.LBB204_82:                             ;   in Loop: Header=BB204_11 Depth=1
	s_or_b64 exec, exec, s[52:53]
	v_mov_b32_e32 v47, 1
	s_and_saveexec_b64 s[52:53], s[30:31]
	s_cbranch_execz .LBB204_9
; %bb.83:                               ;   in Loop: Header=BB204_11 Depth=1
	s_and_b64 vcc, exec, s[0:1]
	s_cbranch_vccnz .LBB204_100
; %bb.84:                               ;   in Loop: Header=BB204_11 Depth=1
	ds_read2_b64 v[74:77], v69 offset1:1
	v_lshl_add_u64 v[44:45], v[40:41], 4, v[44:45]
	s_mov_b32 s59, 1
	s_waitcnt lgkmcnt(0)
	global_store_dwordx4 v[44:45], v[74:77], off
	s_cbranch_execnz .LBB204_8
	s_branch .LBB204_101
.LBB204_85:                             ;   in Loop: Header=BB204_11 Depth=1
	s_branch .LBB204_25
.LBB204_86:                             ;   in Loop: Header=BB204_11 Depth=1
	s_branch .LBB204_29
.LBB204_87:                             ;   in Loop: Header=BB204_11 Depth=1
	s_branch .LBB204_33
.LBB204_88:                             ;   in Loop: Header=BB204_11 Depth=1
	s_branch .LBB204_37
.LBB204_89:                             ;   in Loop: Header=BB204_11 Depth=1
	s_branch .LBB204_41
.LBB204_90:                             ;   in Loop: Header=BB204_11 Depth=1
	s_branch .LBB204_45
.LBB204_91:                             ;   in Loop: Header=BB204_11 Depth=1
	s_branch .LBB204_49
.LBB204_92:                             ;   in Loop: Header=BB204_11 Depth=1
	s_branch .LBB204_53
.LBB204_93:                             ;   in Loop: Header=BB204_11 Depth=1
	s_branch .LBB204_57
.LBB204_94:                             ;   in Loop: Header=BB204_11 Depth=1
	s_branch .LBB204_61
.LBB204_95:                             ;   in Loop: Header=BB204_11 Depth=1
	s_branch .LBB204_65
.LBB204_96:                             ;   in Loop: Header=BB204_11 Depth=1
	s_branch .LBB204_69
.LBB204_97:                             ;   in Loop: Header=BB204_11 Depth=1
	s_branch .LBB204_73
.LBB204_98:                             ;   in Loop: Header=BB204_11 Depth=1
	s_branch .LBB204_77
.LBB204_99:                             ;   in Loop: Header=BB204_11 Depth=1
	s_branch .LBB204_81
.LBB204_100:                            ;   in Loop: Header=BB204_11 Depth=1
                                        ; implicit-def: $sgpr59
.LBB204_101:                            ;   in Loop: Header=BB204_11 Depth=1
	ds_read2_b64 v[74:77], v69 offset1:1
	s_mov_b32 s59, 1
	s_waitcnt lgkmcnt(0)
	global_store_dwordx4 v[42:43], v[74:77], off offset:960
	s_branch .LBB204_8
.LBB204_102:
	s_endpgm
	.section	.rodata,"a",@progbits
	.p2align	6, 0x0
	.amdhsa_kernel _ZN9rocsparseL44csr2gebsr_wavefront_per_row_multipass_kernelILi128ELi8ELi64ELi32E21rocsparse_complex_numIdEEEv20rocsparse_direction_iiiiii21rocsparse_index_base_PKT3_PKiS9_S4_PS5_PiSB_
		.amdhsa_group_segment_fixed_size 32776
		.amdhsa_private_segment_fixed_size 0
		.amdhsa_kernarg_size 88
		.amdhsa_user_sgpr_count 2
		.amdhsa_user_sgpr_dispatch_ptr 0
		.amdhsa_user_sgpr_queue_ptr 0
		.amdhsa_user_sgpr_kernarg_segment_ptr 1
		.amdhsa_user_sgpr_dispatch_id 0
		.amdhsa_user_sgpr_kernarg_preload_length 0
		.amdhsa_user_sgpr_kernarg_preload_offset 0
		.amdhsa_user_sgpr_private_segment_size 0
		.amdhsa_uses_dynamic_stack 0
		.amdhsa_enable_private_segment 0
		.amdhsa_system_sgpr_workgroup_id_x 1
		.amdhsa_system_sgpr_workgroup_id_y 0
		.amdhsa_system_sgpr_workgroup_id_z 0
		.amdhsa_system_sgpr_workgroup_info 0
		.amdhsa_system_vgpr_workitem_id 0
		.amdhsa_next_free_vgpr 82
		.amdhsa_next_free_sgpr 62
		.amdhsa_accum_offset 84
		.amdhsa_reserve_vcc 1
		.amdhsa_float_round_mode_32 0
		.amdhsa_float_round_mode_16_64 0
		.amdhsa_float_denorm_mode_32 3
		.amdhsa_float_denorm_mode_16_64 3
		.amdhsa_dx10_clamp 1
		.amdhsa_ieee_mode 1
		.amdhsa_fp16_overflow 0
		.amdhsa_tg_split 0
		.amdhsa_exception_fp_ieee_invalid_op 0
		.amdhsa_exception_fp_denorm_src 0
		.amdhsa_exception_fp_ieee_div_zero 0
		.amdhsa_exception_fp_ieee_overflow 0
		.amdhsa_exception_fp_ieee_underflow 0
		.amdhsa_exception_fp_ieee_inexact 0
		.amdhsa_exception_int_div_zero 0
	.end_amdhsa_kernel
	.section	.text._ZN9rocsparseL44csr2gebsr_wavefront_per_row_multipass_kernelILi128ELi8ELi64ELi32E21rocsparse_complex_numIdEEEv20rocsparse_direction_iiiiii21rocsparse_index_base_PKT3_PKiS9_S4_PS5_PiSB_,"axG",@progbits,_ZN9rocsparseL44csr2gebsr_wavefront_per_row_multipass_kernelILi128ELi8ELi64ELi32E21rocsparse_complex_numIdEEEv20rocsparse_direction_iiiiii21rocsparse_index_base_PKT3_PKiS9_S4_PS5_PiSB_,comdat
.Lfunc_end204:
	.size	_ZN9rocsparseL44csr2gebsr_wavefront_per_row_multipass_kernelILi128ELi8ELi64ELi32E21rocsparse_complex_numIdEEEv20rocsparse_direction_iiiiii21rocsparse_index_base_PKT3_PKiS9_S4_PS5_PiSB_, .Lfunc_end204-_ZN9rocsparseL44csr2gebsr_wavefront_per_row_multipass_kernelILi128ELi8ELi64ELi32E21rocsparse_complex_numIdEEEv20rocsparse_direction_iiiiii21rocsparse_index_base_PKT3_PKiS9_S4_PS5_PiSB_
                                        ; -- End function
	.section	.AMDGPU.csdata,"",@progbits
; Kernel info:
; codeLenInByte = 2896
; NumSgprs: 68
; NumVgprs: 82
; NumAgprs: 0
; TotalNumVgprs: 82
; ScratchSize: 0
; MemoryBound: 0
; FloatMode: 240
; IeeeMode: 1
; LDSByteSize: 32776 bytes/workgroup (compile time only)
; SGPRBlocks: 8
; VGPRBlocks: 10
; NumSGPRsForWavesPerEU: 68
; NumVGPRsForWavesPerEU: 82
; AccumOffset: 84
; Occupancy: 1
; WaveLimiterHint : 0
; COMPUTE_PGM_RSRC2:SCRATCH_EN: 0
; COMPUTE_PGM_RSRC2:USER_SGPR: 2
; COMPUTE_PGM_RSRC2:TRAP_HANDLER: 0
; COMPUTE_PGM_RSRC2:TGID_X_EN: 1
; COMPUTE_PGM_RSRC2:TGID_Y_EN: 0
; COMPUTE_PGM_RSRC2:TGID_Z_EN: 0
; COMPUTE_PGM_RSRC2:TIDIG_COMP_CNT: 0
; COMPUTE_PGM_RSRC3_GFX90A:ACCUM_OFFSET: 20
; COMPUTE_PGM_RSRC3_GFX90A:TG_SPLIT: 0
	.section	.text._ZN9rocsparseL44csr2gebsr_wavefront_per_row_multipass_kernelILi256ELi16ELi2ELi32E21rocsparse_complex_numIdEEEv20rocsparse_direction_iiiiii21rocsparse_index_base_PKT3_PKiS9_S4_PS5_PiSB_,"axG",@progbits,_ZN9rocsparseL44csr2gebsr_wavefront_per_row_multipass_kernelILi256ELi16ELi2ELi32E21rocsparse_complex_numIdEEEv20rocsparse_direction_iiiiii21rocsparse_index_base_PKT3_PKiS9_S4_PS5_PiSB_,comdat
	.globl	_ZN9rocsparseL44csr2gebsr_wavefront_per_row_multipass_kernelILi256ELi16ELi2ELi32E21rocsparse_complex_numIdEEEv20rocsparse_direction_iiiiii21rocsparse_index_base_PKT3_PKiS9_S4_PS5_PiSB_ ; -- Begin function _ZN9rocsparseL44csr2gebsr_wavefront_per_row_multipass_kernelILi256ELi16ELi2ELi32E21rocsparse_complex_numIdEEEv20rocsparse_direction_iiiiii21rocsparse_index_base_PKT3_PKiS9_S4_PS5_PiSB_
	.p2align	8
	.type	_ZN9rocsparseL44csr2gebsr_wavefront_per_row_multipass_kernelILi256ELi16ELi2ELi32E21rocsparse_complex_numIdEEEv20rocsparse_direction_iiiiii21rocsparse_index_base_PKT3_PKiS9_S4_PS5_PiSB_,@function
_ZN9rocsparseL44csr2gebsr_wavefront_per_row_multipass_kernelILi256ELi16ELi2ELi32E21rocsparse_complex_numIdEEEv20rocsparse_direction_iiiiii21rocsparse_index_base_PKT3_PKiS9_S4_PS5_PiSB_: ; @_ZN9rocsparseL44csr2gebsr_wavefront_per_row_multipass_kernelILi256ELi16ELi2ELi32E21rocsparse_complex_numIdEEEv20rocsparse_direction_iiiiii21rocsparse_index_base_PKT3_PKiS9_S4_PS5_PiSB_
; %bb.0:
	s_load_dwordx2 s[14:15], s[0:1], 0x0
	s_load_dwordx4 s[4:7], s[0:1], 0xc
	s_load_dword s20, s[0:1], 0x1c
	s_load_dwordx2 s[8:9], s[0:1], 0x28
	v_lshrrev_b32_e32 v14, 5, v0
	v_bfe_u32 v2, v0, 1, 4
	v_lshl_or_b32 v6, s2, 3, v14
	s_waitcnt lgkmcnt(0)
	v_mad_u64_u32 v[4:5], s[2:3], v6, s6, v[2:3]
	v_cmp_gt_i32_e64 s[2:3], s15, v4
	v_cmp_gt_i32_e32 vcc, s6, v2
	s_and_b64 s[2:3], vcc, s[2:3]
	v_mov_b32_e32 v15, 0
	v_mov_b32_e32 v10, 0
	s_and_saveexec_b64 s[10:11], s[2:3]
	s_cbranch_execz .LBB205_2
; %bb.1:
	v_ashrrev_i32_e32 v5, 31, v4
	v_lshl_add_u64 v[8:9], v[4:5], 2, s[8:9]
	global_load_dword v1, v[8:9], off
	s_waitcnt vmcnt(0)
	v_subrev_u32_e32 v10, s20, v1
.LBB205_2:
	s_or_b64 exec, exec, s[10:11]
	s_and_saveexec_b64 s[10:11], s[2:3]
	s_cbranch_execz .LBB205_4
; %bb.3:
	v_ashrrev_i32_e32 v5, 31, v4
	v_lshl_add_u64 v[4:5], v[4:5], 2, s[8:9]
	global_load_dword v1, v[4:5], off offset:4
	s_waitcnt vmcnt(0)
	v_subrev_u32_e32 v15, s20, v1
.LBB205_4:
	s_or_b64 exec, exec, s[10:11]
	s_load_dword s21, s[0:1], 0x38
	v_cmp_gt_i32_e64 s[2:3], s4, v6
	v_mov_b32_e32 v4, 0
	s_and_saveexec_b64 s[8:9], s[2:3]
	s_cbranch_execz .LBB205_6
; %bb.5:
	s_load_dwordx2 s[2:3], s[0:1], 0x48
	v_ashrrev_i32_e32 v7, 31, v6
	s_waitcnt lgkmcnt(0)
	v_lshl_add_u64 v[4:5], v[6:7], 2, s[2:3]
	global_load_dword v1, v[4:5], off
	s_waitcnt vmcnt(0)
	v_subrev_u32_e32 v4, s21, v1
.LBB205_6:
	s_or_b64 exec, exec, s[8:9]
	s_cmp_lt_i32 s5, 1
	s_cbranch_scc1 .LBB205_21
; %bb.7:
	v_and_b32_e32 v6, 1, v0
	v_and_b32_e32 v0, 0xe0, v0
	s_load_dwordx2 s[2:3], s[0:1], 0x20
	s_load_dwordx2 s[8:9], s[0:1], 0x50
	;; [unrolled: 1-line block ×4, first 2 shown]
	v_lshl_or_b32 v16, v2, 1, v0
	v_mbcnt_lo_u32_b32 v0, -1, 0
	v_mbcnt_hi_u32_b32 v0, -1, v0
	v_mov_b32_e32 v7, 0
	v_lshlrev_b32_e32 v5, 2, v0
	v_cmp_gt_u32_e64 s[0:1], s7, v6
	v_or_b32_e32 v0, v16, v6
	s_and_b64 s[12:13], vcc, s[0:1]
	v_lshlrev_b32_e32 v18, 4, v0
	v_mul_lo_u32 v0, v6, s6
	v_mov_b32_e32 v1, v7
	v_lshlrev_b32_e32 v8, 4, v2
	v_mul_lo_u32 v2, v2, s7
	s_cmp_eq_u32 s14, 0
	s_waitcnt lgkmcnt(0)
	v_lshl_add_u64 v[0:1], v[0:1], 4, s[16:17]
	v_mov_b32_e32 v9, v7
	v_ashrrev_i32_e32 v3, 31, v2
	v_lshl_add_u64 v[0:1], v[0:1], 0, v[8:9]
	v_lshl_add_u64 v[2:3], v[2:3], 4, s[16:17]
	v_lshlrev_b32_e32 v8, 4, v6
	s_cselect_b64 vcc, -1, 0
	s_abs_i32 s4, s7
	v_lshl_add_u64 v[2:3], v[2:3], 0, v[8:9]
	v_cvt_f32_u32_e32 v8, s4
	v_or_b32_e32 v17, 4, v5
	v_or_b32_e32 v19, 0x7c, v5
	s_ashr_i32 s22, s7, 31
	v_rcp_iflag_f32_e32 v8, v8
	s_mul_hi_u32 s0, s7, s6
	s_mul_i32 s1, s22, s6
	s_add_i32 s23, s0, s1
	v_mul_f32_e32 v5, 0x4f7ffffe, v8
	v_cvt_u32_f32_e32 v5, v5
	s_sub_i32 s0, 0, s4
	v_cndmask_b32_e32 v8, v0, v2, vcc
	s_mul_i32 s6, s7, s6
	v_mul_lo_u32 v0, s0, v5
	v_mul_hi_u32 v0, v5, v0
	v_cndmask_b32_e32 v9, v1, v3, vcc
	v_add_u32_e32 v20, v5, v0
	s_mov_b64 s[14:15], 0
	v_mov_b32_e32 v0, v7
	v_mov_b32_e32 v1, v7
	;; [unrolled: 1-line block ×6, first 2 shown]
	s_branch .LBB205_10
.LBB205_8:                              ;   in Loop: Header=BB205_10 Depth=1
	s_or_b64 exec, exec, s[16:17]
	v_mov_b32_e32 v11, 1
.LBB205_9:                              ;   in Loop: Header=BB205_10 Depth=1
	s_or_b64 exec, exec, s[0:1]
	v_mov_b32_dpp v5, v22 row_shr:1 row_mask:0xf bank_mask:0xf
	v_min_i32_e32 v5, v5, v22
	v_add_u32_e32 v4, v11, v4
	s_waitcnt lgkmcnt(0)
	v_mov_b32_dpp v12, v5 row_shr:2 row_mask:0xf bank_mask:0xf
	v_min_i32_e32 v5, v12, v5
	s_nop 1
	v_mov_b32_dpp v12, v5 row_shr:4 row_mask:0xf bank_mask:0xe
	v_min_i32_e32 v5, v12, v5
	s_nop 1
	;; [unrolled: 3-line block ×3, first 2 shown]
	v_mov_b32_dpp v12, v5 row_bcast:15 row_mask:0xa bank_mask:0xf
	v_min_i32_e32 v5, v12, v5
	ds_bpermute_b32 v5, v19, v5
	s_waitcnt lgkmcnt(0)
	v_cmp_le_i32_e32 vcc, s5, v5
	s_or_b64 s[14:15], vcc, s[14:15]
	s_andn2_b64 exec, exec, s[14:15]
	s_cbranch_execz .LBB205_21
.LBB205_10:                             ; =>This Loop Header: Depth=1
                                        ;     Child Loop BB205_13 Depth 2
	v_add_u32_e32 v23, v10, v6
	v_cmp_lt_i32_e32 vcc, v23, v15
	v_mov_b32_e32 v22, s5
	v_mov_b32_e32 v25, v15
	ds_write_b8 v14, v7 offset:4096
	ds_write_b128 v18, v[0:3]
	s_waitcnt lgkmcnt(0)
	s_and_saveexec_b64 s[16:17], vcc
	s_cbranch_execz .LBB205_18
; %bb.11:                               ;   in Loop: Header=BB205_10 Depth=1
	v_ashrrev_i32_e32 v11, 31, v10
	v_lshl_add_u64 v[12:13], v[6:7], 0, v[10:11]
	v_mul_lo_u32 v24, v5, s7
	v_lshl_add_u64 v[10:11], v[12:13], 2, s[10:11]
	v_lshl_add_u64 v[12:13], v[12:13], 4, s[2:3]
	s_mov_b64 s[18:19], 0
	v_mov_b32_e32 v22, s5
	v_mov_b32_e32 v25, v15
	s_branch .LBB205_13
.LBB205_12:                             ;   in Loop: Header=BB205_13 Depth=2
	s_or_b64 exec, exec, s[0:1]
	v_add_u32_e32 v23, 2, v23
	v_cmp_ge_i32_e64 s[0:1], v23, v15
	s_xor_b64 s[24:25], vcc, -1
	s_or_b64 s[0:1], s[24:25], s[0:1]
	s_and_b64 s[0:1], exec, s[0:1]
	v_lshl_add_u64 v[10:11], v[10:11], 0, 8
	s_or_b64 s[18:19], s[0:1], s[18:19]
	v_lshl_add_u64 v[12:13], v[12:13], 0, 32
	s_andn2_b64 exec, exec, s[18:19]
	s_cbranch_execz .LBB205_17
.LBB205_13:                             ;   Parent Loop BB205_10 Depth=1
                                        ; =>  This Inner Loop Header: Depth=2
	global_load_dword v26, v[10:11], off
	s_waitcnt vmcnt(0)
	v_subrev_u32_e32 v26, s20, v26
	v_sub_u32_e32 v28, 0, v26
	v_max_i32_e32 v28, v26, v28
	v_mul_hi_u32 v29, v28, v20
	v_mul_lo_u32 v30, v29, s4
	v_sub_u32_e32 v28, v28, v30
	v_add_u32_e32 v31, 1, v29
	v_cmp_le_u32_e32 vcc, s4, v28
	v_subrev_u32_e32 v30, s4, v28
	v_ashrrev_i32_e32 v27, 31, v26
	v_cndmask_b32_e32 v29, v29, v31, vcc
	v_cndmask_b32_e32 v28, v28, v30, vcc
	v_add_u32_e32 v30, 1, v29
	v_cmp_le_u32_e32 vcc, s4, v28
	v_xor_b32_e32 v27, s22, v27
	s_nop 0
	v_cndmask_b32_e32 v28, v29, v30, vcc
	v_xor_b32_e32 v28, v28, v27
	v_sub_u32_e32 v28, v28, v27
	v_cmp_eq_u32_e32 vcc, v28, v5
	v_cmp_ne_u32_e64 s[0:1], v28, v5
	v_mov_b32_e32 v27, v25
	s_and_saveexec_b64 s[24:25], s[0:1]
	s_xor_b64 s[0:1], exec, s[24:25]
; %bb.14:                               ;   in Loop: Header=BB205_13 Depth=2
	v_min_i32_e32 v22, v28, v22
                                        ; implicit-def: $vgpr26
                                        ; implicit-def: $vgpr27
; %bb.15:                               ;   in Loop: Header=BB205_13 Depth=2
	s_or_saveexec_b64 s[0:1], s[0:1]
	v_mov_b32_e32 v25, v23
	s_xor_b64 exec, exec, s[0:1]
	s_cbranch_execz .LBB205_12
; %bb.16:                               ;   in Loop: Header=BB205_13 Depth=2
	global_load_dwordx4 v[28:31], v[12:13], off
	v_sub_u32_e32 v25, v26, v24
	v_add_lshl_u32 v25, v16, v25, 4
	ds_write_b8 v14, v21 offset:4096
	s_waitcnt vmcnt(0)
	ds_write2_b64 v25, v[28:29], v[30:31] offset1:1
	v_mov_b32_e32 v25, v27
	s_branch .LBB205_12
.LBB205_17:                             ;   in Loop: Header=BB205_10 Depth=1
	s_or_b64 exec, exec, s[18:19]
.LBB205_18:                             ;   in Loop: Header=BB205_10 Depth=1
	s_or_b64 exec, exec, s[16:17]
	s_waitcnt lgkmcnt(0)
	ds_read_u8 v11, v14 offset:4096
	v_mov_b32_dpp v10, v25 row_shr:1 row_mask:0xf bank_mask:0xf
	v_min_i32_e32 v10, v10, v25
	ds_bpermute_b32 v10, v17, v10
	s_waitcnt lgkmcnt(1)
	v_and_b32_e32 v11, 1, v11
	v_cmp_eq_u32_e32 vcc, 1, v11
	v_mov_b32_e32 v11, 0
	s_and_saveexec_b64 s[0:1], vcc
	s_cbranch_execz .LBB205_9
; %bb.19:                               ;   in Loop: Header=BB205_10 Depth=1
	v_add_u32_e32 v11, s21, v5
	v_ashrrev_i32_e32 v5, 31, v4
	v_lshl_add_u64 v[12:13], v[4:5], 2, s[8:9]
	global_store_dword v[12:13], v11, off
	s_and_saveexec_b64 s[16:17], s[12:13]
	s_cbranch_execz .LBB205_8
; %bb.20:                               ;   in Loop: Header=BB205_10 Depth=1
	ds_read2_b64 v[24:27], v18 offset1:1
	v_mul_lo_u32 v11, s23, v4
	v_mul_lo_u32 v5, s6, v5
	v_mad_u64_u32 v[12:13], s[18:19], s6, v4, 0
	v_add3_u32 v13, v13, v5, v11
	v_lshl_add_u64 v[12:13], v[12:13], 4, v[8:9]
	s_waitcnt lgkmcnt(0)
	global_store_dwordx4 v[12:13], v[24:27], off
	s_branch .LBB205_8
.LBB205_21:
	s_endpgm
	.section	.rodata,"a",@progbits
	.p2align	6, 0x0
	.amdhsa_kernel _ZN9rocsparseL44csr2gebsr_wavefront_per_row_multipass_kernelILi256ELi16ELi2ELi32E21rocsparse_complex_numIdEEEv20rocsparse_direction_iiiiii21rocsparse_index_base_PKT3_PKiS9_S4_PS5_PiSB_
		.amdhsa_group_segment_fixed_size 4104
		.amdhsa_private_segment_fixed_size 0
		.amdhsa_kernarg_size 88
		.amdhsa_user_sgpr_count 2
		.amdhsa_user_sgpr_dispatch_ptr 0
		.amdhsa_user_sgpr_queue_ptr 0
		.amdhsa_user_sgpr_kernarg_segment_ptr 1
		.amdhsa_user_sgpr_dispatch_id 0
		.amdhsa_user_sgpr_kernarg_preload_length 0
		.amdhsa_user_sgpr_kernarg_preload_offset 0
		.amdhsa_user_sgpr_private_segment_size 0
		.amdhsa_uses_dynamic_stack 0
		.amdhsa_enable_private_segment 0
		.amdhsa_system_sgpr_workgroup_id_x 1
		.amdhsa_system_sgpr_workgroup_id_y 0
		.amdhsa_system_sgpr_workgroup_id_z 0
		.amdhsa_system_sgpr_workgroup_info 0
		.amdhsa_system_vgpr_workitem_id 0
		.amdhsa_next_free_vgpr 32
		.amdhsa_next_free_sgpr 26
		.amdhsa_accum_offset 32
		.amdhsa_reserve_vcc 1
		.amdhsa_float_round_mode_32 0
		.amdhsa_float_round_mode_16_64 0
		.amdhsa_float_denorm_mode_32 3
		.amdhsa_float_denorm_mode_16_64 3
		.amdhsa_dx10_clamp 1
		.amdhsa_ieee_mode 1
		.amdhsa_fp16_overflow 0
		.amdhsa_tg_split 0
		.amdhsa_exception_fp_ieee_invalid_op 0
		.amdhsa_exception_fp_denorm_src 0
		.amdhsa_exception_fp_ieee_div_zero 0
		.amdhsa_exception_fp_ieee_overflow 0
		.amdhsa_exception_fp_ieee_underflow 0
		.amdhsa_exception_fp_ieee_inexact 0
		.amdhsa_exception_int_div_zero 0
	.end_amdhsa_kernel
	.section	.text._ZN9rocsparseL44csr2gebsr_wavefront_per_row_multipass_kernelILi256ELi16ELi2ELi32E21rocsparse_complex_numIdEEEv20rocsparse_direction_iiiiii21rocsparse_index_base_PKT3_PKiS9_S4_PS5_PiSB_,"axG",@progbits,_ZN9rocsparseL44csr2gebsr_wavefront_per_row_multipass_kernelILi256ELi16ELi2ELi32E21rocsparse_complex_numIdEEEv20rocsparse_direction_iiiiii21rocsparse_index_base_PKT3_PKiS9_S4_PS5_PiSB_,comdat
.Lfunc_end205:
	.size	_ZN9rocsparseL44csr2gebsr_wavefront_per_row_multipass_kernelILi256ELi16ELi2ELi32E21rocsparse_complex_numIdEEEv20rocsparse_direction_iiiiii21rocsparse_index_base_PKT3_PKiS9_S4_PS5_PiSB_, .Lfunc_end205-_ZN9rocsparseL44csr2gebsr_wavefront_per_row_multipass_kernelILi256ELi16ELi2ELi32E21rocsparse_complex_numIdEEEv20rocsparse_direction_iiiiii21rocsparse_index_base_PKT3_PKiS9_S4_PS5_PiSB_
                                        ; -- End function
	.section	.AMDGPU.csdata,"",@progbits
; Kernel info:
; codeLenInByte = 1168
; NumSgprs: 32
; NumVgprs: 32
; NumAgprs: 0
; TotalNumVgprs: 32
; ScratchSize: 0
; MemoryBound: 0
; FloatMode: 240
; IeeeMode: 1
; LDSByteSize: 4104 bytes/workgroup (compile time only)
; SGPRBlocks: 3
; VGPRBlocks: 3
; NumSGPRsForWavesPerEU: 32
; NumVGPRsForWavesPerEU: 32
; AccumOffset: 32
; Occupancy: 8
; WaveLimiterHint : 0
; COMPUTE_PGM_RSRC2:SCRATCH_EN: 0
; COMPUTE_PGM_RSRC2:USER_SGPR: 2
; COMPUTE_PGM_RSRC2:TRAP_HANDLER: 0
; COMPUTE_PGM_RSRC2:TGID_X_EN: 1
; COMPUTE_PGM_RSRC2:TGID_Y_EN: 0
; COMPUTE_PGM_RSRC2:TGID_Z_EN: 0
; COMPUTE_PGM_RSRC2:TIDIG_COMP_CNT: 0
; COMPUTE_PGM_RSRC3_GFX90A:ACCUM_OFFSET: 7
; COMPUTE_PGM_RSRC3_GFX90A:TG_SPLIT: 0
	.section	.text._ZN9rocsparseL44csr2gebsr_wavefront_per_row_multipass_kernelILi256ELi16ELi4ELi64E21rocsparse_complex_numIdEEEv20rocsparse_direction_iiiiii21rocsparse_index_base_PKT3_PKiS9_S4_PS5_PiSB_,"axG",@progbits,_ZN9rocsparseL44csr2gebsr_wavefront_per_row_multipass_kernelILi256ELi16ELi4ELi64E21rocsparse_complex_numIdEEEv20rocsparse_direction_iiiiii21rocsparse_index_base_PKT3_PKiS9_S4_PS5_PiSB_,comdat
	.globl	_ZN9rocsparseL44csr2gebsr_wavefront_per_row_multipass_kernelILi256ELi16ELi4ELi64E21rocsparse_complex_numIdEEEv20rocsparse_direction_iiiiii21rocsparse_index_base_PKT3_PKiS9_S4_PS5_PiSB_ ; -- Begin function _ZN9rocsparseL44csr2gebsr_wavefront_per_row_multipass_kernelILi256ELi16ELi4ELi64E21rocsparse_complex_numIdEEEv20rocsparse_direction_iiiiii21rocsparse_index_base_PKT3_PKiS9_S4_PS5_PiSB_
	.p2align	8
	.type	_ZN9rocsparseL44csr2gebsr_wavefront_per_row_multipass_kernelILi256ELi16ELi4ELi64E21rocsparse_complex_numIdEEEv20rocsparse_direction_iiiiii21rocsparse_index_base_PKT3_PKiS9_S4_PS5_PiSB_,@function
_ZN9rocsparseL44csr2gebsr_wavefront_per_row_multipass_kernelILi256ELi16ELi4ELi64E21rocsparse_complex_numIdEEEv20rocsparse_direction_iiiiii21rocsparse_index_base_PKT3_PKiS9_S4_PS5_PiSB_: ; @_ZN9rocsparseL44csr2gebsr_wavefront_per_row_multipass_kernelILi256ELi16ELi4ELi64E21rocsparse_complex_numIdEEEv20rocsparse_direction_iiiiii21rocsparse_index_base_PKT3_PKiS9_S4_PS5_PiSB_
; %bb.0:
	s_load_dwordx2 s[14:15], s[0:1], 0x0
	s_load_dwordx4 s[4:7], s[0:1], 0xc
	s_load_dword s20, s[0:1], 0x1c
	s_load_dwordx2 s[8:9], s[0:1], 0x28
	v_lshrrev_b32_e32 v14, 6, v0
	v_bfe_u32 v2, v0, 2, 4
	v_lshl_or_b32 v6, s2, 2, v14
	s_waitcnt lgkmcnt(0)
	v_mad_u64_u32 v[4:5], s[2:3], v6, s6, v[2:3]
	v_cmp_gt_i32_e64 s[2:3], s15, v4
	v_cmp_gt_i32_e32 vcc, s6, v2
	s_and_b64 s[2:3], vcc, s[2:3]
	v_mov_b32_e32 v15, 0
	v_mov_b32_e32 v10, 0
	s_and_saveexec_b64 s[10:11], s[2:3]
	s_cbranch_execz .LBB206_2
; %bb.1:
	v_ashrrev_i32_e32 v5, 31, v4
	v_lshl_add_u64 v[8:9], v[4:5], 2, s[8:9]
	global_load_dword v1, v[8:9], off
	s_waitcnt vmcnt(0)
	v_subrev_u32_e32 v10, s20, v1
.LBB206_2:
	s_or_b64 exec, exec, s[10:11]
	s_and_saveexec_b64 s[10:11], s[2:3]
	s_cbranch_execz .LBB206_4
; %bb.3:
	v_ashrrev_i32_e32 v5, 31, v4
	v_lshl_add_u64 v[4:5], v[4:5], 2, s[8:9]
	global_load_dword v1, v[4:5], off offset:4
	s_waitcnt vmcnt(0)
	v_subrev_u32_e32 v15, s20, v1
.LBB206_4:
	s_or_b64 exec, exec, s[10:11]
	s_load_dword s21, s[0:1], 0x38
	v_cmp_gt_i32_e64 s[2:3], s4, v6
	v_mov_b32_e32 v4, 0
	s_and_saveexec_b64 s[8:9], s[2:3]
	s_cbranch_execz .LBB206_6
; %bb.5:
	s_load_dwordx2 s[2:3], s[0:1], 0x48
	v_ashrrev_i32_e32 v7, 31, v6
	s_waitcnt lgkmcnt(0)
	v_lshl_add_u64 v[4:5], v[6:7], 2, s[2:3]
	global_load_dword v1, v[4:5], off
	s_waitcnt vmcnt(0)
	v_subrev_u32_e32 v4, s21, v1
.LBB206_6:
	s_or_b64 exec, exec, s[8:9]
	s_cmp_lt_i32 s5, 1
	s_cbranch_scc1 .LBB206_21
; %bb.7:
	v_and_b32_e32 v6, 3, v0
	v_and_b32_e32 v0, 0xc0, v0
	s_load_dwordx2 s[2:3], s[0:1], 0x20
	s_load_dwordx2 s[8:9], s[0:1], 0x50
	;; [unrolled: 1-line block ×4, first 2 shown]
	v_lshl_or_b32 v16, v2, 2, v0
	v_mbcnt_lo_u32_b32 v0, -1, 0
	v_mbcnt_hi_u32_b32 v0, -1, v0
	v_mov_b32_e32 v7, 0
	v_lshlrev_b32_e32 v5, 2, v0
	v_cmp_gt_u32_e64 s[0:1], s7, v6
	v_or_b32_e32 v0, v16, v6
	s_and_b64 s[12:13], vcc, s[0:1]
	v_lshlrev_b32_e32 v18, 4, v0
	v_mul_lo_u32 v0, v6, s6
	v_mov_b32_e32 v1, v7
	v_lshlrev_b32_e32 v8, 4, v2
	v_mul_lo_u32 v2, v2, s7
	s_cmp_eq_u32 s14, 0
	s_waitcnt lgkmcnt(0)
	v_lshl_add_u64 v[0:1], v[0:1], 4, s[16:17]
	v_mov_b32_e32 v9, v7
	v_ashrrev_i32_e32 v3, 31, v2
	v_lshl_add_u64 v[0:1], v[0:1], 0, v[8:9]
	v_lshl_add_u64 v[2:3], v[2:3], 4, s[16:17]
	v_lshlrev_b32_e32 v8, 4, v6
	s_cselect_b64 vcc, -1, 0
	s_abs_i32 s4, s7
	v_lshl_add_u64 v[2:3], v[2:3], 0, v[8:9]
	v_cvt_f32_u32_e32 v8, s4
	v_or_b32_e32 v17, 12, v5
	v_or_b32_e32 v19, 0xfc, v5
	s_ashr_i32 s22, s7, 31
	v_rcp_iflag_f32_e32 v8, v8
	s_mul_hi_u32 s0, s7, s6
	s_mul_i32 s1, s22, s6
	s_add_i32 s23, s0, s1
	v_mul_f32_e32 v5, 0x4f7ffffe, v8
	v_cvt_u32_f32_e32 v5, v5
	s_sub_i32 s0, 0, s4
	v_cndmask_b32_e32 v8, v0, v2, vcc
	s_mul_i32 s6, s7, s6
	v_mul_lo_u32 v0, s0, v5
	v_mul_hi_u32 v0, v5, v0
	v_cndmask_b32_e32 v9, v1, v3, vcc
	v_add_u32_e32 v20, v5, v0
	s_mov_b64 s[14:15], 0
	v_mov_b32_e32 v0, v7
	v_mov_b32_e32 v1, v7
	;; [unrolled: 1-line block ×6, first 2 shown]
	s_branch .LBB206_10
.LBB206_8:                              ;   in Loop: Header=BB206_10 Depth=1
	s_or_b64 exec, exec, s[16:17]
	v_mov_b32_e32 v11, 1
.LBB206_9:                              ;   in Loop: Header=BB206_10 Depth=1
	s_or_b64 exec, exec, s[0:1]
	v_mov_b32_dpp v5, v22 row_shr:1 row_mask:0xf bank_mask:0xf
	v_min_i32_e32 v5, v5, v22
	v_add_u32_e32 v4, v11, v4
	s_waitcnt lgkmcnt(0)
	v_mov_b32_dpp v12, v5 row_shr:2 row_mask:0xf bank_mask:0xf
	v_min_i32_e32 v5, v12, v5
	s_nop 1
	v_mov_b32_dpp v12, v5 row_shr:4 row_mask:0xf bank_mask:0xe
	v_min_i32_e32 v5, v12, v5
	s_nop 1
	;; [unrolled: 3-line block ×3, first 2 shown]
	v_mov_b32_dpp v12, v5 row_bcast:15 row_mask:0xa bank_mask:0xf
	v_min_i32_e32 v5, v12, v5
	s_nop 1
	v_mov_b32_dpp v12, v5 row_bcast:31 row_mask:0xc bank_mask:0xf
	v_min_i32_e32 v5, v12, v5
	ds_bpermute_b32 v5, v19, v5
	s_waitcnt lgkmcnt(0)
	v_cmp_le_i32_e32 vcc, s5, v5
	s_or_b64 s[14:15], vcc, s[14:15]
	s_andn2_b64 exec, exec, s[14:15]
	s_cbranch_execz .LBB206_21
.LBB206_10:                             ; =>This Loop Header: Depth=1
                                        ;     Child Loop BB206_13 Depth 2
	v_add_u32_e32 v23, v10, v6
	v_cmp_lt_i32_e32 vcc, v23, v15
	v_mov_b32_e32 v22, s5
	v_mov_b32_e32 v25, v15
	ds_write_b8 v14, v7 offset:4096
	ds_write_b128 v18, v[0:3]
	s_waitcnt lgkmcnt(0)
	s_and_saveexec_b64 s[16:17], vcc
	s_cbranch_execz .LBB206_18
; %bb.11:                               ;   in Loop: Header=BB206_10 Depth=1
	v_ashrrev_i32_e32 v11, 31, v10
	v_lshl_add_u64 v[12:13], v[6:7], 0, v[10:11]
	v_mul_lo_u32 v24, v5, s7
	v_lshl_add_u64 v[10:11], v[12:13], 2, s[10:11]
	v_lshl_add_u64 v[12:13], v[12:13], 4, s[2:3]
	s_mov_b64 s[18:19], 0
	v_mov_b32_e32 v22, s5
	v_mov_b32_e32 v25, v15
	s_branch .LBB206_13
.LBB206_12:                             ;   in Loop: Header=BB206_13 Depth=2
	s_or_b64 exec, exec, s[0:1]
	v_add_u32_e32 v23, 4, v23
	v_cmp_ge_i32_e64 s[0:1], v23, v15
	s_xor_b64 s[24:25], vcc, -1
	s_or_b64 s[0:1], s[24:25], s[0:1]
	s_and_b64 s[0:1], exec, s[0:1]
	v_lshl_add_u64 v[10:11], v[10:11], 0, 16
	s_or_b64 s[18:19], s[0:1], s[18:19]
	v_lshl_add_u64 v[12:13], v[12:13], 0, 64
	s_andn2_b64 exec, exec, s[18:19]
	s_cbranch_execz .LBB206_17
.LBB206_13:                             ;   Parent Loop BB206_10 Depth=1
                                        ; =>  This Inner Loop Header: Depth=2
	global_load_dword v26, v[10:11], off
	s_waitcnt vmcnt(0)
	v_subrev_u32_e32 v26, s20, v26
	v_sub_u32_e32 v28, 0, v26
	v_max_i32_e32 v28, v26, v28
	v_mul_hi_u32 v29, v28, v20
	v_mul_lo_u32 v30, v29, s4
	v_sub_u32_e32 v28, v28, v30
	v_add_u32_e32 v31, 1, v29
	v_cmp_le_u32_e32 vcc, s4, v28
	v_subrev_u32_e32 v30, s4, v28
	v_ashrrev_i32_e32 v27, 31, v26
	v_cndmask_b32_e32 v29, v29, v31, vcc
	v_cndmask_b32_e32 v28, v28, v30, vcc
	v_add_u32_e32 v30, 1, v29
	v_cmp_le_u32_e32 vcc, s4, v28
	v_xor_b32_e32 v27, s22, v27
	s_nop 0
	v_cndmask_b32_e32 v28, v29, v30, vcc
	v_xor_b32_e32 v28, v28, v27
	v_sub_u32_e32 v28, v28, v27
	v_cmp_eq_u32_e32 vcc, v28, v5
	v_cmp_ne_u32_e64 s[0:1], v28, v5
	v_mov_b32_e32 v27, v25
	s_and_saveexec_b64 s[24:25], s[0:1]
	s_xor_b64 s[0:1], exec, s[24:25]
; %bb.14:                               ;   in Loop: Header=BB206_13 Depth=2
	v_min_i32_e32 v22, v28, v22
                                        ; implicit-def: $vgpr26
                                        ; implicit-def: $vgpr27
; %bb.15:                               ;   in Loop: Header=BB206_13 Depth=2
	s_or_saveexec_b64 s[0:1], s[0:1]
	v_mov_b32_e32 v25, v23
	s_xor_b64 exec, exec, s[0:1]
	s_cbranch_execz .LBB206_12
; %bb.16:                               ;   in Loop: Header=BB206_13 Depth=2
	global_load_dwordx4 v[28:31], v[12:13], off
	v_sub_u32_e32 v25, v26, v24
	v_add_lshl_u32 v25, v16, v25, 4
	ds_write_b8 v14, v21 offset:4096
	s_waitcnt vmcnt(0)
	ds_write2_b64 v25, v[28:29], v[30:31] offset1:1
	v_mov_b32_e32 v25, v27
	s_branch .LBB206_12
.LBB206_17:                             ;   in Loop: Header=BB206_10 Depth=1
	s_or_b64 exec, exec, s[18:19]
.LBB206_18:                             ;   in Loop: Header=BB206_10 Depth=1
	s_or_b64 exec, exec, s[16:17]
	v_mov_b32_dpp v10, v25 row_shr:1 row_mask:0xf bank_mask:0xf
	v_min_i32_e32 v10, v10, v25
	s_waitcnt lgkmcnt(0)
	ds_read_u8 v11, v14 offset:4096
	v_mov_b32_dpp v12, v10 row_shr:2 row_mask:0xf bank_mask:0xf
	v_min_i32_e32 v10, v12, v10
	ds_bpermute_b32 v10, v17, v10
	s_waitcnt lgkmcnt(1)
	v_and_b32_e32 v11, 1, v11
	v_cmp_eq_u32_e32 vcc, 1, v11
	v_mov_b32_e32 v11, 0
	s_and_saveexec_b64 s[0:1], vcc
	s_cbranch_execz .LBB206_9
; %bb.19:                               ;   in Loop: Header=BB206_10 Depth=1
	v_add_u32_e32 v11, s21, v5
	v_ashrrev_i32_e32 v5, 31, v4
	v_lshl_add_u64 v[12:13], v[4:5], 2, s[8:9]
	global_store_dword v[12:13], v11, off
	s_and_saveexec_b64 s[16:17], s[12:13]
	s_cbranch_execz .LBB206_8
; %bb.20:                               ;   in Loop: Header=BB206_10 Depth=1
	ds_read2_b64 v[24:27], v18 offset1:1
	v_mul_lo_u32 v11, s23, v4
	v_mul_lo_u32 v5, s6, v5
	v_mad_u64_u32 v[12:13], s[18:19], s6, v4, 0
	v_add3_u32 v13, v13, v5, v11
	v_lshl_add_u64 v[12:13], v[12:13], 4, v[8:9]
	s_waitcnt lgkmcnt(0)
	global_store_dwordx4 v[12:13], v[24:27], off
	s_branch .LBB206_8
.LBB206_21:
	s_endpgm
	.section	.rodata,"a",@progbits
	.p2align	6, 0x0
	.amdhsa_kernel _ZN9rocsparseL44csr2gebsr_wavefront_per_row_multipass_kernelILi256ELi16ELi4ELi64E21rocsparse_complex_numIdEEEv20rocsparse_direction_iiiiii21rocsparse_index_base_PKT3_PKiS9_S4_PS5_PiSB_
		.amdhsa_group_segment_fixed_size 4104
		.amdhsa_private_segment_fixed_size 0
		.amdhsa_kernarg_size 88
		.amdhsa_user_sgpr_count 2
		.amdhsa_user_sgpr_dispatch_ptr 0
		.amdhsa_user_sgpr_queue_ptr 0
		.amdhsa_user_sgpr_kernarg_segment_ptr 1
		.amdhsa_user_sgpr_dispatch_id 0
		.amdhsa_user_sgpr_kernarg_preload_length 0
		.amdhsa_user_sgpr_kernarg_preload_offset 0
		.amdhsa_user_sgpr_private_segment_size 0
		.amdhsa_uses_dynamic_stack 0
		.amdhsa_enable_private_segment 0
		.amdhsa_system_sgpr_workgroup_id_x 1
		.amdhsa_system_sgpr_workgroup_id_y 0
		.amdhsa_system_sgpr_workgroup_id_z 0
		.amdhsa_system_sgpr_workgroup_info 0
		.amdhsa_system_vgpr_workitem_id 0
		.amdhsa_next_free_vgpr 32
		.amdhsa_next_free_sgpr 26
		.amdhsa_accum_offset 32
		.amdhsa_reserve_vcc 1
		.amdhsa_float_round_mode_32 0
		.amdhsa_float_round_mode_16_64 0
		.amdhsa_float_denorm_mode_32 3
		.amdhsa_float_denorm_mode_16_64 3
		.amdhsa_dx10_clamp 1
		.amdhsa_ieee_mode 1
		.amdhsa_fp16_overflow 0
		.amdhsa_tg_split 0
		.amdhsa_exception_fp_ieee_invalid_op 0
		.amdhsa_exception_fp_denorm_src 0
		.amdhsa_exception_fp_ieee_div_zero 0
		.amdhsa_exception_fp_ieee_overflow 0
		.amdhsa_exception_fp_ieee_underflow 0
		.amdhsa_exception_fp_ieee_inexact 0
		.amdhsa_exception_int_div_zero 0
	.end_amdhsa_kernel
	.section	.text._ZN9rocsparseL44csr2gebsr_wavefront_per_row_multipass_kernelILi256ELi16ELi4ELi64E21rocsparse_complex_numIdEEEv20rocsparse_direction_iiiiii21rocsparse_index_base_PKT3_PKiS9_S4_PS5_PiSB_,"axG",@progbits,_ZN9rocsparseL44csr2gebsr_wavefront_per_row_multipass_kernelILi256ELi16ELi4ELi64E21rocsparse_complex_numIdEEEv20rocsparse_direction_iiiiii21rocsparse_index_base_PKT3_PKiS9_S4_PS5_PiSB_,comdat
.Lfunc_end206:
	.size	_ZN9rocsparseL44csr2gebsr_wavefront_per_row_multipass_kernelILi256ELi16ELi4ELi64E21rocsparse_complex_numIdEEEv20rocsparse_direction_iiiiii21rocsparse_index_base_PKT3_PKiS9_S4_PS5_PiSB_, .Lfunc_end206-_ZN9rocsparseL44csr2gebsr_wavefront_per_row_multipass_kernelILi256ELi16ELi4ELi64E21rocsparse_complex_numIdEEEv20rocsparse_direction_iiiiii21rocsparse_index_base_PKT3_PKiS9_S4_PS5_PiSB_
                                        ; -- End function
	.section	.AMDGPU.csdata,"",@progbits
; Kernel info:
; codeLenInByte = 1196
; NumSgprs: 32
; NumVgprs: 32
; NumAgprs: 0
; TotalNumVgprs: 32
; ScratchSize: 0
; MemoryBound: 0
; FloatMode: 240
; IeeeMode: 1
; LDSByteSize: 4104 bytes/workgroup (compile time only)
; SGPRBlocks: 3
; VGPRBlocks: 3
; NumSGPRsForWavesPerEU: 32
; NumVGPRsForWavesPerEU: 32
; AccumOffset: 32
; Occupancy: 8
; WaveLimiterHint : 0
; COMPUTE_PGM_RSRC2:SCRATCH_EN: 0
; COMPUTE_PGM_RSRC2:USER_SGPR: 2
; COMPUTE_PGM_RSRC2:TRAP_HANDLER: 0
; COMPUTE_PGM_RSRC2:TGID_X_EN: 1
; COMPUTE_PGM_RSRC2:TGID_Y_EN: 0
; COMPUTE_PGM_RSRC2:TGID_Z_EN: 0
; COMPUTE_PGM_RSRC2:TIDIG_COMP_CNT: 0
; COMPUTE_PGM_RSRC3_GFX90A:ACCUM_OFFSET: 7
; COMPUTE_PGM_RSRC3_GFX90A:TG_SPLIT: 0
	.section	.text._ZN9rocsparseL44csr2gebsr_wavefront_per_row_multipass_kernelILi256ELi16ELi4ELi32E21rocsparse_complex_numIdEEEv20rocsparse_direction_iiiiii21rocsparse_index_base_PKT3_PKiS9_S4_PS5_PiSB_,"axG",@progbits,_ZN9rocsparseL44csr2gebsr_wavefront_per_row_multipass_kernelILi256ELi16ELi4ELi32E21rocsparse_complex_numIdEEEv20rocsparse_direction_iiiiii21rocsparse_index_base_PKT3_PKiS9_S4_PS5_PiSB_,comdat
	.globl	_ZN9rocsparseL44csr2gebsr_wavefront_per_row_multipass_kernelILi256ELi16ELi4ELi32E21rocsparse_complex_numIdEEEv20rocsparse_direction_iiiiii21rocsparse_index_base_PKT3_PKiS9_S4_PS5_PiSB_ ; -- Begin function _ZN9rocsparseL44csr2gebsr_wavefront_per_row_multipass_kernelILi256ELi16ELi4ELi32E21rocsparse_complex_numIdEEEv20rocsparse_direction_iiiiii21rocsparse_index_base_PKT3_PKiS9_S4_PS5_PiSB_
	.p2align	8
	.type	_ZN9rocsparseL44csr2gebsr_wavefront_per_row_multipass_kernelILi256ELi16ELi4ELi32E21rocsparse_complex_numIdEEEv20rocsparse_direction_iiiiii21rocsparse_index_base_PKT3_PKiS9_S4_PS5_PiSB_,@function
_ZN9rocsparseL44csr2gebsr_wavefront_per_row_multipass_kernelILi256ELi16ELi4ELi32E21rocsparse_complex_numIdEEEv20rocsparse_direction_iiiiii21rocsparse_index_base_PKT3_PKiS9_S4_PS5_PiSB_: ; @_ZN9rocsparseL44csr2gebsr_wavefront_per_row_multipass_kernelILi256ELi16ELi4ELi32E21rocsparse_complex_numIdEEEv20rocsparse_direction_iiiiii21rocsparse_index_base_PKT3_PKiS9_S4_PS5_PiSB_
; %bb.0:
	s_load_dwordx2 s[14:15], s[0:1], 0x0
	s_load_dwordx4 s[4:7], s[0:1], 0xc
	s_load_dword s24, s[0:1], 0x1c
	s_load_dwordx2 s[8:9], s[0:1], 0x28
	v_lshrrev_b32_e32 v20, 5, v0
	v_bfe_u32 v2, v0, 1, 4
	v_lshl_or_b32 v6, s2, 3, v20
	s_waitcnt lgkmcnt(0)
	v_mad_u64_u32 v[4:5], s[2:3], v6, s6, v[2:3]
	v_cmp_gt_i32_e64 s[2:3], s15, v4
	v_cmp_gt_i32_e32 vcc, s6, v2
	s_and_b64 s[2:3], vcc, s[2:3]
	v_mov_b32_e32 v21, 0
	v_mov_b32_e32 v18, 0
	s_and_saveexec_b64 s[10:11], s[2:3]
	s_cbranch_execz .LBB207_2
; %bb.1:
	v_ashrrev_i32_e32 v5, 31, v4
	v_lshl_add_u64 v[8:9], v[4:5], 2, s[8:9]
	global_load_dword v1, v[8:9], off
	s_waitcnt vmcnt(0)
	v_subrev_u32_e32 v18, s24, v1
.LBB207_2:
	s_or_b64 exec, exec, s[10:11]
	s_and_saveexec_b64 s[10:11], s[2:3]
	s_cbranch_execz .LBB207_4
; %bb.3:
	v_ashrrev_i32_e32 v5, 31, v4
	v_lshl_add_u64 v[4:5], v[4:5], 2, s[8:9]
	global_load_dword v1, v[4:5], off offset:4
	s_waitcnt vmcnt(0)
	v_subrev_u32_e32 v21, s24, v1
.LBB207_4:
	s_or_b64 exec, exec, s[10:11]
	s_load_dword s25, s[0:1], 0x38
	v_cmp_gt_i32_e64 s[2:3], s4, v6
	v_mov_b32_e32 v4, 0
	s_and_saveexec_b64 s[8:9], s[2:3]
	s_cbranch_execz .LBB207_6
; %bb.5:
	s_load_dwordx2 s[2:3], s[0:1], 0x48
	v_ashrrev_i32_e32 v7, 31, v6
	s_waitcnt lgkmcnt(0)
	v_lshl_add_u64 v[4:5], v[6:7], 2, s[2:3]
	global_load_dword v1, v[4:5], off
	s_waitcnt vmcnt(0)
	v_subrev_u32_e32 v4, s25, v1
.LBB207_6:
	s_or_b64 exec, exec, s[8:9]
	s_cmp_lt_i32 s5, 1
	s_cbranch_scc1 .LBB207_32
; %bb.7:
	v_and_b32_e32 v22, 1, v0
	v_lshlrev_b32_e32 v0, 6, v20
	s_load_dwordx2 s[8:9], s[0:1], 0x20
	s_load_dwordx2 s[10:11], s[0:1], 0x50
	;; [unrolled: 1-line block ×4, first 2 shown]
	v_lshl_or_b32 v23, v2, 2, v0
	v_mbcnt_lo_u32_b32 v0, -1, 0
	v_mbcnt_hi_u32_b32 v0, -1, v0
	v_lshlrev_b32_e32 v3, 2, v0
	v_mul_lo_u32 v0, v2, s7
	v_mov_b32_e32 v7, 0
	s_cmp_lg_u32 s14, 0
	v_lshlrev_b32_e32 v6, 4, v2
	v_ashrrev_i32_e32 v1, 31, v0
	s_cselect_b64 s[14:15], -1, 0
	s_waitcnt lgkmcnt(0)
	v_lshl_add_u64 v[8:9], s[2:3], 0, v[6:7]
	v_lshl_add_u64 v[0:1], v[0:1], 4, s[2:3]
	v_lshlrev_b32_e32 v6, 4, v22
	s_abs_i32 s28, s7
	v_lshl_add_u64 v[10:11], v[0:1], 0, v[6:7]
	v_cvt_f32_u32_e32 v0, s28
	s_ashr_i32 s4, s7, 31
	s_mul_hi_u32 s0, s7, s6
	s_mul_i32 s1, s4, s6
	v_rcp_iflag_f32_e32 v0, v0
	s_add_i32 s26, s0, s1
	v_cmp_gt_u32_e64 s[0:1], s7, v22
	v_or_b32_e32 v1, 2, v22
	v_mul_f32_e32 v0, 0x4f7ffffe, v0
	v_cvt_u32_f32_e32 v0, v0
	s_and_b64 s[16:17], s[0:1], vcc
	s_sub_i32 s0, 0, s28
	v_or_b32_e32 v5, v23, v22
	v_cmp_gt_u32_e64 s[2:3], s7, v1
	v_mul_lo_u32 v1, s0, v0
	v_lshlrev_b32_e32 v26, 4, v5
	v_mul_lo_u32 v6, v22, s6
	v_mul_hi_u32 v1, v0, v1
	v_or_b32_e32 v24, 4, v3
	s_mul_i32 s27, s7, s6
	v_or_b32_e32 v25, 0x7c, v3
	v_or_b32_e32 v27, 32, v26
	v_mov_b32_e32 v28, 1
	v_lshl_add_u32 v12, s6, 1, v6
	v_mov_b32_e32 v13, v7
	s_and_b64 s[2:3], vcc, s[2:3]
	v_add_u32_e32 v29, v0, v1
	v_or_b32_e32 v30, -2, v22
	s_mov_b64 s[18:19], 0
	v_mov_b32_e32 v0, v7
	v_mov_b32_e32 v1, v7
	;; [unrolled: 1-line block ×5, first 2 shown]
	s_branch .LBB207_11
.LBB207_8:                              ;   in Loop: Header=BB207_11 Depth=1
	v_mov_b32_e32 v19, s6
.LBB207_9:                              ;   in Loop: Header=BB207_11 Depth=1
	s_or_b64 exec, exec, s[20:21]
.LBB207_10:                             ;   in Loop: Header=BB207_11 Depth=1
	s_or_b64 exec, exec, s[0:1]
	v_mov_b32_dpp v5, v31 row_shr:1 row_mask:0xf bank_mask:0xf
	v_min_i32_e32 v5, v5, v31
	v_add_u32_e32 v4, v19, v4
	s_waitcnt lgkmcnt(0)
	v_mov_b32_dpp v14, v5 row_shr:2 row_mask:0xf bank_mask:0xf
	v_min_i32_e32 v5, v14, v5
	s_nop 1
	v_mov_b32_dpp v14, v5 row_shr:4 row_mask:0xf bank_mask:0xe
	v_min_i32_e32 v5, v14, v5
	s_nop 1
	;; [unrolled: 3-line block ×3, first 2 shown]
	v_mov_b32_dpp v14, v5 row_bcast:15 row_mask:0xa bank_mask:0xf
	v_min_i32_e32 v5, v14, v5
	ds_bpermute_b32 v5, v25, v5
	s_waitcnt lgkmcnt(0)
	v_cmp_le_i32_e32 vcc, s5, v5
	s_or_b64 s[18:19], vcc, s[18:19]
	s_andn2_b64 exec, exec, s[18:19]
	s_cbranch_execz .LBB207_32
.LBB207_11:                             ; =>This Loop Header: Depth=1
                                        ;     Child Loop BB207_12 Depth 2
                                        ;     Child Loop BB207_16 Depth 2
	s_mov_b64 s[0:1], 0
	v_mov_b32_e32 v14, v26
	v_mov_b32_e32 v15, v30
	ds_write_b8 v20, v7 offset:8192
.LBB207_12:                             ;   Parent Loop BB207_11 Depth=1
                                        ; =>  This Inner Loop Header: Depth=2
	v_add_co_u32_e32 v15, vcc, 2, v15
	s_xor_b64 s[20:21], vcc, -1
	s_and_b64 s[20:21], exec, s[20:21]
	ds_write_b128 v14, v[0:3]
	s_or_b64 s[0:1], s[20:21], s[0:1]
	v_add_u32_e32 v14, 32, v14
	s_andn2_b64 exec, exec, s[0:1]
	s_cbranch_execnz .LBB207_12
; %bb.13:                               ;   in Loop: Header=BB207_11 Depth=1
	s_or_b64 exec, exec, s[0:1]
	v_add_u32_e32 v14, v18, v22
	v_cmp_lt_i32_e32 vcc, v14, v21
	v_mov_b32_e32 v31, s5
	v_mov_b32_e32 v15, v21
	s_waitcnt lgkmcnt(0)
	s_and_saveexec_b64 s[20:21], vcc
	s_cbranch_execz .LBB207_21
; %bb.14:                               ;   in Loop: Header=BB207_11 Depth=1
	v_ashrrev_i32_e32 v15, 31, v14
	v_mul_lo_u32 v32, v5, s7
	v_lshl_add_u64 v[16:17], v[14:15], 2, s[12:13]
	v_lshl_add_u64 v[18:19], v[14:15], 4, s[8:9]
	s_mov_b64 s[22:23], 0
	v_mov_b32_e32 v31, s5
	v_mov_b32_e32 v15, v21
	s_branch .LBB207_16
.LBB207_15:                             ;   in Loop: Header=BB207_16 Depth=2
	s_or_b64 exec, exec, s[0:1]
	v_add_u32_e32 v14, 2, v14
	v_cmp_ge_i32_e64 s[0:1], v14, v21
	s_xor_b64 s[30:31], vcc, -1
	s_or_b64 s[0:1], s[30:31], s[0:1]
	s_and_b64 s[0:1], exec, s[0:1]
	v_lshl_add_u64 v[16:17], v[16:17], 0, 8
	s_or_b64 s[22:23], s[0:1], s[22:23]
	v_lshl_add_u64 v[18:19], v[18:19], 0, 32
	s_andn2_b64 exec, exec, s[22:23]
	s_cbranch_execz .LBB207_20
.LBB207_16:                             ;   Parent Loop BB207_11 Depth=1
                                        ; =>  This Inner Loop Header: Depth=2
	global_load_dword v33, v[16:17], off
	s_waitcnt vmcnt(0)
	v_subrev_u32_e32 v33, s24, v33
	v_sub_u32_e32 v35, 0, v33
	v_max_i32_e32 v35, v33, v35
	v_mul_hi_u32 v36, v35, v29
	v_mul_lo_u32 v37, v36, s28
	v_sub_u32_e32 v35, v35, v37
	v_add_u32_e32 v38, 1, v36
	v_cmp_le_u32_e32 vcc, s28, v35
	v_subrev_u32_e32 v37, s28, v35
	v_ashrrev_i32_e32 v34, 31, v33
	v_cndmask_b32_e32 v36, v36, v38, vcc
	v_cndmask_b32_e32 v35, v35, v37, vcc
	v_add_u32_e32 v37, 1, v36
	v_cmp_le_u32_e32 vcc, s28, v35
	v_xor_b32_e32 v34, s4, v34
	s_nop 0
	v_cndmask_b32_e32 v35, v36, v37, vcc
	v_xor_b32_e32 v35, v35, v34
	v_sub_u32_e32 v35, v35, v34
	v_cmp_eq_u32_e32 vcc, v35, v5
	v_cmp_ne_u32_e64 s[0:1], v35, v5
	v_mov_b32_e32 v34, v15
	s_and_saveexec_b64 s[30:31], s[0:1]
	s_xor_b64 s[0:1], exec, s[30:31]
; %bb.17:                               ;   in Loop: Header=BB207_16 Depth=2
	v_min_i32_e32 v31, v35, v31
                                        ; implicit-def: $vgpr33
                                        ; implicit-def: $vgpr34
; %bb.18:                               ;   in Loop: Header=BB207_16 Depth=2
	s_or_saveexec_b64 s[0:1], s[0:1]
	v_mov_b32_e32 v15, v14
	s_xor_b64 exec, exec, s[0:1]
	s_cbranch_execz .LBB207_15
; %bb.19:                               ;   in Loop: Header=BB207_16 Depth=2
	global_load_dwordx4 v[36:39], v[18:19], off
	v_sub_u32_e32 v15, v33, v32
	v_add_lshl_u32 v15, v23, v15, 4
	ds_write_b8 v20, v28 offset:8192
	s_waitcnt vmcnt(0)
	ds_write2_b64 v15, v[36:37], v[38:39] offset1:1
	v_mov_b32_e32 v15, v34
	s_branch .LBB207_15
.LBB207_20:                             ;   in Loop: Header=BB207_11 Depth=1
	s_or_b64 exec, exec, s[22:23]
.LBB207_21:                             ;   in Loop: Header=BB207_11 Depth=1
	s_or_b64 exec, exec, s[20:21]
	s_waitcnt lgkmcnt(0)
	ds_read_u8 v14, v20 offset:8192
	v_mov_b32_dpp v16, v15 row_shr:1 row_mask:0xf bank_mask:0xf
	v_min_i32_e32 v15, v16, v15
	ds_bpermute_b32 v18, v24, v15
	v_mov_b32_e32 v19, 0
	s_waitcnt lgkmcnt(1)
	v_and_b32_e32 v14, 1, v14
	v_cmp_eq_u32_e32 vcc, 1, v14
	s_and_saveexec_b64 s[0:1], vcc
	s_cbranch_execz .LBB207_10
; %bb.22:                               ;   in Loop: Header=BB207_11 Depth=1
	v_add_u32_e32 v16, s25, v5
	v_ashrrev_i32_e32 v5, 31, v4
	v_lshl_add_u64 v[14:15], v[4:5], 2, s[10:11]
	global_store_dword v[14:15], v16, off
	v_mul_lo_u32 v16, s26, v4
	v_mul_lo_u32 v5, s27, v5
	v_mad_u64_u32 v[14:15], s[20:21], s27, v4, 0
	v_add3_u32 v15, v15, v5, v16
	v_lshlrev_b64 v[14:15], 4, v[14:15]
	v_lshl_add_u64 v[16:17], v[8:9], 0, v[14:15]
	v_lshl_add_u64 v[14:15], v[10:11], 0, v[14:15]
	s_and_saveexec_b64 s[20:21], s[16:17]
	s_cbranch_execz .LBB207_26
; %bb.23:                               ;   in Loop: Header=BB207_11 Depth=1
	s_and_b64 vcc, exec, s[14:15]
	s_cbranch_vccz .LBB207_29
; %bb.24:                               ;   in Loop: Header=BB207_11 Depth=1
	ds_read2_b64 v[32:35], v26 offset1:1
	v_lshl_add_u64 v[36:37], v[6:7], 4, v[16:17]
	s_waitcnt lgkmcnt(0)
	global_store_dwordx4 v[36:37], v[32:35], off
	s_cbranch_execnz .LBB207_26
.LBB207_25:                             ;   in Loop: Header=BB207_11 Depth=1
	ds_read2_b64 v[32:35], v26 offset1:1
	s_waitcnt lgkmcnt(0)
	global_store_dwordx4 v[14:15], v[32:35], off
.LBB207_26:                             ;   in Loop: Header=BB207_11 Depth=1
	s_or_b64 exec, exec, s[20:21]
	v_mov_b32_e32 v19, 1
	s_and_saveexec_b64 s[20:21], s[2:3]
	s_cbranch_execz .LBB207_9
; %bb.27:                               ;   in Loop: Header=BB207_11 Depth=1
	s_andn2_b64 vcc, exec, s[14:15]
	s_cbranch_vccnz .LBB207_30
; %bb.28:                               ;   in Loop: Header=BB207_11 Depth=1
	ds_read2_b64 v[32:35], v27 offset1:1
	v_lshl_add_u64 v[16:17], v[12:13], 4, v[16:17]
	s_mov_b32 s6, 1
	s_waitcnt lgkmcnt(0)
	global_store_dwordx4 v[16:17], v[32:35], off
	s_cbranch_execnz .LBB207_8
	s_branch .LBB207_31
.LBB207_29:                             ;   in Loop: Header=BB207_11 Depth=1
	s_branch .LBB207_25
.LBB207_30:                             ;   in Loop: Header=BB207_11 Depth=1
                                        ; implicit-def: $sgpr6
.LBB207_31:                             ;   in Loop: Header=BB207_11 Depth=1
	ds_read2_b64 v[32:35], v27 offset1:1
	s_mov_b32 s6, 1
	s_waitcnt lgkmcnt(0)
	global_store_dwordx4 v[14:15], v[32:35], off offset:32
	s_branch .LBB207_8
.LBB207_32:
	s_endpgm
	.section	.rodata,"a",@progbits
	.p2align	6, 0x0
	.amdhsa_kernel _ZN9rocsparseL44csr2gebsr_wavefront_per_row_multipass_kernelILi256ELi16ELi4ELi32E21rocsparse_complex_numIdEEEv20rocsparse_direction_iiiiii21rocsparse_index_base_PKT3_PKiS9_S4_PS5_PiSB_
		.amdhsa_group_segment_fixed_size 8200
		.amdhsa_private_segment_fixed_size 0
		.amdhsa_kernarg_size 88
		.amdhsa_user_sgpr_count 2
		.amdhsa_user_sgpr_dispatch_ptr 0
		.amdhsa_user_sgpr_queue_ptr 0
		.amdhsa_user_sgpr_kernarg_segment_ptr 1
		.amdhsa_user_sgpr_dispatch_id 0
		.amdhsa_user_sgpr_kernarg_preload_length 0
		.amdhsa_user_sgpr_kernarg_preload_offset 0
		.amdhsa_user_sgpr_private_segment_size 0
		.amdhsa_uses_dynamic_stack 0
		.amdhsa_enable_private_segment 0
		.amdhsa_system_sgpr_workgroup_id_x 1
		.amdhsa_system_sgpr_workgroup_id_y 0
		.amdhsa_system_sgpr_workgroup_id_z 0
		.amdhsa_system_sgpr_workgroup_info 0
		.amdhsa_system_vgpr_workitem_id 0
		.amdhsa_next_free_vgpr 40
		.amdhsa_next_free_sgpr 32
		.amdhsa_accum_offset 40
		.amdhsa_reserve_vcc 1
		.amdhsa_float_round_mode_32 0
		.amdhsa_float_round_mode_16_64 0
		.amdhsa_float_denorm_mode_32 3
		.amdhsa_float_denorm_mode_16_64 3
		.amdhsa_dx10_clamp 1
		.amdhsa_ieee_mode 1
		.amdhsa_fp16_overflow 0
		.amdhsa_tg_split 0
		.amdhsa_exception_fp_ieee_invalid_op 0
		.amdhsa_exception_fp_denorm_src 0
		.amdhsa_exception_fp_ieee_div_zero 0
		.amdhsa_exception_fp_ieee_overflow 0
		.amdhsa_exception_fp_ieee_underflow 0
		.amdhsa_exception_fp_ieee_inexact 0
		.amdhsa_exception_int_div_zero 0
	.end_amdhsa_kernel
	.section	.text._ZN9rocsparseL44csr2gebsr_wavefront_per_row_multipass_kernelILi256ELi16ELi4ELi32E21rocsparse_complex_numIdEEEv20rocsparse_direction_iiiiii21rocsparse_index_base_PKT3_PKiS9_S4_PS5_PiSB_,"axG",@progbits,_ZN9rocsparseL44csr2gebsr_wavefront_per_row_multipass_kernelILi256ELi16ELi4ELi32E21rocsparse_complex_numIdEEEv20rocsparse_direction_iiiiii21rocsparse_index_base_PKT3_PKiS9_S4_PS5_PiSB_,comdat
.Lfunc_end207:
	.size	_ZN9rocsparseL44csr2gebsr_wavefront_per_row_multipass_kernelILi256ELi16ELi4ELi32E21rocsparse_complex_numIdEEEv20rocsparse_direction_iiiiii21rocsparse_index_base_PKT3_PKiS9_S4_PS5_PiSB_, .Lfunc_end207-_ZN9rocsparseL44csr2gebsr_wavefront_per_row_multipass_kernelILi256ELi16ELi4ELi32E21rocsparse_complex_numIdEEEv20rocsparse_direction_iiiiii21rocsparse_index_base_PKT3_PKiS9_S4_PS5_PiSB_
                                        ; -- End function
	.section	.AMDGPU.csdata,"",@progbits
; Kernel info:
; codeLenInByte = 1360
; NumSgprs: 38
; NumVgprs: 40
; NumAgprs: 0
; TotalNumVgprs: 40
; ScratchSize: 0
; MemoryBound: 0
; FloatMode: 240
; IeeeMode: 1
; LDSByteSize: 8200 bytes/workgroup (compile time only)
; SGPRBlocks: 4
; VGPRBlocks: 4
; NumSGPRsForWavesPerEU: 38
; NumVGPRsForWavesPerEU: 40
; AccumOffset: 40
; Occupancy: 7
; WaveLimiterHint : 0
; COMPUTE_PGM_RSRC2:SCRATCH_EN: 0
; COMPUTE_PGM_RSRC2:USER_SGPR: 2
; COMPUTE_PGM_RSRC2:TRAP_HANDLER: 0
; COMPUTE_PGM_RSRC2:TGID_X_EN: 1
; COMPUTE_PGM_RSRC2:TGID_Y_EN: 0
; COMPUTE_PGM_RSRC2:TGID_Z_EN: 0
; COMPUTE_PGM_RSRC2:TIDIG_COMP_CNT: 0
; COMPUTE_PGM_RSRC3_GFX90A:ACCUM_OFFSET: 9
; COMPUTE_PGM_RSRC3_GFX90A:TG_SPLIT: 0
	.section	.text._ZN9rocsparseL44csr2gebsr_wavefront_per_row_multipass_kernelILi256ELi16ELi8ELi64E21rocsparse_complex_numIdEEEv20rocsparse_direction_iiiiii21rocsparse_index_base_PKT3_PKiS9_S4_PS5_PiSB_,"axG",@progbits,_ZN9rocsparseL44csr2gebsr_wavefront_per_row_multipass_kernelILi256ELi16ELi8ELi64E21rocsparse_complex_numIdEEEv20rocsparse_direction_iiiiii21rocsparse_index_base_PKT3_PKiS9_S4_PS5_PiSB_,comdat
	.globl	_ZN9rocsparseL44csr2gebsr_wavefront_per_row_multipass_kernelILi256ELi16ELi8ELi64E21rocsparse_complex_numIdEEEv20rocsparse_direction_iiiiii21rocsparse_index_base_PKT3_PKiS9_S4_PS5_PiSB_ ; -- Begin function _ZN9rocsparseL44csr2gebsr_wavefront_per_row_multipass_kernelILi256ELi16ELi8ELi64E21rocsparse_complex_numIdEEEv20rocsparse_direction_iiiiii21rocsparse_index_base_PKT3_PKiS9_S4_PS5_PiSB_
	.p2align	8
	.type	_ZN9rocsparseL44csr2gebsr_wavefront_per_row_multipass_kernelILi256ELi16ELi8ELi64E21rocsparse_complex_numIdEEEv20rocsparse_direction_iiiiii21rocsparse_index_base_PKT3_PKiS9_S4_PS5_PiSB_,@function
_ZN9rocsparseL44csr2gebsr_wavefront_per_row_multipass_kernelILi256ELi16ELi8ELi64E21rocsparse_complex_numIdEEEv20rocsparse_direction_iiiiii21rocsparse_index_base_PKT3_PKiS9_S4_PS5_PiSB_: ; @_ZN9rocsparseL44csr2gebsr_wavefront_per_row_multipass_kernelILi256ELi16ELi8ELi64E21rocsparse_complex_numIdEEEv20rocsparse_direction_iiiiii21rocsparse_index_base_PKT3_PKiS9_S4_PS5_PiSB_
; %bb.0:
	s_load_dwordx2 s[14:15], s[0:1], 0x0
	s_load_dwordx4 s[4:7], s[0:1], 0xc
	s_load_dword s24, s[0:1], 0x1c
	s_load_dwordx2 s[8:9], s[0:1], 0x28
	v_lshrrev_b32_e32 v20, 6, v0
	v_bfe_u32 v2, v0, 2, 4
	v_lshl_or_b32 v6, s2, 2, v20
	s_waitcnt lgkmcnt(0)
	v_mad_u64_u32 v[4:5], s[2:3], v6, s6, v[2:3]
	v_cmp_gt_i32_e64 s[2:3], s15, v4
	v_cmp_gt_i32_e32 vcc, s6, v2
	s_and_b64 s[2:3], vcc, s[2:3]
	v_mov_b32_e32 v21, 0
	v_mov_b32_e32 v18, 0
	s_and_saveexec_b64 s[10:11], s[2:3]
	s_cbranch_execz .LBB208_2
; %bb.1:
	v_ashrrev_i32_e32 v5, 31, v4
	v_lshl_add_u64 v[8:9], v[4:5], 2, s[8:9]
	global_load_dword v1, v[8:9], off
	s_waitcnt vmcnt(0)
	v_subrev_u32_e32 v18, s24, v1
.LBB208_2:
	s_or_b64 exec, exec, s[10:11]
	s_and_saveexec_b64 s[10:11], s[2:3]
	s_cbranch_execz .LBB208_4
; %bb.3:
	v_ashrrev_i32_e32 v5, 31, v4
	v_lshl_add_u64 v[4:5], v[4:5], 2, s[8:9]
	global_load_dword v1, v[4:5], off offset:4
	s_waitcnt vmcnt(0)
	v_subrev_u32_e32 v21, s24, v1
.LBB208_4:
	s_or_b64 exec, exec, s[10:11]
	s_load_dword s25, s[0:1], 0x38
	v_cmp_gt_i32_e64 s[2:3], s4, v6
	v_mov_b32_e32 v4, 0
	s_and_saveexec_b64 s[8:9], s[2:3]
	s_cbranch_execz .LBB208_6
; %bb.5:
	s_load_dwordx2 s[2:3], s[0:1], 0x48
	v_ashrrev_i32_e32 v7, 31, v6
	s_waitcnt lgkmcnt(0)
	v_lshl_add_u64 v[4:5], v[6:7], 2, s[2:3]
	global_load_dword v1, v[4:5], off
	s_waitcnt vmcnt(0)
	v_subrev_u32_e32 v4, s25, v1
.LBB208_6:
	s_or_b64 exec, exec, s[8:9]
	s_cmp_lt_i32 s5, 1
	s_cbranch_scc1 .LBB208_32
; %bb.7:
	v_and_b32_e32 v22, 3, v0
	v_lshlrev_b32_e32 v0, 7, v20
	s_load_dwordx2 s[8:9], s[0:1], 0x20
	s_load_dwordx2 s[10:11], s[0:1], 0x50
	;; [unrolled: 1-line block ×4, first 2 shown]
	v_lshl_or_b32 v23, v2, 3, v0
	v_mbcnt_lo_u32_b32 v0, -1, 0
	v_mbcnt_hi_u32_b32 v0, -1, v0
	v_lshlrev_b32_e32 v3, 2, v0
	v_mul_lo_u32 v0, v2, s7
	v_mov_b32_e32 v7, 0
	s_cmp_lg_u32 s14, 0
	v_lshlrev_b32_e32 v6, 4, v2
	v_ashrrev_i32_e32 v1, 31, v0
	s_cselect_b64 s[14:15], -1, 0
	s_waitcnt lgkmcnt(0)
	v_lshl_add_u64 v[8:9], s[2:3], 0, v[6:7]
	v_lshl_add_u64 v[0:1], v[0:1], 4, s[2:3]
	v_lshlrev_b32_e32 v6, 4, v22
	s_abs_i32 s28, s7
	v_lshl_add_u64 v[10:11], v[0:1], 0, v[6:7]
	v_cvt_f32_u32_e32 v0, s28
	s_ashr_i32 s4, s7, 31
	s_mul_hi_u32 s0, s7, s6
	s_mul_i32 s1, s4, s6
	v_rcp_iflag_f32_e32 v0, v0
	s_add_i32 s26, s0, s1
	v_cmp_gt_u32_e64 s[0:1], s7, v22
	v_or_b32_e32 v1, 4, v22
	v_mul_f32_e32 v0, 0x4f7ffffe, v0
	v_cvt_u32_f32_e32 v0, v0
	s_and_b64 s[16:17], s[0:1], vcc
	s_sub_i32 s0, 0, s28
	v_or_b32_e32 v5, v23, v22
	v_cmp_gt_u32_e64 s[2:3], s7, v1
	v_mul_lo_u32 v1, s0, v0
	v_lshlrev_b32_e32 v26, 4, v5
	v_mul_lo_u32 v6, v22, s6
	v_mul_hi_u32 v1, v0, v1
	v_or_b32_e32 v24, 12, v3
	s_mul_i32 s27, s7, s6
	v_or_b32_e32 v25, 0xfc, v3
	v_or_b32_e32 v27, 64, v26
	v_lshl_add_u32 v12, s6, 2, v6
	v_mov_b32_e32 v13, v7
	s_and_b64 s[2:3], vcc, s[2:3]
	v_add_u32_e32 v28, v0, v1
	v_or_b32_e32 v29, -4, v22
	s_mov_b64 s[18:19], 0
	v_mov_b32_e32 v0, v7
	v_mov_b32_e32 v1, v7
	;; [unrolled: 1-line block ×6, first 2 shown]
	s_branch .LBB208_11
.LBB208_8:                              ;   in Loop: Header=BB208_11 Depth=1
	v_mov_b32_e32 v19, s6
.LBB208_9:                              ;   in Loop: Header=BB208_11 Depth=1
	s_or_b64 exec, exec, s[20:21]
.LBB208_10:                             ;   in Loop: Header=BB208_11 Depth=1
	s_or_b64 exec, exec, s[0:1]
	v_mov_b32_dpp v5, v31 row_shr:1 row_mask:0xf bank_mask:0xf
	v_min_i32_e32 v5, v5, v31
	v_add_u32_e32 v4, v19, v4
	s_waitcnt lgkmcnt(0)
	v_mov_b32_dpp v14, v5 row_shr:2 row_mask:0xf bank_mask:0xf
	v_min_i32_e32 v5, v14, v5
	s_nop 1
	v_mov_b32_dpp v14, v5 row_shr:4 row_mask:0xf bank_mask:0xe
	v_min_i32_e32 v5, v14, v5
	s_nop 1
	v_mov_b32_dpp v14, v5 row_shr:8 row_mask:0xf bank_mask:0xc
	v_min_i32_e32 v5, v14, v5
	s_nop 1
	v_mov_b32_dpp v14, v5 row_bcast:15 row_mask:0xa bank_mask:0xf
	v_min_i32_e32 v5, v14, v5
	s_nop 1
	v_mov_b32_dpp v14, v5 row_bcast:31 row_mask:0xc bank_mask:0xf
	v_min_i32_e32 v5, v14, v5
	ds_bpermute_b32 v5, v25, v5
	s_waitcnt lgkmcnt(0)
	v_cmp_le_i32_e32 vcc, s5, v5
	s_or_b64 s[18:19], vcc, s[18:19]
	s_andn2_b64 exec, exec, s[18:19]
	s_cbranch_execz .LBB208_32
.LBB208_11:                             ; =>This Loop Header: Depth=1
                                        ;     Child Loop BB208_12 Depth 2
                                        ;     Child Loop BB208_16 Depth 2
	s_mov_b64 s[0:1], 0
	v_mov_b32_e32 v14, v26
	v_mov_b32_e32 v15, v29
	ds_write_b8 v20, v7 offset:8192
.LBB208_12:                             ;   Parent Loop BB208_11 Depth=1
                                        ; =>  This Inner Loop Header: Depth=2
	v_add_co_u32_e32 v15, vcc, 4, v15
	s_xor_b64 s[20:21], vcc, -1
	s_and_b64 s[20:21], exec, s[20:21]
	ds_write_b128 v14, v[0:3]
	s_or_b64 s[0:1], s[20:21], s[0:1]
	v_add_u32_e32 v14, 64, v14
	s_andn2_b64 exec, exec, s[0:1]
	s_cbranch_execnz .LBB208_12
; %bb.13:                               ;   in Loop: Header=BB208_11 Depth=1
	s_or_b64 exec, exec, s[0:1]
	v_add_u32_e32 v14, v18, v22
	v_cmp_lt_i32_e32 vcc, v14, v21
	v_mov_b32_e32 v31, s5
	v_mov_b32_e32 v15, v21
	s_waitcnt lgkmcnt(0)
	s_and_saveexec_b64 s[20:21], vcc
	s_cbranch_execz .LBB208_21
; %bb.14:                               ;   in Loop: Header=BB208_11 Depth=1
	v_ashrrev_i32_e32 v15, 31, v14
	v_mul_lo_u32 v32, v5, s7
	v_lshl_add_u64 v[16:17], v[14:15], 2, s[12:13]
	v_lshl_add_u64 v[18:19], v[14:15], 4, s[8:9]
	s_mov_b64 s[22:23], 0
	v_mov_b32_e32 v31, s5
	v_mov_b32_e32 v15, v21
	s_branch .LBB208_16
.LBB208_15:                             ;   in Loop: Header=BB208_16 Depth=2
	s_or_b64 exec, exec, s[0:1]
	v_add_u32_e32 v14, 4, v14
	v_cmp_ge_i32_e64 s[0:1], v14, v21
	s_xor_b64 s[30:31], vcc, -1
	s_or_b64 s[0:1], s[30:31], s[0:1]
	s_and_b64 s[0:1], exec, s[0:1]
	v_lshl_add_u64 v[16:17], v[16:17], 0, 16
	s_or_b64 s[22:23], s[0:1], s[22:23]
	v_lshl_add_u64 v[18:19], v[18:19], 0, 64
	s_andn2_b64 exec, exec, s[22:23]
	s_cbranch_execz .LBB208_20
.LBB208_16:                             ;   Parent Loop BB208_11 Depth=1
                                        ; =>  This Inner Loop Header: Depth=2
	global_load_dword v33, v[16:17], off
	s_waitcnt vmcnt(0)
	v_subrev_u32_e32 v33, s24, v33
	v_sub_u32_e32 v35, 0, v33
	v_max_i32_e32 v35, v33, v35
	v_mul_hi_u32 v36, v35, v28
	v_mul_lo_u32 v37, v36, s28
	v_sub_u32_e32 v35, v35, v37
	v_add_u32_e32 v38, 1, v36
	v_cmp_le_u32_e32 vcc, s28, v35
	v_subrev_u32_e32 v37, s28, v35
	v_ashrrev_i32_e32 v34, 31, v33
	v_cndmask_b32_e32 v36, v36, v38, vcc
	v_cndmask_b32_e32 v35, v35, v37, vcc
	v_add_u32_e32 v37, 1, v36
	v_cmp_le_u32_e32 vcc, s28, v35
	v_xor_b32_e32 v34, s4, v34
	s_nop 0
	v_cndmask_b32_e32 v35, v36, v37, vcc
	v_xor_b32_e32 v35, v35, v34
	v_sub_u32_e32 v35, v35, v34
	v_cmp_eq_u32_e32 vcc, v35, v5
	v_cmp_ne_u32_e64 s[0:1], v35, v5
	v_mov_b32_e32 v34, v15
	s_and_saveexec_b64 s[30:31], s[0:1]
	s_xor_b64 s[0:1], exec, s[30:31]
; %bb.17:                               ;   in Loop: Header=BB208_16 Depth=2
	v_min_i32_e32 v31, v35, v31
                                        ; implicit-def: $vgpr33
                                        ; implicit-def: $vgpr34
; %bb.18:                               ;   in Loop: Header=BB208_16 Depth=2
	s_or_saveexec_b64 s[0:1], s[0:1]
	v_mov_b32_e32 v15, v14
	s_xor_b64 exec, exec, s[0:1]
	s_cbranch_execz .LBB208_15
; %bb.19:                               ;   in Loop: Header=BB208_16 Depth=2
	global_load_dwordx4 v[36:39], v[18:19], off
	v_sub_u32_e32 v15, v33, v32
	v_add_lshl_u32 v15, v23, v15, 4
	ds_write_b8 v20, v30 offset:8192
	s_waitcnt vmcnt(0)
	ds_write2_b64 v15, v[36:37], v[38:39] offset1:1
	v_mov_b32_e32 v15, v34
	s_branch .LBB208_15
.LBB208_20:                             ;   in Loop: Header=BB208_11 Depth=1
	s_or_b64 exec, exec, s[22:23]
.LBB208_21:                             ;   in Loop: Header=BB208_11 Depth=1
	s_or_b64 exec, exec, s[20:21]
	v_mov_b32_dpp v14, v15 row_shr:1 row_mask:0xf bank_mask:0xf
	v_min_i32_e32 v14, v14, v15
	s_waitcnt lgkmcnt(0)
	ds_read_u8 v15, v20 offset:8192
	v_mov_b32_dpp v16, v14 row_shr:2 row_mask:0xf bank_mask:0xf
	v_min_i32_e32 v14, v16, v14
	ds_bpermute_b32 v18, v24, v14
	v_mov_b32_e32 v19, 0
	s_waitcnt lgkmcnt(1)
	v_and_b32_e32 v14, 1, v15
	v_cmp_eq_u32_e32 vcc, 1, v14
	s_and_saveexec_b64 s[0:1], vcc
	s_cbranch_execz .LBB208_10
; %bb.22:                               ;   in Loop: Header=BB208_11 Depth=1
	v_add_u32_e32 v16, s25, v5
	v_ashrrev_i32_e32 v5, 31, v4
	v_lshl_add_u64 v[14:15], v[4:5], 2, s[10:11]
	global_store_dword v[14:15], v16, off
	v_mul_lo_u32 v16, s26, v4
	v_mul_lo_u32 v5, s27, v5
	v_mad_u64_u32 v[14:15], s[20:21], s27, v4, 0
	v_add3_u32 v15, v15, v5, v16
	v_lshlrev_b64 v[14:15], 4, v[14:15]
	v_lshl_add_u64 v[16:17], v[8:9], 0, v[14:15]
	v_lshl_add_u64 v[14:15], v[10:11], 0, v[14:15]
	s_and_saveexec_b64 s[20:21], s[16:17]
	s_cbranch_execz .LBB208_26
; %bb.23:                               ;   in Loop: Header=BB208_11 Depth=1
	s_and_b64 vcc, exec, s[14:15]
	s_cbranch_vccz .LBB208_29
; %bb.24:                               ;   in Loop: Header=BB208_11 Depth=1
	ds_read2_b64 v[32:35], v26 offset1:1
	v_lshl_add_u64 v[36:37], v[6:7], 4, v[16:17]
	s_waitcnt lgkmcnt(0)
	global_store_dwordx4 v[36:37], v[32:35], off
	s_cbranch_execnz .LBB208_26
.LBB208_25:                             ;   in Loop: Header=BB208_11 Depth=1
	ds_read2_b64 v[32:35], v26 offset1:1
	s_waitcnt lgkmcnt(0)
	global_store_dwordx4 v[14:15], v[32:35], off
.LBB208_26:                             ;   in Loop: Header=BB208_11 Depth=1
	s_or_b64 exec, exec, s[20:21]
	v_mov_b32_e32 v19, 1
	s_and_saveexec_b64 s[20:21], s[2:3]
	s_cbranch_execz .LBB208_9
; %bb.27:                               ;   in Loop: Header=BB208_11 Depth=1
	s_andn2_b64 vcc, exec, s[14:15]
	s_cbranch_vccnz .LBB208_30
; %bb.28:                               ;   in Loop: Header=BB208_11 Depth=1
	ds_read2_b64 v[32:35], v27 offset1:1
	v_lshl_add_u64 v[16:17], v[12:13], 4, v[16:17]
	s_mov_b32 s6, 1
	s_waitcnt lgkmcnt(0)
	global_store_dwordx4 v[16:17], v[32:35], off
	s_cbranch_execnz .LBB208_8
	s_branch .LBB208_31
.LBB208_29:                             ;   in Loop: Header=BB208_11 Depth=1
	s_branch .LBB208_25
.LBB208_30:                             ;   in Loop: Header=BB208_11 Depth=1
                                        ; implicit-def: $sgpr6
.LBB208_31:                             ;   in Loop: Header=BB208_11 Depth=1
	ds_read2_b64 v[32:35], v27 offset1:1
	s_mov_b32 s6, 1
	s_waitcnt lgkmcnt(0)
	global_store_dwordx4 v[14:15], v[32:35], off offset:64
	s_branch .LBB208_8
.LBB208_32:
	s_endpgm
	.section	.rodata,"a",@progbits
	.p2align	6, 0x0
	.amdhsa_kernel _ZN9rocsparseL44csr2gebsr_wavefront_per_row_multipass_kernelILi256ELi16ELi8ELi64E21rocsparse_complex_numIdEEEv20rocsparse_direction_iiiiii21rocsparse_index_base_PKT3_PKiS9_S4_PS5_PiSB_
		.amdhsa_group_segment_fixed_size 8200
		.amdhsa_private_segment_fixed_size 0
		.amdhsa_kernarg_size 88
		.amdhsa_user_sgpr_count 2
		.amdhsa_user_sgpr_dispatch_ptr 0
		.amdhsa_user_sgpr_queue_ptr 0
		.amdhsa_user_sgpr_kernarg_segment_ptr 1
		.amdhsa_user_sgpr_dispatch_id 0
		.amdhsa_user_sgpr_kernarg_preload_length 0
		.amdhsa_user_sgpr_kernarg_preload_offset 0
		.amdhsa_user_sgpr_private_segment_size 0
		.amdhsa_uses_dynamic_stack 0
		.amdhsa_enable_private_segment 0
		.amdhsa_system_sgpr_workgroup_id_x 1
		.amdhsa_system_sgpr_workgroup_id_y 0
		.amdhsa_system_sgpr_workgroup_id_z 0
		.amdhsa_system_sgpr_workgroup_info 0
		.amdhsa_system_vgpr_workitem_id 0
		.amdhsa_next_free_vgpr 40
		.amdhsa_next_free_sgpr 32
		.amdhsa_accum_offset 40
		.amdhsa_reserve_vcc 1
		.amdhsa_float_round_mode_32 0
		.amdhsa_float_round_mode_16_64 0
		.amdhsa_float_denorm_mode_32 3
		.amdhsa_float_denorm_mode_16_64 3
		.amdhsa_dx10_clamp 1
		.amdhsa_ieee_mode 1
		.amdhsa_fp16_overflow 0
		.amdhsa_tg_split 0
		.amdhsa_exception_fp_ieee_invalid_op 0
		.amdhsa_exception_fp_denorm_src 0
		.amdhsa_exception_fp_ieee_div_zero 0
		.amdhsa_exception_fp_ieee_overflow 0
		.amdhsa_exception_fp_ieee_underflow 0
		.amdhsa_exception_fp_ieee_inexact 0
		.amdhsa_exception_int_div_zero 0
	.end_amdhsa_kernel
	.section	.text._ZN9rocsparseL44csr2gebsr_wavefront_per_row_multipass_kernelILi256ELi16ELi8ELi64E21rocsparse_complex_numIdEEEv20rocsparse_direction_iiiiii21rocsparse_index_base_PKT3_PKiS9_S4_PS5_PiSB_,"axG",@progbits,_ZN9rocsparseL44csr2gebsr_wavefront_per_row_multipass_kernelILi256ELi16ELi8ELi64E21rocsparse_complex_numIdEEEv20rocsparse_direction_iiiiii21rocsparse_index_base_PKT3_PKiS9_S4_PS5_PiSB_,comdat
.Lfunc_end208:
	.size	_ZN9rocsparseL44csr2gebsr_wavefront_per_row_multipass_kernelILi256ELi16ELi8ELi64E21rocsparse_complex_numIdEEEv20rocsparse_direction_iiiiii21rocsparse_index_base_PKT3_PKiS9_S4_PS5_PiSB_, .Lfunc_end208-_ZN9rocsparseL44csr2gebsr_wavefront_per_row_multipass_kernelILi256ELi16ELi8ELi64E21rocsparse_complex_numIdEEEv20rocsparse_direction_iiiiii21rocsparse_index_base_PKT3_PKiS9_S4_PS5_PiSB_
                                        ; -- End function
	.section	.AMDGPU.csdata,"",@progbits
; Kernel info:
; codeLenInByte = 1388
; NumSgprs: 38
; NumVgprs: 40
; NumAgprs: 0
; TotalNumVgprs: 40
; ScratchSize: 0
; MemoryBound: 0
; FloatMode: 240
; IeeeMode: 1
; LDSByteSize: 8200 bytes/workgroup (compile time only)
; SGPRBlocks: 4
; VGPRBlocks: 4
; NumSGPRsForWavesPerEU: 38
; NumVGPRsForWavesPerEU: 40
; AccumOffset: 40
; Occupancy: 7
; WaveLimiterHint : 0
; COMPUTE_PGM_RSRC2:SCRATCH_EN: 0
; COMPUTE_PGM_RSRC2:USER_SGPR: 2
; COMPUTE_PGM_RSRC2:TRAP_HANDLER: 0
; COMPUTE_PGM_RSRC2:TGID_X_EN: 1
; COMPUTE_PGM_RSRC2:TGID_Y_EN: 0
; COMPUTE_PGM_RSRC2:TGID_Z_EN: 0
; COMPUTE_PGM_RSRC2:TIDIG_COMP_CNT: 0
; COMPUTE_PGM_RSRC3_GFX90A:ACCUM_OFFSET: 9
; COMPUTE_PGM_RSRC3_GFX90A:TG_SPLIT: 0
	.section	.text._ZN9rocsparseL44csr2gebsr_wavefront_per_row_multipass_kernelILi256ELi16ELi8ELi32E21rocsparse_complex_numIdEEEv20rocsparse_direction_iiiiii21rocsparse_index_base_PKT3_PKiS9_S4_PS5_PiSB_,"axG",@progbits,_ZN9rocsparseL44csr2gebsr_wavefront_per_row_multipass_kernelILi256ELi16ELi8ELi32E21rocsparse_complex_numIdEEEv20rocsparse_direction_iiiiii21rocsparse_index_base_PKT3_PKiS9_S4_PS5_PiSB_,comdat
	.globl	_ZN9rocsparseL44csr2gebsr_wavefront_per_row_multipass_kernelILi256ELi16ELi8ELi32E21rocsparse_complex_numIdEEEv20rocsparse_direction_iiiiii21rocsparse_index_base_PKT3_PKiS9_S4_PS5_PiSB_ ; -- Begin function _ZN9rocsparseL44csr2gebsr_wavefront_per_row_multipass_kernelILi256ELi16ELi8ELi32E21rocsparse_complex_numIdEEEv20rocsparse_direction_iiiiii21rocsparse_index_base_PKT3_PKiS9_S4_PS5_PiSB_
	.p2align	8
	.type	_ZN9rocsparseL44csr2gebsr_wavefront_per_row_multipass_kernelILi256ELi16ELi8ELi32E21rocsparse_complex_numIdEEEv20rocsparse_direction_iiiiii21rocsparse_index_base_PKT3_PKiS9_S4_PS5_PiSB_,@function
_ZN9rocsparseL44csr2gebsr_wavefront_per_row_multipass_kernelILi256ELi16ELi8ELi32E21rocsparse_complex_numIdEEEv20rocsparse_direction_iiiiii21rocsparse_index_base_PKT3_PKiS9_S4_PS5_PiSB_: ; @_ZN9rocsparseL44csr2gebsr_wavefront_per_row_multipass_kernelILi256ELi16ELi8ELi32E21rocsparse_complex_numIdEEEv20rocsparse_direction_iiiiii21rocsparse_index_base_PKT3_PKiS9_S4_PS5_PiSB_
; %bb.0:
	s_load_dwordx2 s[4:5], s[0:1], 0x0
	s_load_dwordx4 s[8:11], s[0:1], 0xc
	s_load_dword s30, s[0:1], 0x1c
	s_load_dwordx2 s[6:7], s[0:1], 0x28
	v_lshrrev_b32_e32 v24, 5, v0
	v_bfe_u32 v2, v0, 1, 4
	v_lshl_or_b32 v6, s2, 3, v24
	s_waitcnt lgkmcnt(0)
	v_mad_u64_u32 v[4:5], s[2:3], v6, s10, v[2:3]
	v_cmp_gt_i32_e64 s[2:3], s5, v4
	v_cmp_gt_i32_e32 vcc, s10, v2
	s_and_b64 s[2:3], vcc, s[2:3]
	v_mov_b32_e32 v25, 0
	v_mov_b32_e32 v22, 0
	s_and_saveexec_b64 s[12:13], s[2:3]
	s_cbranch_execz .LBB209_2
; %bb.1:
	v_ashrrev_i32_e32 v5, 31, v4
	v_lshl_add_u64 v[8:9], v[4:5], 2, s[6:7]
	global_load_dword v1, v[8:9], off
	s_waitcnt vmcnt(0)
	v_subrev_u32_e32 v22, s30, v1
.LBB209_2:
	s_or_b64 exec, exec, s[12:13]
	s_and_saveexec_b64 s[12:13], s[2:3]
	s_cbranch_execz .LBB209_4
; %bb.3:
	v_ashrrev_i32_e32 v5, 31, v4
	v_lshl_add_u64 v[4:5], v[4:5], 2, s[6:7]
	global_load_dword v1, v[4:5], off offset:4
	s_waitcnt vmcnt(0)
	v_subrev_u32_e32 v25, s30, v1
.LBB209_4:
	s_or_b64 exec, exec, s[12:13]
	s_load_dword s31, s[0:1], 0x38
	v_cmp_gt_i32_e64 s[2:3], s8, v6
	v_mov_b32_e32 v4, 0
	s_and_saveexec_b64 s[6:7], s[2:3]
	s_cbranch_execz .LBB209_6
; %bb.5:
	s_load_dwordx2 s[2:3], s[0:1], 0x48
	v_ashrrev_i32_e32 v7, 31, v6
	s_waitcnt lgkmcnt(0)
	v_lshl_add_u64 v[4:5], v[6:7], 2, s[2:3]
	global_load_dword v1, v[4:5], off
	s_waitcnt vmcnt(0)
	v_subrev_u32_e32 v4, s31, v1
.LBB209_6:
	s_or_b64 exec, exec, s[6:7]
	s_cmp_lt_i32 s9, 1
	s_cbranch_scc1 .LBB209_42
; %bb.7:
	v_and_b32_e32 v26, 1, v0
	v_lshlrev_b32_e32 v0, 7, v24
	s_load_dwordx2 s[12:13], s[0:1], 0x20
	s_load_dwordx2 s[14:15], s[0:1], 0x50
	;; [unrolled: 1-line block ×4, first 2 shown]
	v_lshl_or_b32 v27, v2, 3, v0
	v_mbcnt_lo_u32_b32 v0, -1, 0
	v_mbcnt_hi_u32_b32 v0, -1, v0
	v_lshlrev_b32_e32 v3, 2, v0
	v_mul_lo_u32 v0, v2, s11
	v_mov_b32_e32 v7, 0
	s_cmp_lg_u32 s4, 0
	v_lshlrev_b32_e32 v6, 4, v2
	v_ashrrev_i32_e32 v1, 31, v0
	s_cselect_b64 s[18:19], -1, 0
	s_ashr_i32 s8, s11, 31
	s_waitcnt lgkmcnt(0)
	v_lshl_add_u64 v[8:9], s[2:3], 0, v[6:7]
	v_lshl_add_u64 v[0:1], v[0:1], 4, s[2:3]
	v_lshlrev_b32_e32 v6, 4, v26
	s_mul_hi_u32 s0, s11, s10
	s_mul_i32 s1, s8, s10
	s_mul_i32 s34, s11, s10
	v_lshl_add_u64 v[10:11], v[0:1], 0, v[6:7]
	v_mul_lo_u32 v6, v26, s10
	s_lshl_b32 s20, s10, 1
	s_abs_i32 s10, s11
	v_cvt_f32_u32_e32 v1, s10
	v_or_b32_e32 v0, 2, v26
	v_cmp_gt_u32_e64 s[2:3], s11, v0
	v_or_b32_e32 v0, 4, v26
	v_cmp_gt_u32_e64 s[4:5], s11, v0
	v_or_b32_e32 v0, 6, v26
	v_cmp_gt_u32_e64 s[6:7], s11, v0
	v_rcp_iflag_f32_e32 v0, v1
	v_add_u32_e32 v12, s20, v6
	s_add_i32 s33, s0, s1
	v_cmp_gt_u32_e64 s[0:1], s11, v26
	v_mul_f32_e32 v0, 0x4f7ffffe, v0
	v_cvt_u32_f32_e32 v0, v0
	v_add_u32_e32 v14, s20, v12
	v_add_u32_e32 v16, s20, v14
	s_and_b64 s[20:21], s[0:1], vcc
	s_sub_i32 s0, 0, s10
	v_or_b32_e32 v5, v27, v26
	v_mul_lo_u32 v1, s0, v0
	v_lshlrev_b32_e32 v30, 4, v5
	v_mul_hi_u32 v1, v0, v1
	v_cndmask_b32_e64 v5, 0, 1, s[18:19]
	v_or_b32_e32 v28, 4, v3
	v_or_b32_e32 v29, 0x7c, v3
	;; [unrolled: 1-line block ×3, first 2 shown]
	v_mov_b32_e32 v13, v7
	v_or_b32_e32 v32, 64, v30
	v_mov_b32_e32 v15, v7
	v_or_b32_e32 v33, 0x60, v30
	v_mov_b32_e32 v17, v7
	s_and_b64 s[22:23], vcc, s[2:3]
	s_and_b64 s[4:5], vcc, s[4:5]
	;; [unrolled: 1-line block ×3, first 2 shown]
	v_add_u32_e32 v34, v0, v1
	v_or_b32_e32 v35, -2, v26
	s_mov_b64 s[24:25], 0
	v_mov_b32_e32 v0, v7
	v_mov_b32_e32 v1, v7
	;; [unrolled: 1-line block ×4, first 2 shown]
	v_cmp_ne_u32_e64 s[0:1], 1, v5
	v_mov_b32_e32 v36, 1
	v_mov_b32_e32 v5, v7
	s_branch .LBB209_11
.LBB209_8:                              ;   in Loop: Header=BB209_11 Depth=1
	v_mov_b32_e32 v23, s35
.LBB209_9:                              ;   in Loop: Header=BB209_11 Depth=1
	s_or_b64 exec, exec, s[26:27]
.LBB209_10:                             ;   in Loop: Header=BB209_11 Depth=1
	s_or_b64 exec, exec, s[2:3]
	v_mov_b32_dpp v5, v37 row_shr:1 row_mask:0xf bank_mask:0xf
	v_min_i32_e32 v5, v5, v37
	v_add_u32_e32 v4, v23, v4
	s_waitcnt lgkmcnt(0)
	v_mov_b32_dpp v18, v5 row_shr:2 row_mask:0xf bank_mask:0xf
	v_min_i32_e32 v5, v18, v5
	s_nop 1
	v_mov_b32_dpp v18, v5 row_shr:4 row_mask:0xf bank_mask:0xe
	v_min_i32_e32 v5, v18, v5
	s_nop 1
	;; [unrolled: 3-line block ×3, first 2 shown]
	v_mov_b32_dpp v18, v5 row_bcast:15 row_mask:0xa bank_mask:0xf
	v_min_i32_e32 v5, v18, v5
	ds_bpermute_b32 v5, v29, v5
	s_waitcnt lgkmcnt(0)
	v_cmp_le_i32_e32 vcc, s9, v5
	s_or_b64 s[24:25], vcc, s[24:25]
	s_andn2_b64 exec, exec, s[24:25]
	s_cbranch_execz .LBB209_42
.LBB209_11:                             ; =>This Loop Header: Depth=1
                                        ;     Child Loop BB209_12 Depth 2
                                        ;     Child Loop BB209_16 Depth 2
	s_mov_b64 s[2:3], 0
	v_mov_b32_e32 v18, v30
	v_mov_b32_e32 v19, v35
	ds_write_b8 v24, v7 offset:16384
.LBB209_12:                             ;   Parent Loop BB209_11 Depth=1
                                        ; =>  This Inner Loop Header: Depth=2
	v_add_u32_e32 v19, 2, v19
	v_cmp_lt_u32_e32 vcc, 5, v19
	ds_write_b128 v18, v[0:3]
	s_or_b64 s[2:3], vcc, s[2:3]
	v_add_u32_e32 v18, 32, v18
	s_andn2_b64 exec, exec, s[2:3]
	s_cbranch_execnz .LBB209_12
; %bb.13:                               ;   in Loop: Header=BB209_11 Depth=1
	s_or_b64 exec, exec, s[2:3]
	v_add_u32_e32 v18, v22, v26
	v_cmp_lt_i32_e32 vcc, v18, v25
	v_mov_b32_e32 v37, s9
	v_mov_b32_e32 v19, v25
	s_waitcnt lgkmcnt(0)
	s_and_saveexec_b64 s[26:27], vcc
	s_cbranch_execz .LBB209_21
; %bb.14:                               ;   in Loop: Header=BB209_11 Depth=1
	v_ashrrev_i32_e32 v19, 31, v18
	v_mul_lo_u32 v38, v5, s11
	v_lshl_add_u64 v[20:21], v[18:19], 2, s[16:17]
	v_lshl_add_u64 v[22:23], v[18:19], 4, s[12:13]
	s_mov_b64 s[28:29], 0
	v_mov_b32_e32 v37, s9
	v_mov_b32_e32 v19, v25
	s_branch .LBB209_16
.LBB209_15:                             ;   in Loop: Header=BB209_16 Depth=2
	s_or_b64 exec, exec, s[2:3]
	v_add_u32_e32 v18, 2, v18
	v_cmp_ge_i32_e64 s[2:3], v18, v25
	s_xor_b64 s[36:37], vcc, -1
	s_or_b64 s[2:3], s[36:37], s[2:3]
	s_and_b64 s[2:3], exec, s[2:3]
	v_lshl_add_u64 v[20:21], v[20:21], 0, 8
	s_or_b64 s[28:29], s[2:3], s[28:29]
	v_lshl_add_u64 v[22:23], v[22:23], 0, 32
	s_andn2_b64 exec, exec, s[28:29]
	s_cbranch_execz .LBB209_20
.LBB209_16:                             ;   Parent Loop BB209_11 Depth=1
                                        ; =>  This Inner Loop Header: Depth=2
	global_load_dword v39, v[20:21], off
	s_waitcnt vmcnt(0)
	v_subrev_u32_e32 v39, s30, v39
	v_sub_u32_e32 v41, 0, v39
	v_max_i32_e32 v41, v39, v41
	v_mul_hi_u32 v42, v41, v34
	v_mul_lo_u32 v43, v42, s10
	v_sub_u32_e32 v41, v41, v43
	v_add_u32_e32 v44, 1, v42
	v_cmp_le_u32_e32 vcc, s10, v41
	v_subrev_u32_e32 v43, s10, v41
	v_ashrrev_i32_e32 v40, 31, v39
	v_cndmask_b32_e32 v42, v42, v44, vcc
	v_cndmask_b32_e32 v41, v41, v43, vcc
	v_add_u32_e32 v43, 1, v42
	v_cmp_le_u32_e32 vcc, s10, v41
	v_xor_b32_e32 v40, s8, v40
	s_nop 0
	v_cndmask_b32_e32 v41, v42, v43, vcc
	v_xor_b32_e32 v41, v41, v40
	v_sub_u32_e32 v41, v41, v40
	v_cmp_eq_u32_e32 vcc, v41, v5
	v_cmp_ne_u32_e64 s[2:3], v41, v5
	v_mov_b32_e32 v40, v19
	s_and_saveexec_b64 s[36:37], s[2:3]
	s_xor_b64 s[2:3], exec, s[36:37]
; %bb.17:                               ;   in Loop: Header=BB209_16 Depth=2
	v_min_i32_e32 v37, v41, v37
                                        ; implicit-def: $vgpr39
                                        ; implicit-def: $vgpr40
; %bb.18:                               ;   in Loop: Header=BB209_16 Depth=2
	s_or_saveexec_b64 s[2:3], s[2:3]
	v_mov_b32_e32 v19, v18
	s_xor_b64 exec, exec, s[2:3]
	s_cbranch_execz .LBB209_15
; %bb.19:                               ;   in Loop: Header=BB209_16 Depth=2
	global_load_dwordx4 v[42:45], v[22:23], off
	v_sub_u32_e32 v19, v39, v38
	v_add_lshl_u32 v19, v27, v19, 4
	ds_write_b8 v24, v36 offset:16384
	s_waitcnt vmcnt(0)
	ds_write2_b64 v19, v[42:43], v[44:45] offset1:1
	v_mov_b32_e32 v19, v40
	s_branch .LBB209_15
.LBB209_20:                             ;   in Loop: Header=BB209_11 Depth=1
	s_or_b64 exec, exec, s[28:29]
.LBB209_21:                             ;   in Loop: Header=BB209_11 Depth=1
	s_or_b64 exec, exec, s[26:27]
	s_waitcnt lgkmcnt(0)
	ds_read_u8 v18, v24 offset:16384
	v_mov_b32_dpp v20, v19 row_shr:1 row_mask:0xf bank_mask:0xf
	v_min_i32_e32 v19, v20, v19
	ds_bpermute_b32 v22, v28, v19
	v_mov_b32_e32 v23, 0
	s_waitcnt lgkmcnt(1)
	v_and_b32_e32 v18, 1, v18
	v_cmp_eq_u32_e32 vcc, 1, v18
	s_and_saveexec_b64 s[2:3], vcc
	s_cbranch_execz .LBB209_10
; %bb.22:                               ;   in Loop: Header=BB209_11 Depth=1
	v_add_u32_e32 v20, s31, v5
	v_ashrrev_i32_e32 v5, 31, v4
	v_lshl_add_u64 v[18:19], v[4:5], 2, s[14:15]
	global_store_dword v[18:19], v20, off
	v_mul_lo_u32 v20, s33, v4
	v_mul_lo_u32 v5, s34, v5
	v_mad_u64_u32 v[18:19], s[26:27], s34, v4, 0
	v_add3_u32 v19, v19, v5, v20
	v_lshlrev_b64 v[18:19], 4, v[18:19]
	v_lshl_add_u64 v[20:21], v[8:9], 0, v[18:19]
	v_lshl_add_u64 v[18:19], v[10:11], 0, v[18:19]
	s_and_saveexec_b64 s[26:27], s[20:21]
	s_cbranch_execz .LBB209_26
; %bb.23:                               ;   in Loop: Header=BB209_11 Depth=1
	s_and_b64 vcc, exec, s[18:19]
	s_cbranch_vccz .LBB209_37
; %bb.24:                               ;   in Loop: Header=BB209_11 Depth=1
	ds_read2_b64 v[38:41], v30 offset1:1
	v_lshl_add_u64 v[42:43], v[6:7], 4, v[20:21]
	s_waitcnt lgkmcnt(0)
	global_store_dwordx4 v[42:43], v[38:41], off
	s_cbranch_execnz .LBB209_26
.LBB209_25:                             ;   in Loop: Header=BB209_11 Depth=1
	ds_read2_b64 v[38:41], v30 offset1:1
	s_waitcnt lgkmcnt(0)
	global_store_dwordx4 v[18:19], v[38:41], off
.LBB209_26:                             ;   in Loop: Header=BB209_11 Depth=1
	s_or_b64 exec, exec, s[26:27]
	s_and_saveexec_b64 s[26:27], s[22:23]
	s_cbranch_execz .LBB209_30
; %bb.27:                               ;   in Loop: Header=BB209_11 Depth=1
	s_and_b64 vcc, exec, s[0:1]
	s_cbranch_vccnz .LBB209_38
; %bb.28:                               ;   in Loop: Header=BB209_11 Depth=1
	ds_read2_b64 v[38:41], v31 offset1:1
	v_lshl_add_u64 v[42:43], v[12:13], 4, v[20:21]
	s_waitcnt lgkmcnt(0)
	global_store_dwordx4 v[42:43], v[38:41], off
	s_cbranch_execnz .LBB209_30
.LBB209_29:                             ;   in Loop: Header=BB209_11 Depth=1
	ds_read2_b64 v[38:41], v31 offset1:1
	s_waitcnt lgkmcnt(0)
	global_store_dwordx4 v[18:19], v[38:41], off offset:32
.LBB209_30:                             ;   in Loop: Header=BB209_11 Depth=1
	s_or_b64 exec, exec, s[26:27]
	s_and_saveexec_b64 s[26:27], s[4:5]
	s_cbranch_execz .LBB209_34
; %bb.31:                               ;   in Loop: Header=BB209_11 Depth=1
	s_and_b64 vcc, exec, s[0:1]
	s_cbranch_vccnz .LBB209_39
; %bb.32:                               ;   in Loop: Header=BB209_11 Depth=1
	ds_read2_b64 v[38:41], v32 offset1:1
	v_lshl_add_u64 v[42:43], v[14:15], 4, v[20:21]
	s_waitcnt lgkmcnt(0)
	global_store_dwordx4 v[42:43], v[38:41], off
	s_cbranch_execnz .LBB209_34
.LBB209_33:                             ;   in Loop: Header=BB209_11 Depth=1
	ds_read2_b64 v[38:41], v32 offset1:1
	s_waitcnt lgkmcnt(0)
	global_store_dwordx4 v[18:19], v[38:41], off offset:64
.LBB209_34:                             ;   in Loop: Header=BB209_11 Depth=1
	s_or_b64 exec, exec, s[26:27]
	v_mov_b32_e32 v23, 1
	s_and_saveexec_b64 s[26:27], s[6:7]
	s_cbranch_execz .LBB209_9
; %bb.35:                               ;   in Loop: Header=BB209_11 Depth=1
	s_and_b64 vcc, exec, s[0:1]
	s_cbranch_vccnz .LBB209_40
; %bb.36:                               ;   in Loop: Header=BB209_11 Depth=1
	ds_read2_b64 v[38:41], v33 offset1:1
	v_lshl_add_u64 v[20:21], v[16:17], 4, v[20:21]
	s_mov_b32 s35, 1
	s_waitcnt lgkmcnt(0)
	global_store_dwordx4 v[20:21], v[38:41], off
	s_cbranch_execnz .LBB209_8
	s_branch .LBB209_41
.LBB209_37:                             ;   in Loop: Header=BB209_11 Depth=1
	s_branch .LBB209_25
.LBB209_38:                             ;   in Loop: Header=BB209_11 Depth=1
	s_branch .LBB209_29
.LBB209_39:                             ;   in Loop: Header=BB209_11 Depth=1
	s_branch .LBB209_33
.LBB209_40:                             ;   in Loop: Header=BB209_11 Depth=1
                                        ; implicit-def: $sgpr35
.LBB209_41:                             ;   in Loop: Header=BB209_11 Depth=1
	ds_read2_b64 v[38:41], v33 offset1:1
	s_mov_b32 s35, 1
	s_waitcnt lgkmcnt(0)
	global_store_dwordx4 v[18:19], v[38:41], off offset:96
	s_branch .LBB209_8
.LBB209_42:
	s_endpgm
	.section	.rodata,"a",@progbits
	.p2align	6, 0x0
	.amdhsa_kernel _ZN9rocsparseL44csr2gebsr_wavefront_per_row_multipass_kernelILi256ELi16ELi8ELi32E21rocsparse_complex_numIdEEEv20rocsparse_direction_iiiiii21rocsparse_index_base_PKT3_PKiS9_S4_PS5_PiSB_
		.amdhsa_group_segment_fixed_size 16392
		.amdhsa_private_segment_fixed_size 0
		.amdhsa_kernarg_size 88
		.amdhsa_user_sgpr_count 2
		.amdhsa_user_sgpr_dispatch_ptr 0
		.amdhsa_user_sgpr_queue_ptr 0
		.amdhsa_user_sgpr_kernarg_segment_ptr 1
		.amdhsa_user_sgpr_dispatch_id 0
		.amdhsa_user_sgpr_kernarg_preload_length 0
		.amdhsa_user_sgpr_kernarg_preload_offset 0
		.amdhsa_user_sgpr_private_segment_size 0
		.amdhsa_uses_dynamic_stack 0
		.amdhsa_enable_private_segment 0
		.amdhsa_system_sgpr_workgroup_id_x 1
		.amdhsa_system_sgpr_workgroup_id_y 0
		.amdhsa_system_sgpr_workgroup_id_z 0
		.amdhsa_system_sgpr_workgroup_info 0
		.amdhsa_system_vgpr_workitem_id 0
		.amdhsa_next_free_vgpr 46
		.amdhsa_next_free_sgpr 38
		.amdhsa_accum_offset 48
		.amdhsa_reserve_vcc 1
		.amdhsa_float_round_mode_32 0
		.amdhsa_float_round_mode_16_64 0
		.amdhsa_float_denorm_mode_32 3
		.amdhsa_float_denorm_mode_16_64 3
		.amdhsa_dx10_clamp 1
		.amdhsa_ieee_mode 1
		.amdhsa_fp16_overflow 0
		.amdhsa_tg_split 0
		.amdhsa_exception_fp_ieee_invalid_op 0
		.amdhsa_exception_fp_denorm_src 0
		.amdhsa_exception_fp_ieee_div_zero 0
		.amdhsa_exception_fp_ieee_overflow 0
		.amdhsa_exception_fp_ieee_underflow 0
		.amdhsa_exception_fp_ieee_inexact 0
		.amdhsa_exception_int_div_zero 0
	.end_amdhsa_kernel
	.section	.text._ZN9rocsparseL44csr2gebsr_wavefront_per_row_multipass_kernelILi256ELi16ELi8ELi32E21rocsparse_complex_numIdEEEv20rocsparse_direction_iiiiii21rocsparse_index_base_PKT3_PKiS9_S4_PS5_PiSB_,"axG",@progbits,_ZN9rocsparseL44csr2gebsr_wavefront_per_row_multipass_kernelILi256ELi16ELi8ELi32E21rocsparse_complex_numIdEEEv20rocsparse_direction_iiiiii21rocsparse_index_base_PKT3_PKiS9_S4_PS5_PiSB_,comdat
.Lfunc_end209:
	.size	_ZN9rocsparseL44csr2gebsr_wavefront_per_row_multipass_kernelILi256ELi16ELi8ELi32E21rocsparse_complex_numIdEEEv20rocsparse_direction_iiiiii21rocsparse_index_base_PKT3_PKiS9_S4_PS5_PiSB_, .Lfunc_end209-_ZN9rocsparseL44csr2gebsr_wavefront_per_row_multipass_kernelILi256ELi16ELi8ELi32E21rocsparse_complex_numIdEEEv20rocsparse_direction_iiiiii21rocsparse_index_base_PKT3_PKiS9_S4_PS5_PiSB_
                                        ; -- End function
	.section	.AMDGPU.csdata,"",@progbits
; Kernel info:
; codeLenInByte = 1584
; NumSgprs: 44
; NumVgprs: 46
; NumAgprs: 0
; TotalNumVgprs: 46
; ScratchSize: 0
; MemoryBound: 0
; FloatMode: 240
; IeeeMode: 1
; LDSByteSize: 16392 bytes/workgroup (compile time only)
; SGPRBlocks: 5
; VGPRBlocks: 5
; NumSGPRsForWavesPerEU: 44
; NumVGPRsForWavesPerEU: 46
; AccumOffset: 48
; Occupancy: 3
; WaveLimiterHint : 0
; COMPUTE_PGM_RSRC2:SCRATCH_EN: 0
; COMPUTE_PGM_RSRC2:USER_SGPR: 2
; COMPUTE_PGM_RSRC2:TRAP_HANDLER: 0
; COMPUTE_PGM_RSRC2:TGID_X_EN: 1
; COMPUTE_PGM_RSRC2:TGID_Y_EN: 0
; COMPUTE_PGM_RSRC2:TGID_Z_EN: 0
; COMPUTE_PGM_RSRC2:TIDIG_COMP_CNT: 0
; COMPUTE_PGM_RSRC3_GFX90A:ACCUM_OFFSET: 11
; COMPUTE_PGM_RSRC3_GFX90A:TG_SPLIT: 0
	.section	.text._ZN9rocsparseL44csr2gebsr_wavefront_per_row_multipass_kernelILi256ELi16ELi16ELi64E21rocsparse_complex_numIdEEEv20rocsparse_direction_iiiiii21rocsparse_index_base_PKT3_PKiS9_S4_PS5_PiSB_,"axG",@progbits,_ZN9rocsparseL44csr2gebsr_wavefront_per_row_multipass_kernelILi256ELi16ELi16ELi64E21rocsparse_complex_numIdEEEv20rocsparse_direction_iiiiii21rocsparse_index_base_PKT3_PKiS9_S4_PS5_PiSB_,comdat
	.globl	_ZN9rocsparseL44csr2gebsr_wavefront_per_row_multipass_kernelILi256ELi16ELi16ELi64E21rocsparse_complex_numIdEEEv20rocsparse_direction_iiiiii21rocsparse_index_base_PKT3_PKiS9_S4_PS5_PiSB_ ; -- Begin function _ZN9rocsparseL44csr2gebsr_wavefront_per_row_multipass_kernelILi256ELi16ELi16ELi64E21rocsparse_complex_numIdEEEv20rocsparse_direction_iiiiii21rocsparse_index_base_PKT3_PKiS9_S4_PS5_PiSB_
	.p2align	8
	.type	_ZN9rocsparseL44csr2gebsr_wavefront_per_row_multipass_kernelILi256ELi16ELi16ELi64E21rocsparse_complex_numIdEEEv20rocsparse_direction_iiiiii21rocsparse_index_base_PKT3_PKiS9_S4_PS5_PiSB_,@function
_ZN9rocsparseL44csr2gebsr_wavefront_per_row_multipass_kernelILi256ELi16ELi16ELi64E21rocsparse_complex_numIdEEEv20rocsparse_direction_iiiiii21rocsparse_index_base_PKT3_PKiS9_S4_PS5_PiSB_: ; @_ZN9rocsparseL44csr2gebsr_wavefront_per_row_multipass_kernelILi256ELi16ELi16ELi64E21rocsparse_complex_numIdEEEv20rocsparse_direction_iiiiii21rocsparse_index_base_PKT3_PKiS9_S4_PS5_PiSB_
; %bb.0:
	s_load_dwordx2 s[4:5], s[0:1], 0x0
	s_load_dwordx4 s[8:11], s[0:1], 0xc
	s_load_dword s30, s[0:1], 0x1c
	s_load_dwordx2 s[6:7], s[0:1], 0x28
	v_lshrrev_b32_e32 v24, 6, v0
	v_bfe_u32 v2, v0, 2, 4
	v_lshl_or_b32 v6, s2, 2, v24
	s_waitcnt lgkmcnt(0)
	v_mad_u64_u32 v[4:5], s[2:3], v6, s10, v[2:3]
	v_cmp_gt_i32_e64 s[2:3], s5, v4
	v_cmp_gt_i32_e32 vcc, s10, v2
	s_and_b64 s[2:3], vcc, s[2:3]
	v_mov_b32_e32 v25, 0
	v_mov_b32_e32 v22, 0
	s_and_saveexec_b64 s[12:13], s[2:3]
	s_cbranch_execz .LBB210_2
; %bb.1:
	v_ashrrev_i32_e32 v5, 31, v4
	v_lshl_add_u64 v[8:9], v[4:5], 2, s[6:7]
	global_load_dword v1, v[8:9], off
	s_waitcnt vmcnt(0)
	v_subrev_u32_e32 v22, s30, v1
.LBB210_2:
	s_or_b64 exec, exec, s[12:13]
	s_and_saveexec_b64 s[12:13], s[2:3]
	s_cbranch_execz .LBB210_4
; %bb.3:
	v_ashrrev_i32_e32 v5, 31, v4
	v_lshl_add_u64 v[4:5], v[4:5], 2, s[6:7]
	global_load_dword v1, v[4:5], off offset:4
	s_waitcnt vmcnt(0)
	v_subrev_u32_e32 v25, s30, v1
.LBB210_4:
	s_or_b64 exec, exec, s[12:13]
	s_load_dword s31, s[0:1], 0x38
	v_cmp_gt_i32_e64 s[2:3], s8, v6
	v_mov_b32_e32 v4, 0
	s_and_saveexec_b64 s[6:7], s[2:3]
	s_cbranch_execz .LBB210_6
; %bb.5:
	s_load_dwordx2 s[2:3], s[0:1], 0x48
	v_ashrrev_i32_e32 v7, 31, v6
	s_waitcnt lgkmcnt(0)
	v_lshl_add_u64 v[4:5], v[6:7], 2, s[2:3]
	global_load_dword v1, v[4:5], off
	s_waitcnt vmcnt(0)
	v_subrev_u32_e32 v4, s31, v1
.LBB210_6:
	s_or_b64 exec, exec, s[6:7]
	s_cmp_lt_i32 s9, 1
	s_cbranch_scc1 .LBB210_42
; %bb.7:
	s_load_dwordx2 s[12:13], s[0:1], 0x20
	s_load_dwordx2 s[14:15], s[0:1], 0x50
	;; [unrolled: 1-line block ×4, first 2 shown]
	v_and_b32_e32 v26, 3, v0
	v_mbcnt_lo_u32_b32 v0, -1, 0
	v_mbcnt_hi_u32_b32 v0, -1, v0
	v_lshlrev_b32_e32 v3, 2, v0
	v_mul_lo_u32 v0, v2, s11
	v_lshlrev_b32_e32 v6, 4, v2
	v_mov_b32_e32 v7, 0
	s_cmp_lg_u32 s4, 0
	v_ashrrev_i32_e32 v1, 31, v0
	v_lshl_or_b32 v27, v24, 8, v6
	s_cselect_b64 s[18:19], -1, 0
	s_ashr_i32 s8, s11, 31
	s_waitcnt lgkmcnt(0)
	v_lshl_add_u64 v[8:9], s[2:3], 0, v[6:7]
	v_lshl_add_u64 v[0:1], v[0:1], 4, s[2:3]
	v_lshlrev_b32_e32 v6, 4, v26
	s_mul_hi_u32 s0, s11, s10
	s_mul_i32 s1, s8, s10
	s_mul_i32 s34, s11, s10
	v_lshl_add_u64 v[10:11], v[0:1], 0, v[6:7]
	v_mul_lo_u32 v6, v26, s10
	s_lshl_b32 s20, s10, 2
	s_abs_i32 s10, s11
	v_cvt_f32_u32_e32 v1, s10
	v_or_b32_e32 v0, 4, v26
	v_cmp_gt_u32_e64 s[2:3], s11, v0
	v_or_b32_e32 v0, 8, v26
	v_cmp_gt_u32_e64 s[4:5], s11, v0
	;; [unrolled: 2-line block ×3, first 2 shown]
	v_rcp_iflag_f32_e32 v0, v1
	v_add_u32_e32 v12, s20, v6
	s_add_i32 s33, s0, s1
	v_cmp_gt_u32_e64 s[0:1], s11, v26
	v_mul_f32_e32 v0, 0x4f7ffffe, v0
	v_cvt_u32_f32_e32 v0, v0
	v_add_u32_e32 v14, s20, v12
	v_add_u32_e32 v16, s20, v14
	s_and_b64 s[20:21], s[0:1], vcc
	s_sub_i32 s0, 0, s10
	v_or_b32_e32 v5, v27, v26
	v_mul_lo_u32 v1, s0, v0
	v_lshlrev_b32_e32 v30, 4, v5
	v_mul_hi_u32 v1, v0, v1
	v_cndmask_b32_e64 v5, 0, 1, s[18:19]
	v_or_b32_e32 v28, 12, v3
	v_or_b32_e32 v29, 0xfc, v3
	;; [unrolled: 1-line block ×3, first 2 shown]
	v_mov_b32_e32 v13, v7
	v_or_b32_e32 v32, 0x80, v30
	v_mov_b32_e32 v15, v7
	v_or_b32_e32 v33, 0xc0, v30
	v_mov_b32_e32 v17, v7
	s_and_b64 s[22:23], vcc, s[2:3]
	s_and_b64 s[4:5], vcc, s[4:5]
	;; [unrolled: 1-line block ×3, first 2 shown]
	v_add_u32_e32 v34, v0, v1
	v_or_b32_e32 v35, -4, v26
	s_mov_b64 s[24:25], 0
	v_mov_b32_e32 v0, v7
	v_mov_b32_e32 v1, v7
	;; [unrolled: 1-line block ×4, first 2 shown]
	v_cmp_ne_u32_e64 s[0:1], 1, v5
	v_mov_b32_e32 v36, 1
	v_mov_b32_e32 v5, v7
	s_branch .LBB210_11
.LBB210_8:                              ;   in Loop: Header=BB210_11 Depth=1
	v_mov_b32_e32 v23, s35
.LBB210_9:                              ;   in Loop: Header=BB210_11 Depth=1
	s_or_b64 exec, exec, s[26:27]
.LBB210_10:                             ;   in Loop: Header=BB210_11 Depth=1
	s_or_b64 exec, exec, s[2:3]
	v_mov_b32_dpp v5, v37 row_shr:1 row_mask:0xf bank_mask:0xf
	v_min_i32_e32 v5, v5, v37
	v_add_u32_e32 v4, v23, v4
	s_waitcnt lgkmcnt(0)
	v_mov_b32_dpp v18, v5 row_shr:2 row_mask:0xf bank_mask:0xf
	v_min_i32_e32 v5, v18, v5
	s_nop 1
	v_mov_b32_dpp v18, v5 row_shr:4 row_mask:0xf bank_mask:0xe
	v_min_i32_e32 v5, v18, v5
	s_nop 1
	;; [unrolled: 3-line block ×3, first 2 shown]
	v_mov_b32_dpp v18, v5 row_bcast:15 row_mask:0xa bank_mask:0xf
	v_min_i32_e32 v5, v18, v5
	s_nop 1
	v_mov_b32_dpp v18, v5 row_bcast:31 row_mask:0xc bank_mask:0xf
	v_min_i32_e32 v5, v18, v5
	ds_bpermute_b32 v5, v29, v5
	s_waitcnt lgkmcnt(0)
	v_cmp_le_i32_e32 vcc, s9, v5
	s_or_b64 s[24:25], vcc, s[24:25]
	s_andn2_b64 exec, exec, s[24:25]
	s_cbranch_execz .LBB210_42
.LBB210_11:                             ; =>This Loop Header: Depth=1
                                        ;     Child Loop BB210_12 Depth 2
                                        ;     Child Loop BB210_16 Depth 2
	s_mov_b64 s[2:3], 0
	v_mov_b32_e32 v18, v30
	v_mov_b32_e32 v19, v35
	ds_write_b8 v24, v7 offset:16384
.LBB210_12:                             ;   Parent Loop BB210_11 Depth=1
                                        ; =>  This Inner Loop Header: Depth=2
	v_add_u32_e32 v19, 4, v19
	v_cmp_lt_u32_e32 vcc, 11, v19
	ds_write_b128 v18, v[0:3]
	s_or_b64 s[2:3], vcc, s[2:3]
	v_add_u32_e32 v18, 64, v18
	s_andn2_b64 exec, exec, s[2:3]
	s_cbranch_execnz .LBB210_12
; %bb.13:                               ;   in Loop: Header=BB210_11 Depth=1
	s_or_b64 exec, exec, s[2:3]
	v_add_u32_e32 v18, v22, v26
	v_cmp_lt_i32_e32 vcc, v18, v25
	v_mov_b32_e32 v37, s9
	v_mov_b32_e32 v19, v25
	s_waitcnt lgkmcnt(0)
	s_and_saveexec_b64 s[26:27], vcc
	s_cbranch_execz .LBB210_21
; %bb.14:                               ;   in Loop: Header=BB210_11 Depth=1
	v_ashrrev_i32_e32 v19, 31, v18
	v_mul_lo_u32 v38, v5, s11
	v_lshl_add_u64 v[20:21], v[18:19], 2, s[16:17]
	v_lshl_add_u64 v[22:23], v[18:19], 4, s[12:13]
	s_mov_b64 s[28:29], 0
	v_mov_b32_e32 v37, s9
	v_mov_b32_e32 v19, v25
	s_branch .LBB210_16
.LBB210_15:                             ;   in Loop: Header=BB210_16 Depth=2
	s_or_b64 exec, exec, s[2:3]
	v_add_u32_e32 v18, 4, v18
	v_cmp_ge_i32_e64 s[2:3], v18, v25
	s_xor_b64 s[36:37], vcc, -1
	s_or_b64 s[2:3], s[36:37], s[2:3]
	s_and_b64 s[2:3], exec, s[2:3]
	v_lshl_add_u64 v[20:21], v[20:21], 0, 16
	s_or_b64 s[28:29], s[2:3], s[28:29]
	v_lshl_add_u64 v[22:23], v[22:23], 0, 64
	s_andn2_b64 exec, exec, s[28:29]
	s_cbranch_execz .LBB210_20
.LBB210_16:                             ;   Parent Loop BB210_11 Depth=1
                                        ; =>  This Inner Loop Header: Depth=2
	global_load_dword v39, v[20:21], off
	s_waitcnt vmcnt(0)
	v_subrev_u32_e32 v39, s30, v39
	v_sub_u32_e32 v41, 0, v39
	v_max_i32_e32 v41, v39, v41
	v_mul_hi_u32 v42, v41, v34
	v_mul_lo_u32 v43, v42, s10
	v_sub_u32_e32 v41, v41, v43
	v_add_u32_e32 v44, 1, v42
	v_cmp_le_u32_e32 vcc, s10, v41
	v_subrev_u32_e32 v43, s10, v41
	v_ashrrev_i32_e32 v40, 31, v39
	v_cndmask_b32_e32 v42, v42, v44, vcc
	v_cndmask_b32_e32 v41, v41, v43, vcc
	v_add_u32_e32 v43, 1, v42
	v_cmp_le_u32_e32 vcc, s10, v41
	v_xor_b32_e32 v40, s8, v40
	s_nop 0
	v_cndmask_b32_e32 v41, v42, v43, vcc
	v_xor_b32_e32 v41, v41, v40
	v_sub_u32_e32 v41, v41, v40
	v_cmp_eq_u32_e32 vcc, v41, v5
	v_cmp_ne_u32_e64 s[2:3], v41, v5
	v_mov_b32_e32 v40, v19
	s_and_saveexec_b64 s[36:37], s[2:3]
	s_xor_b64 s[2:3], exec, s[36:37]
; %bb.17:                               ;   in Loop: Header=BB210_16 Depth=2
	v_min_i32_e32 v37, v41, v37
                                        ; implicit-def: $vgpr39
                                        ; implicit-def: $vgpr40
; %bb.18:                               ;   in Loop: Header=BB210_16 Depth=2
	s_or_saveexec_b64 s[2:3], s[2:3]
	v_mov_b32_e32 v19, v18
	s_xor_b64 exec, exec, s[2:3]
	s_cbranch_execz .LBB210_15
; %bb.19:                               ;   in Loop: Header=BB210_16 Depth=2
	global_load_dwordx4 v[42:45], v[22:23], off
	v_sub_u32_e32 v19, v39, v38
	v_add_lshl_u32 v19, v27, v19, 4
	ds_write_b8 v24, v36 offset:16384
	s_waitcnt vmcnt(0)
	ds_write2_b64 v19, v[42:43], v[44:45] offset1:1
	v_mov_b32_e32 v19, v40
	s_branch .LBB210_15
.LBB210_20:                             ;   in Loop: Header=BB210_11 Depth=1
	s_or_b64 exec, exec, s[28:29]
.LBB210_21:                             ;   in Loop: Header=BB210_11 Depth=1
	s_or_b64 exec, exec, s[26:27]
	v_mov_b32_dpp v18, v19 row_shr:1 row_mask:0xf bank_mask:0xf
	v_min_i32_e32 v18, v18, v19
	s_waitcnt lgkmcnt(0)
	ds_read_u8 v19, v24 offset:16384
	v_mov_b32_dpp v20, v18 row_shr:2 row_mask:0xf bank_mask:0xf
	v_min_i32_e32 v18, v20, v18
	ds_bpermute_b32 v22, v28, v18
	v_mov_b32_e32 v23, 0
	s_waitcnt lgkmcnt(1)
	v_and_b32_e32 v18, 1, v19
	v_cmp_eq_u32_e32 vcc, 1, v18
	s_and_saveexec_b64 s[2:3], vcc
	s_cbranch_execz .LBB210_10
; %bb.22:                               ;   in Loop: Header=BB210_11 Depth=1
	v_add_u32_e32 v20, s31, v5
	v_ashrrev_i32_e32 v5, 31, v4
	v_lshl_add_u64 v[18:19], v[4:5], 2, s[14:15]
	global_store_dword v[18:19], v20, off
	v_mul_lo_u32 v20, s33, v4
	v_mul_lo_u32 v5, s34, v5
	v_mad_u64_u32 v[18:19], s[26:27], s34, v4, 0
	v_add3_u32 v19, v19, v5, v20
	v_lshlrev_b64 v[18:19], 4, v[18:19]
	v_lshl_add_u64 v[20:21], v[8:9], 0, v[18:19]
	v_lshl_add_u64 v[18:19], v[10:11], 0, v[18:19]
	s_and_saveexec_b64 s[26:27], s[20:21]
	s_cbranch_execz .LBB210_26
; %bb.23:                               ;   in Loop: Header=BB210_11 Depth=1
	s_and_b64 vcc, exec, s[18:19]
	s_cbranch_vccz .LBB210_37
; %bb.24:                               ;   in Loop: Header=BB210_11 Depth=1
	ds_read2_b64 v[38:41], v30 offset1:1
	v_lshl_add_u64 v[42:43], v[6:7], 4, v[20:21]
	s_waitcnt lgkmcnt(0)
	global_store_dwordx4 v[42:43], v[38:41], off
	s_cbranch_execnz .LBB210_26
.LBB210_25:                             ;   in Loop: Header=BB210_11 Depth=1
	ds_read2_b64 v[38:41], v30 offset1:1
	s_waitcnt lgkmcnt(0)
	global_store_dwordx4 v[18:19], v[38:41], off
.LBB210_26:                             ;   in Loop: Header=BB210_11 Depth=1
	s_or_b64 exec, exec, s[26:27]
	s_and_saveexec_b64 s[26:27], s[22:23]
	s_cbranch_execz .LBB210_30
; %bb.27:                               ;   in Loop: Header=BB210_11 Depth=1
	s_and_b64 vcc, exec, s[0:1]
	s_cbranch_vccnz .LBB210_38
; %bb.28:                               ;   in Loop: Header=BB210_11 Depth=1
	ds_read2_b64 v[38:41], v31 offset1:1
	v_lshl_add_u64 v[42:43], v[12:13], 4, v[20:21]
	s_waitcnt lgkmcnt(0)
	global_store_dwordx4 v[42:43], v[38:41], off
	s_cbranch_execnz .LBB210_30
.LBB210_29:                             ;   in Loop: Header=BB210_11 Depth=1
	ds_read2_b64 v[38:41], v31 offset1:1
	s_waitcnt lgkmcnt(0)
	global_store_dwordx4 v[18:19], v[38:41], off offset:64
.LBB210_30:                             ;   in Loop: Header=BB210_11 Depth=1
	s_or_b64 exec, exec, s[26:27]
	s_and_saveexec_b64 s[26:27], s[4:5]
	s_cbranch_execz .LBB210_34
; %bb.31:                               ;   in Loop: Header=BB210_11 Depth=1
	s_and_b64 vcc, exec, s[0:1]
	s_cbranch_vccnz .LBB210_39
; %bb.32:                               ;   in Loop: Header=BB210_11 Depth=1
	ds_read2_b64 v[38:41], v32 offset1:1
	v_lshl_add_u64 v[42:43], v[14:15], 4, v[20:21]
	s_waitcnt lgkmcnt(0)
	global_store_dwordx4 v[42:43], v[38:41], off
	s_cbranch_execnz .LBB210_34
.LBB210_33:                             ;   in Loop: Header=BB210_11 Depth=1
	ds_read2_b64 v[38:41], v32 offset1:1
	s_waitcnt lgkmcnt(0)
	global_store_dwordx4 v[18:19], v[38:41], off offset:128
.LBB210_34:                             ;   in Loop: Header=BB210_11 Depth=1
	s_or_b64 exec, exec, s[26:27]
	v_mov_b32_e32 v23, 1
	s_and_saveexec_b64 s[26:27], s[6:7]
	s_cbranch_execz .LBB210_9
; %bb.35:                               ;   in Loop: Header=BB210_11 Depth=1
	s_and_b64 vcc, exec, s[0:1]
	s_cbranch_vccnz .LBB210_40
; %bb.36:                               ;   in Loop: Header=BB210_11 Depth=1
	ds_read2_b64 v[38:41], v33 offset1:1
	v_lshl_add_u64 v[20:21], v[16:17], 4, v[20:21]
	s_mov_b32 s35, 1
	s_waitcnt lgkmcnt(0)
	global_store_dwordx4 v[20:21], v[38:41], off
	s_cbranch_execnz .LBB210_8
	s_branch .LBB210_41
.LBB210_37:                             ;   in Loop: Header=BB210_11 Depth=1
	s_branch .LBB210_25
.LBB210_38:                             ;   in Loop: Header=BB210_11 Depth=1
	s_branch .LBB210_29
.LBB210_39:                             ;   in Loop: Header=BB210_11 Depth=1
	s_branch .LBB210_33
.LBB210_40:                             ;   in Loop: Header=BB210_11 Depth=1
                                        ; implicit-def: $sgpr35
.LBB210_41:                             ;   in Loop: Header=BB210_11 Depth=1
	ds_read2_b64 v[38:41], v33 offset1:1
	s_mov_b32 s35, 1
	s_waitcnt lgkmcnt(0)
	global_store_dwordx4 v[18:19], v[38:41], off offset:192
	s_branch .LBB210_8
.LBB210_42:
	s_endpgm
	.section	.rodata,"a",@progbits
	.p2align	6, 0x0
	.amdhsa_kernel _ZN9rocsparseL44csr2gebsr_wavefront_per_row_multipass_kernelILi256ELi16ELi16ELi64E21rocsparse_complex_numIdEEEv20rocsparse_direction_iiiiii21rocsparse_index_base_PKT3_PKiS9_S4_PS5_PiSB_
		.amdhsa_group_segment_fixed_size 16392
		.amdhsa_private_segment_fixed_size 0
		.amdhsa_kernarg_size 88
		.amdhsa_user_sgpr_count 2
		.amdhsa_user_sgpr_dispatch_ptr 0
		.amdhsa_user_sgpr_queue_ptr 0
		.amdhsa_user_sgpr_kernarg_segment_ptr 1
		.amdhsa_user_sgpr_dispatch_id 0
		.amdhsa_user_sgpr_kernarg_preload_length 0
		.amdhsa_user_sgpr_kernarg_preload_offset 0
		.amdhsa_user_sgpr_private_segment_size 0
		.amdhsa_uses_dynamic_stack 0
		.amdhsa_enable_private_segment 0
		.amdhsa_system_sgpr_workgroup_id_x 1
		.amdhsa_system_sgpr_workgroup_id_y 0
		.amdhsa_system_sgpr_workgroup_id_z 0
		.amdhsa_system_sgpr_workgroup_info 0
		.amdhsa_system_vgpr_workitem_id 0
		.amdhsa_next_free_vgpr 46
		.amdhsa_next_free_sgpr 38
		.amdhsa_accum_offset 48
		.amdhsa_reserve_vcc 1
		.amdhsa_float_round_mode_32 0
		.amdhsa_float_round_mode_16_64 0
		.amdhsa_float_denorm_mode_32 3
		.amdhsa_float_denorm_mode_16_64 3
		.amdhsa_dx10_clamp 1
		.amdhsa_ieee_mode 1
		.amdhsa_fp16_overflow 0
		.amdhsa_tg_split 0
		.amdhsa_exception_fp_ieee_invalid_op 0
		.amdhsa_exception_fp_denorm_src 0
		.amdhsa_exception_fp_ieee_div_zero 0
		.amdhsa_exception_fp_ieee_overflow 0
		.amdhsa_exception_fp_ieee_underflow 0
		.amdhsa_exception_fp_ieee_inexact 0
		.amdhsa_exception_int_div_zero 0
	.end_amdhsa_kernel
	.section	.text._ZN9rocsparseL44csr2gebsr_wavefront_per_row_multipass_kernelILi256ELi16ELi16ELi64E21rocsparse_complex_numIdEEEv20rocsparse_direction_iiiiii21rocsparse_index_base_PKT3_PKiS9_S4_PS5_PiSB_,"axG",@progbits,_ZN9rocsparseL44csr2gebsr_wavefront_per_row_multipass_kernelILi256ELi16ELi16ELi64E21rocsparse_complex_numIdEEEv20rocsparse_direction_iiiiii21rocsparse_index_base_PKT3_PKiS9_S4_PS5_PiSB_,comdat
.Lfunc_end210:
	.size	_ZN9rocsparseL44csr2gebsr_wavefront_per_row_multipass_kernelILi256ELi16ELi16ELi64E21rocsparse_complex_numIdEEEv20rocsparse_direction_iiiiii21rocsparse_index_base_PKT3_PKiS9_S4_PS5_PiSB_, .Lfunc_end210-_ZN9rocsparseL44csr2gebsr_wavefront_per_row_multipass_kernelILi256ELi16ELi16ELi64E21rocsparse_complex_numIdEEEv20rocsparse_direction_iiiiii21rocsparse_index_base_PKT3_PKiS9_S4_PS5_PiSB_
                                        ; -- End function
	.section	.AMDGPU.csdata,"",@progbits
; Kernel info:
; codeLenInByte = 1612
; NumSgprs: 44
; NumVgprs: 46
; NumAgprs: 0
; TotalNumVgprs: 46
; ScratchSize: 0
; MemoryBound: 0
; FloatMode: 240
; IeeeMode: 1
; LDSByteSize: 16392 bytes/workgroup (compile time only)
; SGPRBlocks: 5
; VGPRBlocks: 5
; NumSGPRsForWavesPerEU: 44
; NumVGPRsForWavesPerEU: 46
; AccumOffset: 48
; Occupancy: 3
; WaveLimiterHint : 0
; COMPUTE_PGM_RSRC2:SCRATCH_EN: 0
; COMPUTE_PGM_RSRC2:USER_SGPR: 2
; COMPUTE_PGM_RSRC2:TRAP_HANDLER: 0
; COMPUTE_PGM_RSRC2:TGID_X_EN: 1
; COMPUTE_PGM_RSRC2:TGID_Y_EN: 0
; COMPUTE_PGM_RSRC2:TGID_Z_EN: 0
; COMPUTE_PGM_RSRC2:TIDIG_COMP_CNT: 0
; COMPUTE_PGM_RSRC3_GFX90A:ACCUM_OFFSET: 11
; COMPUTE_PGM_RSRC3_GFX90A:TG_SPLIT: 0
	.section	.text._ZN9rocsparseL44csr2gebsr_wavefront_per_row_multipass_kernelILi256ELi16ELi16ELi32E21rocsparse_complex_numIdEEEv20rocsparse_direction_iiiiii21rocsparse_index_base_PKT3_PKiS9_S4_PS5_PiSB_,"axG",@progbits,_ZN9rocsparseL44csr2gebsr_wavefront_per_row_multipass_kernelILi256ELi16ELi16ELi32E21rocsparse_complex_numIdEEEv20rocsparse_direction_iiiiii21rocsparse_index_base_PKT3_PKiS9_S4_PS5_PiSB_,comdat
	.globl	_ZN9rocsparseL44csr2gebsr_wavefront_per_row_multipass_kernelILi256ELi16ELi16ELi32E21rocsparse_complex_numIdEEEv20rocsparse_direction_iiiiii21rocsparse_index_base_PKT3_PKiS9_S4_PS5_PiSB_ ; -- Begin function _ZN9rocsparseL44csr2gebsr_wavefront_per_row_multipass_kernelILi256ELi16ELi16ELi32E21rocsparse_complex_numIdEEEv20rocsparse_direction_iiiiii21rocsparse_index_base_PKT3_PKiS9_S4_PS5_PiSB_
	.p2align	8
	.type	_ZN9rocsparseL44csr2gebsr_wavefront_per_row_multipass_kernelILi256ELi16ELi16ELi32E21rocsparse_complex_numIdEEEv20rocsparse_direction_iiiiii21rocsparse_index_base_PKT3_PKiS9_S4_PS5_PiSB_,@function
_ZN9rocsparseL44csr2gebsr_wavefront_per_row_multipass_kernelILi256ELi16ELi16ELi32E21rocsparse_complex_numIdEEEv20rocsparse_direction_iiiiii21rocsparse_index_base_PKT3_PKiS9_S4_PS5_PiSB_: ; @_ZN9rocsparseL44csr2gebsr_wavefront_per_row_multipass_kernelILi256ELi16ELi16ELi32E21rocsparse_complex_numIdEEEv20rocsparse_direction_iiiiii21rocsparse_index_base_PKT3_PKiS9_S4_PS5_PiSB_
; %bb.0:
	s_load_dwordx2 s[4:5], s[0:1], 0x0
	s_load_dwordx4 s[16:19], s[0:1], 0xc
	s_load_dword s33, s[0:1], 0x1c
	s_load_dwordx2 s[6:7], s[0:1], 0x28
	v_lshrrev_b32_e32 v34, 5, v0
	v_bfe_u32 v2, v0, 1, 4
	v_lshl_or_b32 v6, s2, 3, v34
	s_waitcnt lgkmcnt(0)
	v_mad_u64_u32 v[4:5], s[2:3], v6, s18, v[2:3]
	v_cmp_gt_i32_e64 s[2:3], s5, v4
	v_cmp_gt_i32_e32 vcc, s18, v2
	s_and_b64 s[2:3], vcc, s[2:3]
	v_mov_b32_e32 v35, 0
	v_mov_b32_e32 v24, 0
	s_and_saveexec_b64 s[8:9], s[2:3]
	s_cbranch_execz .LBB211_2
; %bb.1:
	v_ashrrev_i32_e32 v5, 31, v4
	v_lshl_add_u64 v[8:9], v[4:5], 2, s[6:7]
	global_load_dword v1, v[8:9], off
	s_waitcnt vmcnt(0)
	v_subrev_u32_e32 v24, s33, v1
.LBB211_2:
	s_or_b64 exec, exec, s[8:9]
	s_and_saveexec_b64 s[8:9], s[2:3]
	s_cbranch_execz .LBB211_4
; %bb.3:
	v_ashrrev_i32_e32 v5, 31, v4
	v_lshl_add_u64 v[4:5], v[4:5], 2, s[6:7]
	global_load_dword v1, v[4:5], off offset:4
	s_waitcnt vmcnt(0)
	v_subrev_u32_e32 v35, s33, v1
.LBB211_4:
	s_or_b64 exec, exec, s[8:9]
	s_load_dword s40, s[0:1], 0x38
	v_cmp_gt_i32_e64 s[2:3], s16, v6
	v_mov_b32_e32 v4, 0
	s_and_saveexec_b64 s[6:7], s[2:3]
	s_cbranch_execz .LBB211_6
; %bb.5:
	s_load_dwordx2 s[2:3], s[0:1], 0x48
	v_ashrrev_i32_e32 v7, 31, v6
	s_waitcnt lgkmcnt(0)
	v_lshl_add_u64 v[4:5], v[6:7], 2, s[2:3]
	global_load_dword v1, v[4:5], off
	s_waitcnt vmcnt(0)
	v_subrev_u32_e32 v4, s40, v1
.LBB211_6:
	s_or_b64 exec, exec, s[6:7]
	s_cmp_lt_i32 s17, 1
	s_cbranch_scc1 .LBB211_60
; %bb.7:
	s_load_dwordx2 s[24:25], s[0:1], 0x20
	s_load_dwordx2 s[26:27], s[0:1], 0x50
	;; [unrolled: 1-line block ×4, first 2 shown]
	v_and_b32_e32 v6, 1, v0
	v_mbcnt_lo_u32_b32 v0, -1, 0
	v_mbcnt_hi_u32_b32 v0, -1, v0
	v_lshlrev_b32_e32 v3, 2, v0
	v_mul_lo_u32 v0, v2, s19
	v_lshlrev_b32_e32 v8, 4, v2
	s_cmp_lg_u32 s4, 0
	v_mov_b32_e32 v9, 0
	v_ashrrev_i32_e32 v1, 31, v0
	v_lshl_or_b32 v36, v34, 8, v8
	s_cselect_b64 s[30:31], -1, 0
	s_ashr_i32 s16, s19, 31
	s_waitcnt lgkmcnt(0)
	v_lshl_add_u64 v[10:11], s[2:3], 0, v[8:9]
	v_lshl_add_u64 v[0:1], v[0:1], 4, s[2:3]
	v_lshlrev_b32_e32 v8, 4, v6
	s_mul_hi_u32 s0, s19, s18
	s_mul_i32 s1, s16, s18
	s_mul_i32 s42, s19, s18
	v_lshl_add_u64 v[12:13], v[0:1], 0, v[8:9]
	v_mul_lo_u32 v8, v6, s18
	s_lshl_b32 s18, s18, 1
	v_or_b32_e32 v0, 2, v6
	v_add_u32_e32 v14, s18, v8
	v_cmp_gt_u32_e64 s[2:3], s19, v0
	v_or_b32_e32 v0, 4, v6
	v_add_u32_e32 v16, s18, v14
	v_cmp_gt_u32_e64 s[4:5], s19, v0
	;; [unrolled: 3-line block ×6, first 2 shown]
	v_or_b32_e32 v0, 14, v6
	v_add_u32_e32 v28, s18, v26
	s_abs_i32 s18, s19
	v_cmp_gt_u32_e64 s[14:15], s19, v0
	v_cvt_f32_u32_e32 v0, s18
	s_add_i32 s41, s0, s1
	v_cmp_gt_u32_e64 s[0:1], s19, v6
	s_and_b64 s[34:35], s[0:1], vcc
	v_rcp_iflag_f32_e32 v0, v0
	s_sub_i32 s0, 0, s18
	s_mov_b32 s20, 0
	v_or_b32_e32 v5, v36, v6
	v_mul_f32_e32 v0, 0x4f7ffffe, v0
	v_cvt_u32_f32_e32 v0, v0
	s_mov_b32 s21, s20
	v_or_b32_e32 v38, 4, v3
	v_or_b32_e32 v39, 0x7c, v3
	v_mul_lo_u32 v1, s0, v0
	v_mul_hi_u32 v1, v0, v1
	v_lshlrev_b32_e32 v40, 4, v5
	v_add_u32_e32 v48, v0, v1
	s_mov_b32 s22, s20
	s_mov_b32 s23, s20
	v_mov_b64_e32 v[0:1], s[20:21]
	v_cndmask_b32_e64 v5, 0, 1, s[30:31]
	v_mov_b32_e32 v37, 0
	v_mov_b32_e32 v7, v9
	v_or_b32_e32 v41, 32, v40
	v_mov_b32_e32 v15, v9
	v_or_b32_e32 v42, 64, v40
	;; [unrolled: 2-line block ×7, first 2 shown]
	v_mov_b32_e32 v29, v9
	s_and_b64 s[36:37], vcc, s[2:3]
	s_and_b64 s[4:5], vcc, s[4:5]
	;; [unrolled: 1-line block ×7, first 2 shown]
	s_mov_b64 s[38:39], 0
	v_mov_b64_e32 v[2:3], s[22:23]
	v_cmp_ne_u32_e64 s[0:1], 1, v5
	v_mov_b32_e32 v49, 1
	v_mov_b32_e32 v5, 0
	s_branch .LBB211_11
.LBB211_8:                              ;   in Loop: Header=BB211_11 Depth=1
	v_mov_b32_e32 v25, s43
.LBB211_9:                              ;   in Loop: Header=BB211_11 Depth=1
	s_or_b64 exec, exec, s[20:21]
.LBB211_10:                             ;   in Loop: Header=BB211_11 Depth=1
	s_or_b64 exec, exec, s[2:3]
	v_mov_b32_dpp v5, v50 row_shr:1 row_mask:0xf bank_mask:0xf
	v_min_i32_e32 v5, v5, v50
	v_add_u32_e32 v4, v25, v4
	s_waitcnt lgkmcnt(0)
	v_mov_b32_dpp v30, v5 row_shr:2 row_mask:0xf bank_mask:0xf
	v_min_i32_e32 v5, v30, v5
	s_nop 1
	v_mov_b32_dpp v30, v5 row_shr:4 row_mask:0xf bank_mask:0xe
	v_min_i32_e32 v5, v30, v5
	s_nop 1
	;; [unrolled: 3-line block ×3, first 2 shown]
	v_mov_b32_dpp v30, v5 row_bcast:15 row_mask:0xa bank_mask:0xf
	v_min_i32_e32 v5, v30, v5
	ds_bpermute_b32 v5, v39, v5
	s_waitcnt lgkmcnt(0)
	v_cmp_le_i32_e32 vcc, s17, v5
	s_or_b64 s[38:39], vcc, s[38:39]
	s_andn2_b64 exec, exec, s[38:39]
	s_cbranch_execz .LBB211_60
.LBB211_11:                             ; =>This Loop Header: Depth=1
                                        ;     Child Loop BB211_14 Depth 2
	v_add_u32_e32 v32, v24, v6
	v_cmp_lt_i32_e32 vcc, v32, v35
	v_mov_b32_e32 v50, s17
	v_mov_b32_e32 v51, v35
	ds_write_b8 v34, v37 offset:32768
	ds_write_b128 v40, v[0:3]
	ds_write_b128 v40, v[0:3] offset:32
	ds_write_b128 v40, v[0:3] offset:64
	;; [unrolled: 1-line block ×7, first 2 shown]
	s_waitcnt lgkmcnt(0)
	s_and_saveexec_b64 s[20:21], vcc
	s_cbranch_execz .LBB211_19
; %bb.12:                               ;   in Loop: Header=BB211_11 Depth=1
	v_ashrrev_i32_e32 v25, 31, v24
	v_lshl_add_u64 v[30:31], v[6:7], 0, v[24:25]
	v_mul_lo_u32 v33, v5, s19
	v_lshl_add_u64 v[24:25], v[30:31], 2, s[28:29]
	v_lshl_add_u64 v[30:31], v[30:31], 4, s[24:25]
	s_mov_b64 s[22:23], 0
	v_mov_b32_e32 v50, s17
	v_mov_b32_e32 v51, v35
	s_branch .LBB211_14
.LBB211_13:                             ;   in Loop: Header=BB211_14 Depth=2
	s_or_b64 exec, exec, s[2:3]
	v_add_u32_e32 v32, 2, v32
	v_cmp_ge_i32_e64 s[2:3], v32, v35
	s_xor_b64 s[44:45], vcc, -1
	s_or_b64 s[2:3], s[44:45], s[2:3]
	s_and_b64 s[2:3], exec, s[2:3]
	v_lshl_add_u64 v[24:25], v[24:25], 0, 8
	s_or_b64 s[22:23], s[2:3], s[22:23]
	v_lshl_add_u64 v[30:31], v[30:31], 0, 32
	s_andn2_b64 exec, exec, s[22:23]
	s_cbranch_execz .LBB211_18
.LBB211_14:                             ;   Parent Loop BB211_11 Depth=1
                                        ; =>  This Inner Loop Header: Depth=2
	global_load_dword v52, v[24:25], off
	s_waitcnt vmcnt(0)
	v_subrev_u32_e32 v52, s33, v52
	v_sub_u32_e32 v54, 0, v52
	v_max_i32_e32 v54, v52, v54
	v_mul_hi_u32 v55, v54, v48
	v_mul_lo_u32 v56, v55, s18
	v_sub_u32_e32 v54, v54, v56
	v_add_u32_e32 v57, 1, v55
	v_cmp_le_u32_e32 vcc, s18, v54
	v_subrev_u32_e32 v56, s18, v54
	v_ashrrev_i32_e32 v53, 31, v52
	v_cndmask_b32_e32 v55, v55, v57, vcc
	v_cndmask_b32_e32 v54, v54, v56, vcc
	v_add_u32_e32 v56, 1, v55
	v_cmp_le_u32_e32 vcc, s18, v54
	v_xor_b32_e32 v53, s16, v53
	s_nop 0
	v_cndmask_b32_e32 v54, v55, v56, vcc
	v_xor_b32_e32 v54, v54, v53
	v_sub_u32_e32 v54, v54, v53
	v_cmp_eq_u32_e32 vcc, v54, v5
	v_cmp_ne_u32_e64 s[2:3], v54, v5
	v_mov_b32_e32 v53, v51
	s_and_saveexec_b64 s[44:45], s[2:3]
	s_xor_b64 s[2:3], exec, s[44:45]
; %bb.15:                               ;   in Loop: Header=BB211_14 Depth=2
	v_min_i32_e32 v50, v54, v50
                                        ; implicit-def: $vgpr52
                                        ; implicit-def: $vgpr53
; %bb.16:                               ;   in Loop: Header=BB211_14 Depth=2
	s_or_saveexec_b64 s[2:3], s[2:3]
	v_mov_b32_e32 v51, v32
	s_xor_b64 exec, exec, s[2:3]
	s_cbranch_execz .LBB211_13
; %bb.17:                               ;   in Loop: Header=BB211_14 Depth=2
	global_load_dwordx4 v[54:57], v[30:31], off
	v_sub_u32_e32 v51, v52, v33
	v_add_lshl_u32 v51, v36, v51, 4
	ds_write_b8 v34, v49 offset:32768
	s_waitcnt vmcnt(0)
	ds_write2_b64 v51, v[54:55], v[56:57] offset1:1
	v_mov_b32_e32 v51, v53
	s_branch .LBB211_13
.LBB211_18:                             ;   in Loop: Header=BB211_11 Depth=1
	s_or_b64 exec, exec, s[22:23]
.LBB211_19:                             ;   in Loop: Header=BB211_11 Depth=1
	s_or_b64 exec, exec, s[20:21]
	s_waitcnt lgkmcnt(0)
	ds_read_u8 v25, v34 offset:32768
	v_mov_b32_dpp v24, v51 row_shr:1 row_mask:0xf bank_mask:0xf
	v_min_i32_e32 v24, v24, v51
	ds_bpermute_b32 v24, v38, v24
	s_waitcnt lgkmcnt(1)
	v_and_b32_e32 v25, 1, v25
	v_cmp_eq_u32_e32 vcc, 1, v25
	v_mov_b32_e32 v25, 0
	s_and_saveexec_b64 s[2:3], vcc
	s_cbranch_execz .LBB211_10
; %bb.20:                               ;   in Loop: Header=BB211_11 Depth=1
	v_add_u32_e32 v25, s40, v5
	v_ashrrev_i32_e32 v5, 31, v4
	v_lshl_add_u64 v[30:31], v[4:5], 2, s[26:27]
	global_store_dword v[30:31], v25, off
	v_mul_lo_u32 v25, s41, v4
	v_mul_lo_u32 v5, s42, v5
	v_mad_u64_u32 v[30:31], s[20:21], s42, v4, 0
	v_add3_u32 v31, v31, v5, v25
	v_lshlrev_b64 v[30:31], 4, v[30:31]
	v_lshl_add_u64 v[32:33], v[10:11], 0, v[30:31]
	v_lshl_add_u64 v[30:31], v[12:13], 0, v[30:31]
	s_and_saveexec_b64 s[20:21], s[34:35]
	s_cbranch_execz .LBB211_24
; %bb.21:                               ;   in Loop: Header=BB211_11 Depth=1
	s_and_b64 vcc, exec, s[30:31]
	s_cbranch_vccz .LBB211_51
; %bb.22:                               ;   in Loop: Header=BB211_11 Depth=1
	ds_read2_b64 v[52:55], v40 offset1:1
	v_lshl_add_u64 v[56:57], v[8:9], 4, v[32:33]
	s_waitcnt lgkmcnt(0)
	global_store_dwordx4 v[56:57], v[52:55], off
	s_cbranch_execnz .LBB211_24
.LBB211_23:                             ;   in Loop: Header=BB211_11 Depth=1
	ds_read2_b64 v[52:55], v40 offset1:1
	s_waitcnt lgkmcnt(0)
	global_store_dwordx4 v[30:31], v[52:55], off
.LBB211_24:                             ;   in Loop: Header=BB211_11 Depth=1
	s_or_b64 exec, exec, s[20:21]
	s_and_saveexec_b64 s[20:21], s[36:37]
	s_cbranch_execz .LBB211_28
; %bb.25:                               ;   in Loop: Header=BB211_11 Depth=1
	s_and_b64 vcc, exec, s[0:1]
	s_cbranch_vccnz .LBB211_52
; %bb.26:                               ;   in Loop: Header=BB211_11 Depth=1
	ds_read2_b64 v[52:55], v41 offset1:1
	v_lshl_add_u64 v[56:57], v[14:15], 4, v[32:33]
	s_waitcnt lgkmcnt(0)
	global_store_dwordx4 v[56:57], v[52:55], off
	s_cbranch_execnz .LBB211_28
.LBB211_27:                             ;   in Loop: Header=BB211_11 Depth=1
	ds_read2_b64 v[52:55], v41 offset1:1
	s_waitcnt lgkmcnt(0)
	global_store_dwordx4 v[30:31], v[52:55], off offset:32
.LBB211_28:                             ;   in Loop: Header=BB211_11 Depth=1
	s_or_b64 exec, exec, s[20:21]
	s_and_saveexec_b64 s[20:21], s[4:5]
	s_cbranch_execz .LBB211_32
; %bb.29:                               ;   in Loop: Header=BB211_11 Depth=1
	s_and_b64 vcc, exec, s[0:1]
	s_cbranch_vccnz .LBB211_53
; %bb.30:                               ;   in Loop: Header=BB211_11 Depth=1
	ds_read2_b64 v[52:55], v42 offset1:1
	v_lshl_add_u64 v[56:57], v[16:17], 4, v[32:33]
	s_waitcnt lgkmcnt(0)
	global_store_dwordx4 v[56:57], v[52:55], off
	s_cbranch_execnz .LBB211_32
.LBB211_31:                             ;   in Loop: Header=BB211_11 Depth=1
	ds_read2_b64 v[52:55], v42 offset1:1
	s_waitcnt lgkmcnt(0)
	global_store_dwordx4 v[30:31], v[52:55], off offset:64
.LBB211_32:                             ;   in Loop: Header=BB211_11 Depth=1
	s_or_b64 exec, exec, s[20:21]
	s_and_saveexec_b64 s[20:21], s[6:7]
	s_cbranch_execz .LBB211_36
; %bb.33:                               ;   in Loop: Header=BB211_11 Depth=1
	s_and_b64 vcc, exec, s[0:1]
	s_cbranch_vccnz .LBB211_54
; %bb.34:                               ;   in Loop: Header=BB211_11 Depth=1
	ds_read2_b64 v[52:55], v43 offset1:1
	v_lshl_add_u64 v[56:57], v[18:19], 4, v[32:33]
	s_waitcnt lgkmcnt(0)
	global_store_dwordx4 v[56:57], v[52:55], off
	s_cbranch_execnz .LBB211_36
.LBB211_35:                             ;   in Loop: Header=BB211_11 Depth=1
	ds_read2_b64 v[52:55], v43 offset1:1
	s_waitcnt lgkmcnt(0)
	global_store_dwordx4 v[30:31], v[52:55], off offset:96
.LBB211_36:                             ;   in Loop: Header=BB211_11 Depth=1
	s_or_b64 exec, exec, s[20:21]
	s_and_saveexec_b64 s[20:21], s[8:9]
	s_cbranch_execz .LBB211_40
; %bb.37:                               ;   in Loop: Header=BB211_11 Depth=1
	s_and_b64 vcc, exec, s[0:1]
	s_cbranch_vccnz .LBB211_55
; %bb.38:                               ;   in Loop: Header=BB211_11 Depth=1
	ds_read2_b64 v[52:55], v44 offset1:1
	v_lshl_add_u64 v[56:57], v[20:21], 4, v[32:33]
	s_waitcnt lgkmcnt(0)
	global_store_dwordx4 v[56:57], v[52:55], off
	s_cbranch_execnz .LBB211_40
.LBB211_39:                             ;   in Loop: Header=BB211_11 Depth=1
	ds_read2_b64 v[52:55], v44 offset1:1
	s_waitcnt lgkmcnt(0)
	global_store_dwordx4 v[30:31], v[52:55], off offset:128
.LBB211_40:                             ;   in Loop: Header=BB211_11 Depth=1
	s_or_b64 exec, exec, s[20:21]
	s_and_saveexec_b64 s[20:21], s[10:11]
	s_cbranch_execz .LBB211_44
; %bb.41:                               ;   in Loop: Header=BB211_11 Depth=1
	s_and_b64 vcc, exec, s[0:1]
	s_cbranch_vccnz .LBB211_56
; %bb.42:                               ;   in Loop: Header=BB211_11 Depth=1
	ds_read2_b64 v[52:55], v45 offset1:1
	v_lshl_add_u64 v[56:57], v[22:23], 4, v[32:33]
	s_waitcnt lgkmcnt(0)
	global_store_dwordx4 v[56:57], v[52:55], off
	s_cbranch_execnz .LBB211_44
.LBB211_43:                             ;   in Loop: Header=BB211_11 Depth=1
	ds_read2_b64 v[52:55], v45 offset1:1
	s_waitcnt lgkmcnt(0)
	global_store_dwordx4 v[30:31], v[52:55], off offset:160
.LBB211_44:                             ;   in Loop: Header=BB211_11 Depth=1
	s_or_b64 exec, exec, s[20:21]
	s_and_saveexec_b64 s[20:21], s[12:13]
	s_cbranch_execz .LBB211_48
; %bb.45:                               ;   in Loop: Header=BB211_11 Depth=1
	s_and_b64 vcc, exec, s[0:1]
	s_cbranch_vccnz .LBB211_57
; %bb.46:                               ;   in Loop: Header=BB211_11 Depth=1
	ds_read2_b64 v[52:55], v46 offset1:1
	v_lshl_add_u64 v[56:57], v[26:27], 4, v[32:33]
	s_waitcnt lgkmcnt(0)
	global_store_dwordx4 v[56:57], v[52:55], off
	s_cbranch_execnz .LBB211_48
.LBB211_47:                             ;   in Loop: Header=BB211_11 Depth=1
	ds_read2_b64 v[52:55], v46 offset1:1
	s_waitcnt lgkmcnt(0)
	global_store_dwordx4 v[30:31], v[52:55], off offset:192
.LBB211_48:                             ;   in Loop: Header=BB211_11 Depth=1
	s_or_b64 exec, exec, s[20:21]
	v_mov_b32_e32 v25, 1
	s_and_saveexec_b64 s[20:21], s[14:15]
	s_cbranch_execz .LBB211_9
; %bb.49:                               ;   in Loop: Header=BB211_11 Depth=1
	s_and_b64 vcc, exec, s[0:1]
	s_cbranch_vccnz .LBB211_58
; %bb.50:                               ;   in Loop: Header=BB211_11 Depth=1
	ds_read2_b64 v[52:55], v47 offset1:1
	v_lshl_add_u64 v[32:33], v[28:29], 4, v[32:33]
	s_mov_b32 s43, 1
	s_waitcnt lgkmcnt(0)
	global_store_dwordx4 v[32:33], v[52:55], off
	s_cbranch_execnz .LBB211_8
	s_branch .LBB211_59
.LBB211_51:                             ;   in Loop: Header=BB211_11 Depth=1
	s_branch .LBB211_23
.LBB211_52:                             ;   in Loop: Header=BB211_11 Depth=1
	s_branch .LBB211_27
.LBB211_53:                             ;   in Loop: Header=BB211_11 Depth=1
	s_branch .LBB211_31
.LBB211_54:                             ;   in Loop: Header=BB211_11 Depth=1
	s_branch .LBB211_35
.LBB211_55:                             ;   in Loop: Header=BB211_11 Depth=1
	s_branch .LBB211_39
.LBB211_56:                             ;   in Loop: Header=BB211_11 Depth=1
	s_branch .LBB211_43
.LBB211_57:                             ;   in Loop: Header=BB211_11 Depth=1
	s_branch .LBB211_47
.LBB211_58:                             ;   in Loop: Header=BB211_11 Depth=1
                                        ; implicit-def: $sgpr43
.LBB211_59:                             ;   in Loop: Header=BB211_11 Depth=1
	ds_read2_b64 v[52:55], v47 offset1:1
	s_mov_b32 s43, 1
	s_waitcnt lgkmcnt(0)
	global_store_dwordx4 v[30:31], v[52:55], off offset:224
	s_branch .LBB211_8
.LBB211_60:
	s_endpgm
	.section	.rodata,"a",@progbits
	.p2align	6, 0x0
	.amdhsa_kernel _ZN9rocsparseL44csr2gebsr_wavefront_per_row_multipass_kernelILi256ELi16ELi16ELi32E21rocsparse_complex_numIdEEEv20rocsparse_direction_iiiiii21rocsparse_index_base_PKT3_PKiS9_S4_PS5_PiSB_
		.amdhsa_group_segment_fixed_size 32776
		.amdhsa_private_segment_fixed_size 0
		.amdhsa_kernarg_size 88
		.amdhsa_user_sgpr_count 2
		.amdhsa_user_sgpr_dispatch_ptr 0
		.amdhsa_user_sgpr_queue_ptr 0
		.amdhsa_user_sgpr_kernarg_segment_ptr 1
		.amdhsa_user_sgpr_dispatch_id 0
		.amdhsa_user_sgpr_kernarg_preload_length 0
		.amdhsa_user_sgpr_kernarg_preload_offset 0
		.amdhsa_user_sgpr_private_segment_size 0
		.amdhsa_uses_dynamic_stack 0
		.amdhsa_enable_private_segment 0
		.amdhsa_system_sgpr_workgroup_id_x 1
		.amdhsa_system_sgpr_workgroup_id_y 0
		.amdhsa_system_sgpr_workgroup_id_z 0
		.amdhsa_system_sgpr_workgroup_info 0
		.amdhsa_system_vgpr_workitem_id 0
		.amdhsa_next_free_vgpr 58
		.amdhsa_next_free_sgpr 46
		.amdhsa_accum_offset 60
		.amdhsa_reserve_vcc 1
		.amdhsa_float_round_mode_32 0
		.amdhsa_float_round_mode_16_64 0
		.amdhsa_float_denorm_mode_32 3
		.amdhsa_float_denorm_mode_16_64 3
		.amdhsa_dx10_clamp 1
		.amdhsa_ieee_mode 1
		.amdhsa_fp16_overflow 0
		.amdhsa_tg_split 0
		.amdhsa_exception_fp_ieee_invalid_op 0
		.amdhsa_exception_fp_denorm_src 0
		.amdhsa_exception_fp_ieee_div_zero 0
		.amdhsa_exception_fp_ieee_overflow 0
		.amdhsa_exception_fp_ieee_underflow 0
		.amdhsa_exception_fp_ieee_inexact 0
		.amdhsa_exception_int_div_zero 0
	.end_amdhsa_kernel
	.section	.text._ZN9rocsparseL44csr2gebsr_wavefront_per_row_multipass_kernelILi256ELi16ELi16ELi32E21rocsparse_complex_numIdEEEv20rocsparse_direction_iiiiii21rocsparse_index_base_PKT3_PKiS9_S4_PS5_PiSB_,"axG",@progbits,_ZN9rocsparseL44csr2gebsr_wavefront_per_row_multipass_kernelILi256ELi16ELi16ELi32E21rocsparse_complex_numIdEEEv20rocsparse_direction_iiiiii21rocsparse_index_base_PKT3_PKiS9_S4_PS5_PiSB_,comdat
.Lfunc_end211:
	.size	_ZN9rocsparseL44csr2gebsr_wavefront_per_row_multipass_kernelILi256ELi16ELi16ELi32E21rocsparse_complex_numIdEEEv20rocsparse_direction_iiiiii21rocsparse_index_base_PKT3_PKiS9_S4_PS5_PiSB_, .Lfunc_end211-_ZN9rocsparseL44csr2gebsr_wavefront_per_row_multipass_kernelILi256ELi16ELi16ELi32E21rocsparse_complex_numIdEEEv20rocsparse_direction_iiiiii21rocsparse_index_base_PKT3_PKiS9_S4_PS5_PiSB_
                                        ; -- End function
	.section	.AMDGPU.csdata,"",@progbits
; Kernel info:
; codeLenInByte = 2048
; NumSgprs: 52
; NumVgprs: 58
; NumAgprs: 0
; TotalNumVgprs: 58
; ScratchSize: 0
; MemoryBound: 0
; FloatMode: 240
; IeeeMode: 1
; LDSByteSize: 32776 bytes/workgroup (compile time only)
; SGPRBlocks: 6
; VGPRBlocks: 7
; NumSGPRsForWavesPerEU: 52
; NumVGPRsForWavesPerEU: 58
; AccumOffset: 60
; Occupancy: 1
; WaveLimiterHint : 0
; COMPUTE_PGM_RSRC2:SCRATCH_EN: 0
; COMPUTE_PGM_RSRC2:USER_SGPR: 2
; COMPUTE_PGM_RSRC2:TRAP_HANDLER: 0
; COMPUTE_PGM_RSRC2:TGID_X_EN: 1
; COMPUTE_PGM_RSRC2:TGID_Y_EN: 0
; COMPUTE_PGM_RSRC2:TGID_Z_EN: 0
; COMPUTE_PGM_RSRC2:TIDIG_COMP_CNT: 0
; COMPUTE_PGM_RSRC3_GFX90A:ACCUM_OFFSET: 14
; COMPUTE_PGM_RSRC3_GFX90A:TG_SPLIT: 0
	.section	.text._ZN9rocsparseL40csr2gebsr_block_per_row_multipass_kernelILj128ELj16ELj32E21rocsparse_complex_numIdEEEv20rocsparse_direction_iiiiii21rocsparse_index_base_PKT2_PKiS9_S4_PS5_PiSB_,"axG",@progbits,_ZN9rocsparseL40csr2gebsr_block_per_row_multipass_kernelILj128ELj16ELj32E21rocsparse_complex_numIdEEEv20rocsparse_direction_iiiiii21rocsparse_index_base_PKT2_PKiS9_S4_PS5_PiSB_,comdat
	.globl	_ZN9rocsparseL40csr2gebsr_block_per_row_multipass_kernelILj128ELj16ELj32E21rocsparse_complex_numIdEEEv20rocsparse_direction_iiiiii21rocsparse_index_base_PKT2_PKiS9_S4_PS5_PiSB_ ; -- Begin function _ZN9rocsparseL40csr2gebsr_block_per_row_multipass_kernelILj128ELj16ELj32E21rocsparse_complex_numIdEEEv20rocsparse_direction_iiiiii21rocsparse_index_base_PKT2_PKiS9_S4_PS5_PiSB_
	.p2align	8
	.type	_ZN9rocsparseL40csr2gebsr_block_per_row_multipass_kernelILj128ELj16ELj32E21rocsparse_complex_numIdEEEv20rocsparse_direction_iiiiii21rocsparse_index_base_PKT2_PKiS9_S4_PS5_PiSB_,@function
_ZN9rocsparseL40csr2gebsr_block_per_row_multipass_kernelILj128ELj16ELj32E21rocsparse_complex_numIdEEEv20rocsparse_direction_iiiiii21rocsparse_index_base_PKT2_PKiS9_S4_PS5_PiSB_: ; @_ZN9rocsparseL40csr2gebsr_block_per_row_multipass_kernelILj128ELj16ELj32E21rocsparse_complex_numIdEEEv20rocsparse_direction_iiiiii21rocsparse_index_base_PKT2_PKiS9_S4_PS5_PiSB_
; %bb.0:
	s_load_dwordx4 s[20:23], s[0:1], 0x10
	s_load_dwordx2 s[6:7], s[0:1], 0x0
	s_load_dwordx2 s[8:9], s[0:1], 0x28
	v_lshrrev_b32_e32 v1, 3, v0
	v_mov_b32_e32 v20, 0
	s_waitcnt lgkmcnt(0)
	s_mul_i32 s3, s2, s21
	v_add_u32_e32 v2, s3, v1
	v_cmp_gt_i32_e64 s[4:5], s7, v2
	v_cmp_gt_i32_e32 vcc, s21, v1
	s_and_b64 s[4:5], vcc, s[4:5]
	v_mov_b32_e32 v31, 0
	s_and_saveexec_b64 s[10:11], s[4:5]
	s_cbranch_execnz .LBB212_3
; %bb.1:
	s_or_b64 exec, exec, s[10:11]
	s_and_saveexec_b64 s[10:11], s[4:5]
	s_cbranch_execnz .LBB212_4
.LBB212_2:
	s_or_b64 exec, exec, s[10:11]
	s_cmp_lt_i32 s20, 1
	s_cbranch_scc0 .LBB212_5
	s_branch .LBB212_39
.LBB212_3:
	v_ashrrev_i32_e32 v3, 31, v2
	v_lshl_add_u64 v[4:5], v[2:3], 2, s[8:9]
	global_load_dword v3, v[4:5], off
	s_waitcnt vmcnt(0)
	v_subrev_u32_e32 v31, s23, v3
	s_or_b64 exec, exec, s[10:11]
	s_and_saveexec_b64 s[10:11], s[4:5]
	s_cbranch_execz .LBB212_2
.LBB212_4:
	v_ashrrev_i32_e32 v3, 31, v2
	v_lshl_add_u64 v[2:3], v[2:3], 2, s[8:9]
	global_load_dword v2, v[2:3], off offset:4
	s_waitcnt vmcnt(0)
	v_subrev_u32_e32 v20, s23, v2
	s_or_b64 exec, exec, s[10:11]
	s_cmp_lt_i32 s20, 1
	s_cbranch_scc1 .LBB212_39
.LBB212_5:
	s_load_dwordx4 s[8:11], s[0:1], 0x40
	s_load_dwordx2 s[18:19], s[0:1], 0x50
	s_load_dword s33, s[0:1], 0x38
	s_ashr_i32 s3, s2, 31
	s_lshl_b64 s[2:3], s[2:3], 2
	s_waitcnt lgkmcnt(0)
	s_add_u32 s2, s10, s2
	s_addc_u32 s3, s11, s3
	s_load_dword s4, s[2:3], 0x0
	s_load_dwordx2 s[28:29], s[0:1], 0x20
	s_load_dwordx2 s[30:31], s[0:1], 0x30
	v_mbcnt_lo_u32_b32 v2, -1, 0
	v_mbcnt_hi_u32_b32 v2, -1, v2
	s_waitcnt lgkmcnt(0)
	s_sub_i32 s34, s4, s33
	s_cmp_eq_u32 s6, 0
	v_lshl_or_b32 v24, v2, 2, 28
	s_cselect_b64 s[0:1], -1, 0
	s_ashr_i32 s50, s22, 31
	v_mul_lo_u32 v2, v1, s22
	v_and_b32_e32 v21, 7, v0
	v_lshlrev_b32_e32 v22, 5, v1
	s_mul_hi_u32 s2, s22, s21
	s_mul_i32 s3, s50, s21
	v_lshlrev_b32_e32 v4, 4, v1
	v_mov_b32_e32 v5, 0
	v_ashrrev_i32_e32 v3, 31, v2
	s_add_i32 s51, s2, s3
	v_lshl_add_u64 v[6:7], s[8:9], 0, v[4:5]
	v_lshl_add_u64 v[2:3], v[2:3], 4, s[8:9]
	v_lshlrev_b32_e32 v25, 2, v0
	v_cmp_gt_u32_e64 s[2:3], 64, v0
	v_cmp_gt_u32_e64 s[4:5], 32, v0
	;; [unrolled: 1-line block ×6, first 2 shown]
	v_cmp_eq_u32_e64 s[14:15], 0, v0
	v_or_b32_e32 v0, v22, v21
	v_lshlrev_b32_e32 v4, 4, v21
	v_lshlrev_b32_e32 v26, 4, v0
	v_cmp_gt_u32_e64 s[16:17], s22, v21
	v_or_b32_e32 v0, 8, v21
	s_mul_i32 s52, s22, s21
	v_lshl_add_u64 v[8:9], v[2:3], 0, v[4:5]
	s_and_b64 s[36:37], vcc, s[16:17]
	v_mul_lo_u32 v4, v21, s21
	v_cmp_gt_u32_e64 s[16:17], s22, v0
	s_lshl_b32 s25, s21, 3
	v_or_b32_e32 v0, 16, v21
	s_abs_i32 s21, s22
	s_and_b64 s[38:39], vcc, s[16:17]
	v_cmp_gt_u32_e64 s[16:17], s22, v0
	v_cvt_f32_u32_e32 v0, s21
	v_or_b32_e32 v1, 24, v21
	s_and_b64 s[40:41], vcc, s[16:17]
	v_cmp_gt_u32_e64 s[16:17], s22, v1
	v_rcp_iflag_f32_e32 v0, v0
	v_add_u32_e32 v10, s25, v4
	s_and_b64 s[42:43], vcc, s[16:17]
	s_sub_i32 s16, 0, s21
	v_mul_f32_e32 v0, 0x4f7ffffe, v0
	v_cvt_u32_f32_e32 v0, v0
	s_mov_b32 s24, 0
	v_add_u32_e32 v12, s25, v10
	v_add_u32_e32 v14, s25, v12
	v_mul_lo_u32 v1, s16, v0
	v_mul_hi_u32 v1, v0, v1
	s_mov_b32 s25, s24
	v_add_u32_e32 v30, v0, v1
	s_mov_b32 s26, s24
	s_mov_b32 s27, s24
	v_mov_b64_e32 v[0:1], s[24:25]
	v_mov_b32_e32 v23, 0
	v_or_b32_e32 v27, 0x80, v26
	v_or_b32_e32 v28, 0x100, v26
	v_or_b32_e32 v29, 0x180, v26
	v_mov_b32_e32 v11, v5
	v_mov_b32_e32 v13, v5
	;; [unrolled: 1-line block ×3, first 2 shown]
	v_mov_b64_e32 v[2:3], s[26:27]
	s_mov_b64 s[24:25], 0x80
	s_mov_b64 s[26:27], 0x100
	;; [unrolled: 1-line block ×3, first 2 shown]
	v_mov_b32_e32 v32, 1
	v_mov_b32_e32 v18, 0
	s_branch .LBB212_7
.LBB212_6:                              ;   in Loop: Header=BB212_7 Depth=1
	s_or_b64 exec, exec, s[16:17]
	s_waitcnt lgkmcnt(0)
	s_barrier
	ds_read_b32 v18, v5
	s_add_i32 s34, s35, s34
	s_waitcnt lgkmcnt(0)
	s_barrier
	v_cmp_gt_i32_e32 vcc, s20, v18
	s_cbranch_vccz .LBB212_39
.LBB212_7:                              ; =>This Loop Header: Depth=1
                                        ;     Child Loop BB212_10 Depth 2
	v_add_u32_e32 v16, v31, v21
	v_cmp_lt_i32_e32 vcc, v16, v20
	v_mov_b32_e32 v33, s20
	v_mov_b32_e32 v31, v20
	ds_write_b8 v5, v23 offset:8192
	ds_write_b128 v26, v[0:3]
	ds_write_b128 v26, v[0:3] offset:128
	ds_write_b128 v26, v[0:3] offset:256
	ds_write_b128 v26, v[0:3] offset:384
	s_waitcnt lgkmcnt(0)
	s_barrier
	s_and_saveexec_b64 s[46:47], vcc
	s_cbranch_execz .LBB212_15
; %bb.8:                                ;   in Loop: Header=BB212_7 Depth=1
	v_mul_lo_u32 v19, v18, s22
	s_mov_b64 s[48:49], 0
	v_mov_b32_e32 v33, s20
	v_mov_b32_e32 v31, v20
	s_branch .LBB212_10
.LBB212_9:                              ;   in Loop: Header=BB212_10 Depth=2
	s_or_b64 exec, exec, s[16:17]
	v_add_u32_e32 v16, 8, v16
	v_cmp_ge_i32_e64 s[16:17], v16, v20
	s_xor_b64 s[54:55], vcc, -1
	s_or_b64 s[16:17], s[54:55], s[16:17]
	s_and_b64 s[16:17], exec, s[16:17]
	s_or_b64 s[48:49], s[16:17], s[48:49]
	s_andn2_b64 exec, exec, s[48:49]
	s_cbranch_execz .LBB212_14
.LBB212_10:                             ;   Parent Loop BB212_7 Depth=1
                                        ; =>  This Inner Loop Header: Depth=2
	v_ashrrev_i32_e32 v17, 31, v16
	v_lshl_add_u64 v[34:35], v[16:17], 2, s[30:31]
	global_load_dword v34, v[34:35], off
	s_waitcnt vmcnt(0)
	v_subrev_u32_e32 v34, s23, v34
	v_sub_u32_e32 v36, 0, v34
	v_max_i32_e32 v36, v34, v36
	v_mul_hi_u32 v37, v36, v30
	v_mul_lo_u32 v38, v37, s21
	v_sub_u32_e32 v36, v36, v38
	v_add_u32_e32 v39, 1, v37
	v_cmp_le_u32_e32 vcc, s21, v36
	v_subrev_u32_e32 v38, s21, v36
	v_ashrrev_i32_e32 v35, 31, v34
	v_cndmask_b32_e32 v37, v37, v39, vcc
	v_cndmask_b32_e32 v36, v36, v38, vcc
	v_add_u32_e32 v38, 1, v37
	v_cmp_le_u32_e32 vcc, s21, v36
	v_xor_b32_e32 v35, s50, v35
	s_nop 0
	v_cndmask_b32_e32 v36, v37, v38, vcc
	v_xor_b32_e32 v36, v36, v35
	v_sub_u32_e32 v36, v36, v35
	v_cmp_eq_u32_e32 vcc, v36, v18
	v_cmp_ne_u32_e64 s[16:17], v36, v18
	v_mov_b32_e32 v35, v31
	s_and_saveexec_b64 s[54:55], s[16:17]
	s_xor_b64 s[16:17], exec, s[54:55]
; %bb.11:                               ;   in Loop: Header=BB212_10 Depth=2
	v_min_i32_e32 v33, v36, v33
                                        ; implicit-def: $vgpr34
                                        ; implicit-def: $vgpr35
; %bb.12:                               ;   in Loop: Header=BB212_10 Depth=2
	s_or_saveexec_b64 s[16:17], s[16:17]
	v_mov_b32_e32 v31, v16
	s_xor_b64 exec, exec, s[16:17]
	s_cbranch_execz .LBB212_9
; %bb.13:                               ;   in Loop: Header=BB212_10 Depth=2
	v_lshl_add_u64 v[36:37], v[16:17], 4, s[28:29]
	global_load_dwordx4 v[36:39], v[36:37], off
	v_sub_u32_e32 v17, v34, v19
	v_add_lshl_u32 v17, v17, v22, 4
	v_mov_b32_e32 v31, v35
	ds_write_b8 v5, v32 offset:8192
	s_waitcnt vmcnt(0)
	ds_write2_b64 v17, v[36:37], v[38:39] offset1:1
	s_branch .LBB212_9
.LBB212_14:                             ;   in Loop: Header=BB212_7 Depth=1
	s_or_b64 exec, exec, s[48:49]
.LBB212_15:                             ;   in Loop: Header=BB212_7 Depth=1
	s_or_b64 exec, exec, s[46:47]
	v_mov_b32_dpp v16, v31 row_shr:1 row_mask:0xf bank_mask:0xf
	v_min_i32_e32 v16, v16, v31
	s_waitcnt lgkmcnt(0)
	s_barrier
	v_mov_b32_dpp v17, v16 row_shr:2 row_mask:0xf bank_mask:0xf
	v_min_i32_e32 v16, v17, v16
	ds_read_u8 v17, v5 offset:8192
	s_nop 0
	v_mov_b32_dpp v19, v16 row_shr:4 row_mask:0xf bank_mask:0xe
	v_min_i32_e32 v16, v19, v16
	ds_bpermute_b32 v31, v24, v16
	s_mov_b32 s35, 0
	s_waitcnt lgkmcnt(1)
	v_cmp_eq_u32_e32 vcc, 0, v17
	s_cbranch_vccnz .LBB212_22
; %bb.16:                               ;   in Loop: Header=BB212_7 Depth=1
	s_ashr_i32 s35, s34, 31
	s_lshl_b64 s[16:17], s[34:35], 2
	s_add_u32 s16, s18, s16
	v_add_u32_e32 v16, s33, v18
	s_addc_u32 s17, s19, s17
	global_store_dword v5, v16, s[16:17]
	s_mul_hi_u32 s16, s52, s34
	s_mul_i32 s17, s52, s35
	s_add_i32 s16, s16, s17
	s_mul_i32 s17, s51, s34
	s_add_i32 s17, s16, s17
	s_mul_i32 s16, s52, s34
	s_lshl_b64 s[16:17], s[16:17], 4
	v_lshl_add_u64 v[16:17], v[6:7], 0, s[16:17]
	v_lshl_add_u64 v[18:19], v[8:9], 0, s[16:17]
	s_and_saveexec_b64 s[16:17], s[36:37]
	s_cbranch_execnz .LBB212_36
; %bb.17:                               ;   in Loop: Header=BB212_7 Depth=1
	s_or_b64 exec, exec, s[16:17]
	s_and_saveexec_b64 s[16:17], s[38:39]
	s_cbranch_execnz .LBB212_37
.LBB212_18:                             ;   in Loop: Header=BB212_7 Depth=1
	s_or_b64 exec, exec, s[16:17]
	s_and_saveexec_b64 s[16:17], s[40:41]
	s_cbranch_execnz .LBB212_38
.LBB212_19:                             ;   in Loop: Header=BB212_7 Depth=1
	s_or_b64 exec, exec, s[16:17]
	s_and_saveexec_b64 s[16:17], s[42:43]
	s_cbranch_execz .LBB212_21
.LBB212_20:                             ;   in Loop: Header=BB212_7 Depth=1
	ds_read2_b64 v[34:37], v29 offset1:1
	v_lshl_add_u64 v[18:19], v[18:19], 0, s[44:45]
	v_lshl_add_u64 v[16:17], v[14:15], 4, v[16:17]
	v_cndmask_b32_e64 v17, v17, v19, s[0:1]
	v_cndmask_b32_e64 v16, v16, v18, s[0:1]
	s_waitcnt lgkmcnt(0)
	global_store_dwordx4 v[16:17], v[34:37], off
.LBB212_21:                             ;   in Loop: Header=BB212_7 Depth=1
	s_or_b64 exec, exec, s[16:17]
	s_mov_b32 s35, 1
.LBB212_22:                             ;   in Loop: Header=BB212_7 Depth=1
	s_waitcnt lgkmcnt(0)
	s_barrier
	ds_write_b32 v25, v33
	s_waitcnt lgkmcnt(0)
	s_barrier
	s_and_saveexec_b64 s[16:17], s[2:3]
	s_cbranch_execz .LBB212_24
; %bb.23:                               ;   in Loop: Header=BB212_7 Depth=1
	ds_read2st64_b32 v[16:17], v25 offset1:1
	s_waitcnt lgkmcnt(0)
	v_min_i32_e32 v16, v17, v16
	ds_write_b32 v25, v16
.LBB212_24:                             ;   in Loop: Header=BB212_7 Depth=1
	s_or_b64 exec, exec, s[16:17]
	s_waitcnt lgkmcnt(0)
	s_barrier
	s_and_saveexec_b64 s[16:17], s[4:5]
	s_cbranch_execz .LBB212_26
; %bb.25:                               ;   in Loop: Header=BB212_7 Depth=1
	ds_read2_b32 v[16:17], v25 offset1:32
	s_waitcnt lgkmcnt(0)
	v_min_i32_e32 v16, v17, v16
	ds_write_b32 v25, v16
.LBB212_26:                             ;   in Loop: Header=BB212_7 Depth=1
	s_or_b64 exec, exec, s[16:17]
	s_waitcnt lgkmcnt(0)
	s_barrier
	s_and_saveexec_b64 s[16:17], s[6:7]
	s_cbranch_execz .LBB212_28
; %bb.27:                               ;   in Loop: Header=BB212_7 Depth=1
	ds_read2_b32 v[16:17], v25 offset1:16
	s_waitcnt lgkmcnt(0)
	v_min_i32_e32 v16, v17, v16
	ds_write_b32 v25, v16
.LBB212_28:                             ;   in Loop: Header=BB212_7 Depth=1
	;; [unrolled: 11-line block ×5, first 2 shown]
	s_or_b64 exec, exec, s[16:17]
	s_waitcnt lgkmcnt(0)
	s_barrier
	s_and_saveexec_b64 s[16:17], s[14:15]
	s_cbranch_execz .LBB212_6
; %bb.35:                               ;   in Loop: Header=BB212_7 Depth=1
	ds_read_b64 v[16:17], v5
	s_waitcnt lgkmcnt(0)
	v_min_i32_e32 v16, v17, v16
	ds_write_b32 v5, v16
	s_branch .LBB212_6
.LBB212_36:                             ;   in Loop: Header=BB212_7 Depth=1
	ds_read2_b64 v[34:37], v26 offset1:1
	v_lshl_add_u64 v[38:39], v[4:5], 4, v[16:17]
	v_cndmask_b32_e64 v39, v39, v19, s[0:1]
	v_cndmask_b32_e64 v38, v38, v18, s[0:1]
	s_waitcnt lgkmcnt(0)
	global_store_dwordx4 v[38:39], v[34:37], off
	s_or_b64 exec, exec, s[16:17]
	s_and_saveexec_b64 s[16:17], s[38:39]
	s_cbranch_execz .LBB212_18
.LBB212_37:                             ;   in Loop: Header=BB212_7 Depth=1
	ds_read2_b64 v[34:37], v27 offset1:1
	v_lshl_add_u64 v[38:39], v[18:19], 0, s[24:25]
	v_lshl_add_u64 v[40:41], v[10:11], 4, v[16:17]
	v_cndmask_b32_e64 v39, v41, v39, s[0:1]
	v_cndmask_b32_e64 v38, v40, v38, s[0:1]
	s_waitcnt lgkmcnt(0)
	global_store_dwordx4 v[38:39], v[34:37], off
	s_or_b64 exec, exec, s[16:17]
	s_and_saveexec_b64 s[16:17], s[40:41]
	s_cbranch_execz .LBB212_19
.LBB212_38:                             ;   in Loop: Header=BB212_7 Depth=1
	ds_read2_b64 v[34:37], v28 offset1:1
	v_lshl_add_u64 v[38:39], v[18:19], 0, s[26:27]
	v_lshl_add_u64 v[40:41], v[12:13], 4, v[16:17]
	v_cndmask_b32_e64 v39, v41, v39, s[0:1]
	v_cndmask_b32_e64 v38, v40, v38, s[0:1]
	s_waitcnt lgkmcnt(0)
	global_store_dwordx4 v[38:39], v[34:37], off
	s_or_b64 exec, exec, s[16:17]
	s_and_saveexec_b64 s[16:17], s[42:43]
	s_cbranch_execnz .LBB212_20
	s_branch .LBB212_21
.LBB212_39:
	s_endpgm
	.section	.rodata,"a",@progbits
	.p2align	6, 0x0
	.amdhsa_kernel _ZN9rocsparseL40csr2gebsr_block_per_row_multipass_kernelILj128ELj16ELj32E21rocsparse_complex_numIdEEEv20rocsparse_direction_iiiiii21rocsparse_index_base_PKT2_PKiS9_S4_PS5_PiSB_
		.amdhsa_group_segment_fixed_size 8200
		.amdhsa_private_segment_fixed_size 0
		.amdhsa_kernarg_size 88
		.amdhsa_user_sgpr_count 2
		.amdhsa_user_sgpr_dispatch_ptr 0
		.amdhsa_user_sgpr_queue_ptr 0
		.amdhsa_user_sgpr_kernarg_segment_ptr 1
		.amdhsa_user_sgpr_dispatch_id 0
		.amdhsa_user_sgpr_kernarg_preload_length 0
		.amdhsa_user_sgpr_kernarg_preload_offset 0
		.amdhsa_user_sgpr_private_segment_size 0
		.amdhsa_uses_dynamic_stack 0
		.amdhsa_enable_private_segment 0
		.amdhsa_system_sgpr_workgroup_id_x 1
		.amdhsa_system_sgpr_workgroup_id_y 0
		.amdhsa_system_sgpr_workgroup_id_z 0
		.amdhsa_system_sgpr_workgroup_info 0
		.amdhsa_system_vgpr_workitem_id 0
		.amdhsa_next_free_vgpr 42
		.amdhsa_next_free_sgpr 56
		.amdhsa_accum_offset 44
		.amdhsa_reserve_vcc 1
		.amdhsa_float_round_mode_32 0
		.amdhsa_float_round_mode_16_64 0
		.amdhsa_float_denorm_mode_32 3
		.amdhsa_float_denorm_mode_16_64 3
		.amdhsa_dx10_clamp 1
		.amdhsa_ieee_mode 1
		.amdhsa_fp16_overflow 0
		.amdhsa_tg_split 0
		.amdhsa_exception_fp_ieee_invalid_op 0
		.amdhsa_exception_fp_denorm_src 0
		.amdhsa_exception_fp_ieee_div_zero 0
		.amdhsa_exception_fp_ieee_overflow 0
		.amdhsa_exception_fp_ieee_underflow 0
		.amdhsa_exception_fp_ieee_inexact 0
		.amdhsa_exception_int_div_zero 0
	.end_amdhsa_kernel
	.section	.text._ZN9rocsparseL40csr2gebsr_block_per_row_multipass_kernelILj128ELj16ELj32E21rocsparse_complex_numIdEEEv20rocsparse_direction_iiiiii21rocsparse_index_base_PKT2_PKiS9_S4_PS5_PiSB_,"axG",@progbits,_ZN9rocsparseL40csr2gebsr_block_per_row_multipass_kernelILj128ELj16ELj32E21rocsparse_complex_numIdEEEv20rocsparse_direction_iiiiii21rocsparse_index_base_PKT2_PKiS9_S4_PS5_PiSB_,comdat
.Lfunc_end212:
	.size	_ZN9rocsparseL40csr2gebsr_block_per_row_multipass_kernelILj128ELj16ELj32E21rocsparse_complex_numIdEEEv20rocsparse_direction_iiiiii21rocsparse_index_base_PKT2_PKiS9_S4_PS5_PiSB_, .Lfunc_end212-_ZN9rocsparseL40csr2gebsr_block_per_row_multipass_kernelILj128ELj16ELj32E21rocsparse_complex_numIdEEEv20rocsparse_direction_iiiiii21rocsparse_index_base_PKT2_PKiS9_S4_PS5_PiSB_
                                        ; -- End function
	.section	.AMDGPU.csdata,"",@progbits
; Kernel info:
; codeLenInByte = 1828
; NumSgprs: 62
; NumVgprs: 42
; NumAgprs: 0
; TotalNumVgprs: 42
; ScratchSize: 0
; MemoryBound: 0
; FloatMode: 240
; IeeeMode: 1
; LDSByteSize: 8200 bytes/workgroup (compile time only)
; SGPRBlocks: 7
; VGPRBlocks: 5
; NumSGPRsForWavesPerEU: 62
; NumVGPRsForWavesPerEU: 42
; AccumOffset: 44
; Occupancy: 4
; WaveLimiterHint : 0
; COMPUTE_PGM_RSRC2:SCRATCH_EN: 0
; COMPUTE_PGM_RSRC2:USER_SGPR: 2
; COMPUTE_PGM_RSRC2:TRAP_HANDLER: 0
; COMPUTE_PGM_RSRC2:TGID_X_EN: 1
; COMPUTE_PGM_RSRC2:TGID_Y_EN: 0
; COMPUTE_PGM_RSRC2:TGID_Z_EN: 0
; COMPUTE_PGM_RSRC2:TIDIG_COMP_CNT: 0
; COMPUTE_PGM_RSRC3_GFX90A:ACCUM_OFFSET: 10
; COMPUTE_PGM_RSRC3_GFX90A:TG_SPLIT: 0
	.section	.text._ZN9rocsparseL40csr2gebsr_block_per_row_multipass_kernelILj128ELj16ELj64E21rocsparse_complex_numIdEEEv20rocsparse_direction_iiiiii21rocsparse_index_base_PKT2_PKiS9_S4_PS5_PiSB_,"axG",@progbits,_ZN9rocsparseL40csr2gebsr_block_per_row_multipass_kernelILj128ELj16ELj64E21rocsparse_complex_numIdEEEv20rocsparse_direction_iiiiii21rocsparse_index_base_PKT2_PKiS9_S4_PS5_PiSB_,comdat
	.globl	_ZN9rocsparseL40csr2gebsr_block_per_row_multipass_kernelILj128ELj16ELj64E21rocsparse_complex_numIdEEEv20rocsparse_direction_iiiiii21rocsparse_index_base_PKT2_PKiS9_S4_PS5_PiSB_ ; -- Begin function _ZN9rocsparseL40csr2gebsr_block_per_row_multipass_kernelILj128ELj16ELj64E21rocsparse_complex_numIdEEEv20rocsparse_direction_iiiiii21rocsparse_index_base_PKT2_PKiS9_S4_PS5_PiSB_
	.p2align	8
	.type	_ZN9rocsparseL40csr2gebsr_block_per_row_multipass_kernelILj128ELj16ELj64E21rocsparse_complex_numIdEEEv20rocsparse_direction_iiiiii21rocsparse_index_base_PKT2_PKiS9_S4_PS5_PiSB_,@function
_ZN9rocsparseL40csr2gebsr_block_per_row_multipass_kernelILj128ELj16ELj64E21rocsparse_complex_numIdEEEv20rocsparse_direction_iiiiii21rocsparse_index_base_PKT2_PKiS9_S4_PS5_PiSB_: ; @_ZN9rocsparseL40csr2gebsr_block_per_row_multipass_kernelILj128ELj16ELj64E21rocsparse_complex_numIdEEEv20rocsparse_direction_iiiiii21rocsparse_index_base_PKT2_PKiS9_S4_PS5_PiSB_
; %bb.0:
	s_load_dwordx4 s[20:23], s[0:1], 0x10
	s_load_dwordx2 s[6:7], s[0:1], 0x0
	s_load_dwordx2 s[8:9], s[0:1], 0x28
	v_lshrrev_b32_e32 v1, 3, v0
	v_mov_b32_e32 v28, 0
	s_waitcnt lgkmcnt(0)
	s_mul_i32 s3, s2, s21
	v_add_u32_e32 v2, s3, v1
	v_cmp_gt_i32_e64 s[4:5], s7, v2
	v_cmp_gt_i32_e32 vcc, s21, v1
	s_and_b64 s[4:5], vcc, s[4:5]
	v_mov_b32_e32 v42, 0
	s_and_saveexec_b64 s[10:11], s[4:5]
	s_cbranch_execnz .LBB213_3
; %bb.1:
	s_or_b64 exec, exec, s[10:11]
	s_and_saveexec_b64 s[10:11], s[4:5]
	s_cbranch_execnz .LBB213_4
.LBB213_2:
	s_or_b64 exec, exec, s[10:11]
	s_cmp_lt_i32 s20, 1
	s_cbranch_scc0 .LBB213_5
	s_branch .LBB213_47
.LBB213_3:
	v_ashrrev_i32_e32 v3, 31, v2
	v_lshl_add_u64 v[4:5], v[2:3], 2, s[8:9]
	global_load_dword v3, v[4:5], off
	s_waitcnt vmcnt(0)
	v_subrev_u32_e32 v42, s23, v3
	s_or_b64 exec, exec, s[10:11]
	s_and_saveexec_b64 s[10:11], s[4:5]
	s_cbranch_execz .LBB213_2
.LBB213_4:
	v_ashrrev_i32_e32 v3, 31, v2
	v_lshl_add_u64 v[2:3], v[2:3], 2, s[8:9]
	global_load_dword v2, v[2:3], off offset:4
	s_waitcnt vmcnt(0)
	v_subrev_u32_e32 v28, s23, v2
	s_or_b64 exec, exec, s[10:11]
	s_cmp_lt_i32 s20, 1
	s_cbranch_scc1 .LBB213_47
.LBB213_5:
	s_load_dwordx4 s[8:11], s[0:1], 0x40
	s_load_dwordx2 s[18:19], s[0:1], 0x50
	s_load_dword s33, s[0:1], 0x38
	s_ashr_i32 s3, s2, 31
	s_lshl_b64 s[2:3], s[2:3], 2
	s_waitcnt lgkmcnt(0)
	s_add_u32 s2, s10, s2
	s_addc_u32 s3, s11, s3
	s_load_dword s4, s[2:3], 0x0
	s_load_dwordx2 s[28:29], s[0:1], 0x20
	s_load_dwordx2 s[30:31], s[0:1], 0x30
	v_mbcnt_lo_u32_b32 v2, -1, 0
	v_mbcnt_hi_u32_b32 v2, -1, v2
	s_waitcnt lgkmcnt(0)
	s_sub_i32 s34, s4, s33
	s_cmp_eq_u32 s6, 0
	v_lshl_or_b32 v32, v2, 2, 28
	s_cselect_b64 s[0:1], -1, 0
	s_ashr_i32 s66, s22, 31
	v_mul_lo_u32 v2, v1, s22
	v_and_b32_e32 v29, 7, v0
	v_lshlrev_b32_e32 v30, 6, v1
	s_mul_hi_u32 s2, s22, s21
	s_mul_i32 s3, s66, s21
	v_lshlrev_b32_e32 v4, 4, v1
	v_mov_b32_e32 v5, 0
	v_ashrrev_i32_e32 v3, 31, v2
	s_add_i32 s67, s2, s3
	v_lshl_add_u64 v[6:7], s[8:9], 0, v[4:5]
	v_lshl_add_u64 v[2:3], v[2:3], 4, s[8:9]
	v_lshlrev_b32_e32 v33, 2, v0
	v_cmp_gt_u32_e64 s[2:3], 64, v0
	v_cmp_gt_u32_e64 s[4:5], 32, v0
	;; [unrolled: 1-line block ×6, first 2 shown]
	v_cmp_eq_u32_e64 s[14:15], 0, v0
	v_or_b32_e32 v0, v30, v29
	v_lshlrev_b32_e32 v34, 4, v0
	v_cmp_gt_u32_e64 s[16:17], s22, v29
	v_or_b32_e32 v0, 8, v29
	s_and_b64 s[36:37], vcc, s[16:17]
	v_cmp_gt_u32_e64 s[16:17], s22, v0
	v_or_b32_e32 v0, 16, v29
	s_and_b64 s[38:39], vcc, s[16:17]
	;; [unrolled: 3-line block ×3, first 2 shown]
	v_cmp_gt_u32_e64 s[16:17], s22, v0
	v_or_b32_e32 v0, 32, v29
	v_lshlrev_b32_e32 v4, 4, v29
	s_and_b64 s[42:43], vcc, s[16:17]
	v_cmp_gt_u32_e64 s[16:17], s22, v0
	v_or_b32_e32 v0, 40, v29
	s_mul_i32 s68, s22, s21
	v_lshl_add_u64 v[8:9], v[2:3], 0, v[4:5]
	v_mul_lo_u32 v4, v29, s21
	s_lshl_b32 s25, s21, 3
	s_and_b64 s[44:45], vcc, s[16:17]
	v_cmp_gt_u32_e64 s[16:17], s22, v0
	v_or_b32_e32 v0, 48, v29
	s_abs_i32 s21, s22
	s_and_b64 s[46:47], vcc, s[16:17]
	v_cmp_gt_u32_e64 s[16:17], s22, v0
	v_cvt_f32_u32_e32 v0, s21
	v_add_u32_e32 v10, s25, v4
	v_add_u32_e32 v12, s25, v10
	;; [unrolled: 1-line block ×3, first 2 shown]
	v_rcp_iflag_f32_e32 v0, v0
	v_or_b32_e32 v1, 56, v29
	v_add_u32_e32 v16, s25, v14
	s_and_b64 s[48:49], vcc, s[16:17]
	v_mul_f32_e32 v0, 0x4f7ffffe, v0
	v_cvt_u32_f32_e32 v0, v0
	v_cmp_gt_u32_e64 s[16:17], s22, v1
	v_add_u32_e32 v18, s25, v16
	s_and_b64 s[50:51], vcc, s[16:17]
	s_sub_i32 s16, 0, s21
	s_mov_b32 s24, 0
	v_add_u32_e32 v20, s25, v18
	v_mul_lo_u32 v1, s16, v0
	v_add_u32_e32 v22, s25, v20
	v_mul_hi_u32 v1, v0, v1
	s_mov_b32 s25, s24
	v_add_u32_e32 v43, v0, v1
	s_mov_b32 s26, s24
	s_mov_b32 s27, s24
	v_mov_b64_e32 v[0:1], s[24:25]
	v_mov_b32_e32 v31, 0
	v_or_b32_e32 v35, 0x80, v34
	v_or_b32_e32 v36, 0x100, v34
	;; [unrolled: 1-line block ×7, first 2 shown]
	v_mov_b32_e32 v11, v5
	v_mov_b32_e32 v13, v5
	;; [unrolled: 1-line block ×7, first 2 shown]
	v_mov_b64_e32 v[2:3], s[26:27]
	s_mov_b64 s[24:25], 0x80
	s_mov_b64 s[26:27], 0x100
	;; [unrolled: 1-line block ×7, first 2 shown]
	v_mov_b32_e32 v44, 1
	v_mov_b32_e32 v26, 0
	s_branch .LBB213_7
.LBB213_6:                              ;   in Loop: Header=BB213_7 Depth=1
	s_or_b64 exec, exec, s[16:17]
	s_waitcnt lgkmcnt(0)
	s_barrier
	ds_read_b32 v26, v5
	s_add_i32 s34, s35, s34
	s_waitcnt lgkmcnt(0)
	s_barrier
	v_cmp_gt_i32_e32 vcc, s20, v26
	s_cbranch_vccz .LBB213_47
.LBB213_7:                              ; =>This Loop Header: Depth=1
                                        ;     Child Loop BB213_10 Depth 2
	v_add_u32_e32 v24, v42, v29
	v_cmp_lt_i32_e32 vcc, v24, v28
	v_mov_b32_e32 v45, s20
	v_mov_b32_e32 v42, v28
	ds_write_b8 v5, v31 offset:16384
	ds_write_b128 v34, v[0:3]
	ds_write_b128 v34, v[0:3] offset:128
	ds_write_b128 v34, v[0:3] offset:256
	;; [unrolled: 1-line block ×7, first 2 shown]
	s_waitcnt lgkmcnt(0)
	s_barrier
	s_and_saveexec_b64 s[62:63], vcc
	s_cbranch_execz .LBB213_15
; %bb.8:                                ;   in Loop: Header=BB213_7 Depth=1
	v_mul_lo_u32 v27, v26, s22
	s_mov_b64 s[64:65], 0
	v_mov_b32_e32 v45, s20
	v_mov_b32_e32 v42, v28
	s_branch .LBB213_10
.LBB213_9:                              ;   in Loop: Header=BB213_10 Depth=2
	s_or_b64 exec, exec, s[16:17]
	v_add_u32_e32 v24, 8, v24
	v_cmp_ge_i32_e64 s[16:17], v24, v28
	s_xor_b64 s[70:71], vcc, -1
	s_or_b64 s[16:17], s[70:71], s[16:17]
	s_and_b64 s[16:17], exec, s[16:17]
	s_or_b64 s[64:65], s[16:17], s[64:65]
	s_andn2_b64 exec, exec, s[64:65]
	s_cbranch_execz .LBB213_14
.LBB213_10:                             ;   Parent Loop BB213_7 Depth=1
                                        ; =>  This Inner Loop Header: Depth=2
	v_ashrrev_i32_e32 v25, 31, v24
	v_lshl_add_u64 v[46:47], v[24:25], 2, s[30:31]
	global_load_dword v46, v[46:47], off
	s_waitcnt vmcnt(0)
	v_subrev_u32_e32 v46, s23, v46
	v_sub_u32_e32 v48, 0, v46
	v_max_i32_e32 v48, v46, v48
	v_mul_hi_u32 v49, v48, v43
	v_mul_lo_u32 v50, v49, s21
	v_sub_u32_e32 v48, v48, v50
	v_add_u32_e32 v51, 1, v49
	v_cmp_le_u32_e32 vcc, s21, v48
	v_subrev_u32_e32 v50, s21, v48
	v_ashrrev_i32_e32 v47, 31, v46
	v_cndmask_b32_e32 v49, v49, v51, vcc
	v_cndmask_b32_e32 v48, v48, v50, vcc
	v_add_u32_e32 v50, 1, v49
	v_cmp_le_u32_e32 vcc, s21, v48
	v_xor_b32_e32 v47, s66, v47
	s_nop 0
	v_cndmask_b32_e32 v48, v49, v50, vcc
	v_xor_b32_e32 v48, v48, v47
	v_sub_u32_e32 v48, v48, v47
	v_cmp_eq_u32_e32 vcc, v48, v26
	v_cmp_ne_u32_e64 s[16:17], v48, v26
	v_mov_b32_e32 v47, v42
	s_and_saveexec_b64 s[70:71], s[16:17]
	s_xor_b64 s[16:17], exec, s[70:71]
; %bb.11:                               ;   in Loop: Header=BB213_10 Depth=2
	v_min_i32_e32 v45, v48, v45
                                        ; implicit-def: $vgpr46
                                        ; implicit-def: $vgpr47
; %bb.12:                               ;   in Loop: Header=BB213_10 Depth=2
	s_or_saveexec_b64 s[16:17], s[16:17]
	v_mov_b32_e32 v42, v24
	s_xor_b64 exec, exec, s[16:17]
	s_cbranch_execz .LBB213_9
; %bb.13:                               ;   in Loop: Header=BB213_10 Depth=2
	v_lshl_add_u64 v[48:49], v[24:25], 4, s[28:29]
	global_load_dwordx4 v[48:51], v[48:49], off
	v_sub_u32_e32 v25, v46, v27
	v_add_lshl_u32 v25, v25, v30, 4
	v_mov_b32_e32 v42, v47
	ds_write_b8 v5, v44 offset:16384
	s_waitcnt vmcnt(0)
	ds_write2_b64 v25, v[48:49], v[50:51] offset1:1
	s_branch .LBB213_9
.LBB213_14:                             ;   in Loop: Header=BB213_7 Depth=1
	s_or_b64 exec, exec, s[64:65]
.LBB213_15:                             ;   in Loop: Header=BB213_7 Depth=1
	s_or_b64 exec, exec, s[62:63]
	v_mov_b32_dpp v24, v42 row_shr:1 row_mask:0xf bank_mask:0xf
	v_min_i32_e32 v24, v24, v42
	s_waitcnt lgkmcnt(0)
	s_barrier
	v_mov_b32_dpp v25, v24 row_shr:2 row_mask:0xf bank_mask:0xf
	v_min_i32_e32 v24, v25, v24
	ds_read_u8 v25, v5 offset:16384
	s_nop 0
	v_mov_b32_dpp v27, v24 row_shr:4 row_mask:0xf bank_mask:0xe
	v_min_i32_e32 v24, v27, v24
	ds_bpermute_b32 v42, v32, v24
	s_mov_b32 s35, 0
	s_waitcnt lgkmcnt(1)
	v_cmp_eq_u32_e32 vcc, 0, v25
	s_cbranch_vccnz .LBB213_26
; %bb.16:                               ;   in Loop: Header=BB213_7 Depth=1
	s_ashr_i32 s35, s34, 31
	s_lshl_b64 s[16:17], s[34:35], 2
	s_add_u32 s16, s18, s16
	v_add_u32_e32 v24, s33, v26
	s_addc_u32 s17, s19, s17
	global_store_dword v5, v24, s[16:17]
	s_mul_hi_u32 s16, s68, s34
	s_mul_i32 s17, s68, s35
	s_add_i32 s16, s16, s17
	s_mul_i32 s17, s67, s34
	s_add_i32 s17, s16, s17
	s_mul_i32 s16, s68, s34
	s_lshl_b64 s[16:17], s[16:17], 4
	v_lshl_add_u64 v[24:25], v[6:7], 0, s[16:17]
	v_lshl_add_u64 v[26:27], v[8:9], 0, s[16:17]
	s_and_saveexec_b64 s[16:17], s[36:37]
	s_cbranch_execnz .LBB213_40
; %bb.17:                               ;   in Loop: Header=BB213_7 Depth=1
	s_or_b64 exec, exec, s[16:17]
	s_and_saveexec_b64 s[16:17], s[38:39]
	s_cbranch_execnz .LBB213_41
.LBB213_18:                             ;   in Loop: Header=BB213_7 Depth=1
	s_or_b64 exec, exec, s[16:17]
	s_and_saveexec_b64 s[16:17], s[40:41]
	s_cbranch_execnz .LBB213_42
.LBB213_19:                             ;   in Loop: Header=BB213_7 Depth=1
	s_or_b64 exec, exec, s[16:17]
	s_and_saveexec_b64 s[16:17], s[42:43]
	s_cbranch_execnz .LBB213_43
.LBB213_20:                             ;   in Loop: Header=BB213_7 Depth=1
	s_or_b64 exec, exec, s[16:17]
	s_and_saveexec_b64 s[16:17], s[44:45]
	s_cbranch_execnz .LBB213_44
.LBB213_21:                             ;   in Loop: Header=BB213_7 Depth=1
	s_or_b64 exec, exec, s[16:17]
	s_and_saveexec_b64 s[16:17], s[46:47]
	s_cbranch_execnz .LBB213_45
.LBB213_22:                             ;   in Loop: Header=BB213_7 Depth=1
	s_or_b64 exec, exec, s[16:17]
	s_and_saveexec_b64 s[16:17], s[48:49]
	s_cbranch_execnz .LBB213_46
.LBB213_23:                             ;   in Loop: Header=BB213_7 Depth=1
	s_or_b64 exec, exec, s[16:17]
	s_and_saveexec_b64 s[16:17], s[50:51]
	s_cbranch_execz .LBB213_25
.LBB213_24:                             ;   in Loop: Header=BB213_7 Depth=1
	ds_read2_b64 v[46:49], v41 offset1:1
	v_lshl_add_u64 v[26:27], v[26:27], 0, s[60:61]
	v_lshl_add_u64 v[24:25], v[22:23], 4, v[24:25]
	v_cndmask_b32_e64 v25, v25, v27, s[0:1]
	v_cndmask_b32_e64 v24, v24, v26, s[0:1]
	s_waitcnt lgkmcnt(0)
	global_store_dwordx4 v[24:25], v[46:49], off
.LBB213_25:                             ;   in Loop: Header=BB213_7 Depth=1
	s_or_b64 exec, exec, s[16:17]
	s_mov_b32 s35, 1
.LBB213_26:                             ;   in Loop: Header=BB213_7 Depth=1
	s_waitcnt lgkmcnt(0)
	s_barrier
	ds_write_b32 v33, v45
	s_waitcnt lgkmcnt(0)
	s_barrier
	s_and_saveexec_b64 s[16:17], s[2:3]
	s_cbranch_execz .LBB213_28
; %bb.27:                               ;   in Loop: Header=BB213_7 Depth=1
	ds_read2st64_b32 v[24:25], v33 offset1:1
	s_waitcnt lgkmcnt(0)
	v_min_i32_e32 v24, v25, v24
	ds_write_b32 v33, v24
.LBB213_28:                             ;   in Loop: Header=BB213_7 Depth=1
	s_or_b64 exec, exec, s[16:17]
	s_waitcnt lgkmcnt(0)
	s_barrier
	s_and_saveexec_b64 s[16:17], s[4:5]
	s_cbranch_execz .LBB213_30
; %bb.29:                               ;   in Loop: Header=BB213_7 Depth=1
	ds_read2_b32 v[24:25], v33 offset1:32
	s_waitcnt lgkmcnt(0)
	v_min_i32_e32 v24, v25, v24
	ds_write_b32 v33, v24
.LBB213_30:                             ;   in Loop: Header=BB213_7 Depth=1
	s_or_b64 exec, exec, s[16:17]
	s_waitcnt lgkmcnt(0)
	s_barrier
	s_and_saveexec_b64 s[16:17], s[6:7]
	s_cbranch_execz .LBB213_32
; %bb.31:                               ;   in Loop: Header=BB213_7 Depth=1
	ds_read2_b32 v[24:25], v33 offset1:16
	s_waitcnt lgkmcnt(0)
	v_min_i32_e32 v24, v25, v24
	ds_write_b32 v33, v24
.LBB213_32:                             ;   in Loop: Header=BB213_7 Depth=1
	s_or_b64 exec, exec, s[16:17]
	s_waitcnt lgkmcnt(0)
	s_barrier
	s_and_saveexec_b64 s[16:17], s[8:9]
	s_cbranch_execz .LBB213_34
; %bb.33:                               ;   in Loop: Header=BB213_7 Depth=1
	ds_read2_b32 v[24:25], v33 offset1:8
	s_waitcnt lgkmcnt(0)
	v_min_i32_e32 v24, v25, v24
	ds_write_b32 v33, v24
.LBB213_34:                             ;   in Loop: Header=BB213_7 Depth=1
	s_or_b64 exec, exec, s[16:17]
	s_waitcnt lgkmcnt(0)
	s_barrier
	s_and_saveexec_b64 s[16:17], s[10:11]
	s_cbranch_execz .LBB213_36
; %bb.35:                               ;   in Loop: Header=BB213_7 Depth=1
	ds_read2_b32 v[24:25], v33 offset1:4
	s_waitcnt lgkmcnt(0)
	v_min_i32_e32 v24, v25, v24
	ds_write_b32 v33, v24
.LBB213_36:                             ;   in Loop: Header=BB213_7 Depth=1
	s_or_b64 exec, exec, s[16:17]
	s_waitcnt lgkmcnt(0)
	s_barrier
	s_and_saveexec_b64 s[16:17], s[12:13]
	s_cbranch_execz .LBB213_38
; %bb.37:                               ;   in Loop: Header=BB213_7 Depth=1
	ds_read2_b32 v[24:25], v33 offset1:2
	s_waitcnt lgkmcnt(0)
	v_min_i32_e32 v24, v25, v24
	ds_write_b32 v33, v24
.LBB213_38:                             ;   in Loop: Header=BB213_7 Depth=1
	s_or_b64 exec, exec, s[16:17]
	s_waitcnt lgkmcnt(0)
	s_barrier
	s_and_saveexec_b64 s[16:17], s[14:15]
	s_cbranch_execz .LBB213_6
; %bb.39:                               ;   in Loop: Header=BB213_7 Depth=1
	ds_read_b64 v[24:25], v5
	s_waitcnt lgkmcnt(0)
	v_min_i32_e32 v24, v25, v24
	ds_write_b32 v5, v24
	s_branch .LBB213_6
.LBB213_40:                             ;   in Loop: Header=BB213_7 Depth=1
	ds_read2_b64 v[46:49], v34 offset1:1
	v_lshl_add_u64 v[50:51], v[4:5], 4, v[24:25]
	v_cndmask_b32_e64 v51, v51, v27, s[0:1]
	v_cndmask_b32_e64 v50, v50, v26, s[0:1]
	s_waitcnt lgkmcnt(0)
	global_store_dwordx4 v[50:51], v[46:49], off
	s_or_b64 exec, exec, s[16:17]
	s_and_saveexec_b64 s[16:17], s[38:39]
	s_cbranch_execz .LBB213_18
.LBB213_41:                             ;   in Loop: Header=BB213_7 Depth=1
	ds_read2_b64 v[46:49], v35 offset1:1
	v_lshl_add_u64 v[50:51], v[26:27], 0, s[24:25]
	v_lshl_add_u64 v[52:53], v[10:11], 4, v[24:25]
	v_cndmask_b32_e64 v51, v53, v51, s[0:1]
	v_cndmask_b32_e64 v50, v52, v50, s[0:1]
	s_waitcnt lgkmcnt(0)
	global_store_dwordx4 v[50:51], v[46:49], off
	s_or_b64 exec, exec, s[16:17]
	s_and_saveexec_b64 s[16:17], s[40:41]
	s_cbranch_execz .LBB213_19
.LBB213_42:                             ;   in Loop: Header=BB213_7 Depth=1
	ds_read2_b64 v[46:49], v36 offset1:1
	v_lshl_add_u64 v[50:51], v[26:27], 0, s[26:27]
	v_lshl_add_u64 v[52:53], v[12:13], 4, v[24:25]
	v_cndmask_b32_e64 v51, v53, v51, s[0:1]
	v_cndmask_b32_e64 v50, v52, v50, s[0:1]
	s_waitcnt lgkmcnt(0)
	global_store_dwordx4 v[50:51], v[46:49], off
	s_or_b64 exec, exec, s[16:17]
	s_and_saveexec_b64 s[16:17], s[42:43]
	s_cbranch_execz .LBB213_20
.LBB213_43:                             ;   in Loop: Header=BB213_7 Depth=1
	ds_read2_b64 v[46:49], v37 offset1:1
	v_lshl_add_u64 v[50:51], v[26:27], 0, s[52:53]
	v_lshl_add_u64 v[52:53], v[14:15], 4, v[24:25]
	v_cndmask_b32_e64 v51, v53, v51, s[0:1]
	v_cndmask_b32_e64 v50, v52, v50, s[0:1]
	s_waitcnt lgkmcnt(0)
	global_store_dwordx4 v[50:51], v[46:49], off
	s_or_b64 exec, exec, s[16:17]
	s_and_saveexec_b64 s[16:17], s[44:45]
	s_cbranch_execz .LBB213_21
.LBB213_44:                             ;   in Loop: Header=BB213_7 Depth=1
	ds_read2_b64 v[46:49], v38 offset1:1
	v_lshl_add_u64 v[50:51], v[26:27], 0, s[54:55]
	v_lshl_add_u64 v[52:53], v[16:17], 4, v[24:25]
	v_cndmask_b32_e64 v51, v53, v51, s[0:1]
	v_cndmask_b32_e64 v50, v52, v50, s[0:1]
	s_waitcnt lgkmcnt(0)
	global_store_dwordx4 v[50:51], v[46:49], off
	s_or_b64 exec, exec, s[16:17]
	s_and_saveexec_b64 s[16:17], s[46:47]
	s_cbranch_execz .LBB213_22
.LBB213_45:                             ;   in Loop: Header=BB213_7 Depth=1
	ds_read2_b64 v[46:49], v39 offset1:1
	v_lshl_add_u64 v[50:51], v[26:27], 0, s[56:57]
	v_lshl_add_u64 v[52:53], v[18:19], 4, v[24:25]
	v_cndmask_b32_e64 v51, v53, v51, s[0:1]
	v_cndmask_b32_e64 v50, v52, v50, s[0:1]
	s_waitcnt lgkmcnt(0)
	global_store_dwordx4 v[50:51], v[46:49], off
	s_or_b64 exec, exec, s[16:17]
	s_and_saveexec_b64 s[16:17], s[48:49]
	s_cbranch_execz .LBB213_23
.LBB213_46:                             ;   in Loop: Header=BB213_7 Depth=1
	ds_read2_b64 v[46:49], v40 offset1:1
	v_lshl_add_u64 v[50:51], v[26:27], 0, s[58:59]
	v_lshl_add_u64 v[52:53], v[20:21], 4, v[24:25]
	v_cndmask_b32_e64 v51, v53, v51, s[0:1]
	v_cndmask_b32_e64 v50, v52, v50, s[0:1]
	s_waitcnt lgkmcnt(0)
	global_store_dwordx4 v[50:51], v[46:49], off
	s_or_b64 exec, exec, s[16:17]
	s_and_saveexec_b64 s[16:17], s[50:51]
	s_cbranch_execnz .LBB213_24
	s_branch .LBB213_25
.LBB213_47:
	s_endpgm
	.section	.rodata,"a",@progbits
	.p2align	6, 0x0
	.amdhsa_kernel _ZN9rocsparseL40csr2gebsr_block_per_row_multipass_kernelILj128ELj16ELj64E21rocsparse_complex_numIdEEEv20rocsparse_direction_iiiiii21rocsparse_index_base_PKT2_PKiS9_S4_PS5_PiSB_
		.amdhsa_group_segment_fixed_size 16392
		.amdhsa_private_segment_fixed_size 0
		.amdhsa_kernarg_size 88
		.amdhsa_user_sgpr_count 2
		.amdhsa_user_sgpr_dispatch_ptr 0
		.amdhsa_user_sgpr_queue_ptr 0
		.amdhsa_user_sgpr_kernarg_segment_ptr 1
		.amdhsa_user_sgpr_dispatch_id 0
		.amdhsa_user_sgpr_kernarg_preload_length 0
		.amdhsa_user_sgpr_kernarg_preload_offset 0
		.amdhsa_user_sgpr_private_segment_size 0
		.amdhsa_uses_dynamic_stack 0
		.amdhsa_enable_private_segment 0
		.amdhsa_system_sgpr_workgroup_id_x 1
		.amdhsa_system_sgpr_workgroup_id_y 0
		.amdhsa_system_sgpr_workgroup_id_z 0
		.amdhsa_system_sgpr_workgroup_info 0
		.amdhsa_system_vgpr_workitem_id 0
		.amdhsa_next_free_vgpr 54
		.amdhsa_next_free_sgpr 72
		.amdhsa_accum_offset 56
		.amdhsa_reserve_vcc 1
		.amdhsa_float_round_mode_32 0
		.amdhsa_float_round_mode_16_64 0
		.amdhsa_float_denorm_mode_32 3
		.amdhsa_float_denorm_mode_16_64 3
		.amdhsa_dx10_clamp 1
		.amdhsa_ieee_mode 1
		.amdhsa_fp16_overflow 0
		.amdhsa_tg_split 0
		.amdhsa_exception_fp_ieee_invalid_op 0
		.amdhsa_exception_fp_denorm_src 0
		.amdhsa_exception_fp_ieee_div_zero 0
		.amdhsa_exception_fp_ieee_overflow 0
		.amdhsa_exception_fp_ieee_underflow 0
		.amdhsa_exception_fp_ieee_inexact 0
		.amdhsa_exception_int_div_zero 0
	.end_amdhsa_kernel
	.section	.text._ZN9rocsparseL40csr2gebsr_block_per_row_multipass_kernelILj128ELj16ELj64E21rocsparse_complex_numIdEEEv20rocsparse_direction_iiiiii21rocsparse_index_base_PKT2_PKiS9_S4_PS5_PiSB_,"axG",@progbits,_ZN9rocsparseL40csr2gebsr_block_per_row_multipass_kernelILj128ELj16ELj64E21rocsparse_complex_numIdEEEv20rocsparse_direction_iiiiii21rocsparse_index_base_PKT2_PKiS9_S4_PS5_PiSB_,comdat
.Lfunc_end213:
	.size	_ZN9rocsparseL40csr2gebsr_block_per_row_multipass_kernelILj128ELj16ELj64E21rocsparse_complex_numIdEEEv20rocsparse_direction_iiiiii21rocsparse_index_base_PKT2_PKiS9_S4_PS5_PiSB_, .Lfunc_end213-_ZN9rocsparseL40csr2gebsr_block_per_row_multipass_kernelILj128ELj16ELj64E21rocsparse_complex_numIdEEEv20rocsparse_direction_iiiiii21rocsparse_index_base_PKT2_PKiS9_S4_PS5_PiSB_
                                        ; -- End function
	.section	.AMDGPU.csdata,"",@progbits
; Kernel info:
; codeLenInByte = 2324
; NumSgprs: 78
; NumVgprs: 54
; NumAgprs: 0
; TotalNumVgprs: 54
; ScratchSize: 0
; MemoryBound: 0
; FloatMode: 240
; IeeeMode: 1
; LDSByteSize: 16392 bytes/workgroup (compile time only)
; SGPRBlocks: 9
; VGPRBlocks: 6
; NumSGPRsForWavesPerEU: 78
; NumVGPRsForWavesPerEU: 54
; AccumOffset: 56
; Occupancy: 2
; WaveLimiterHint : 0
; COMPUTE_PGM_RSRC2:SCRATCH_EN: 0
; COMPUTE_PGM_RSRC2:USER_SGPR: 2
; COMPUTE_PGM_RSRC2:TRAP_HANDLER: 0
; COMPUTE_PGM_RSRC2:TGID_X_EN: 1
; COMPUTE_PGM_RSRC2:TGID_Y_EN: 0
; COMPUTE_PGM_RSRC2:TGID_Z_EN: 0
; COMPUTE_PGM_RSRC2:TIDIG_COMP_CNT: 0
; COMPUTE_PGM_RSRC3_GFX90A:ACCUM_OFFSET: 13
; COMPUTE_PGM_RSRC3_GFX90A:TG_SPLIT: 0
	.section	.text._ZN9rocsparseL44csr2gebsr_wavefront_per_row_multipass_kernelILi256ELi32ELi2ELi64E21rocsparse_complex_numIdEEEv20rocsparse_direction_iiiiii21rocsparse_index_base_PKT3_PKiS9_S4_PS5_PiSB_,"axG",@progbits,_ZN9rocsparseL44csr2gebsr_wavefront_per_row_multipass_kernelILi256ELi32ELi2ELi64E21rocsparse_complex_numIdEEEv20rocsparse_direction_iiiiii21rocsparse_index_base_PKT3_PKiS9_S4_PS5_PiSB_,comdat
	.globl	_ZN9rocsparseL44csr2gebsr_wavefront_per_row_multipass_kernelILi256ELi32ELi2ELi64E21rocsparse_complex_numIdEEEv20rocsparse_direction_iiiiii21rocsparse_index_base_PKT3_PKiS9_S4_PS5_PiSB_ ; -- Begin function _ZN9rocsparseL44csr2gebsr_wavefront_per_row_multipass_kernelILi256ELi32ELi2ELi64E21rocsparse_complex_numIdEEEv20rocsparse_direction_iiiiii21rocsparse_index_base_PKT3_PKiS9_S4_PS5_PiSB_
	.p2align	8
	.type	_ZN9rocsparseL44csr2gebsr_wavefront_per_row_multipass_kernelILi256ELi32ELi2ELi64E21rocsparse_complex_numIdEEEv20rocsparse_direction_iiiiii21rocsparse_index_base_PKT3_PKiS9_S4_PS5_PiSB_,@function
_ZN9rocsparseL44csr2gebsr_wavefront_per_row_multipass_kernelILi256ELi32ELi2ELi64E21rocsparse_complex_numIdEEEv20rocsparse_direction_iiiiii21rocsparse_index_base_PKT3_PKiS9_S4_PS5_PiSB_: ; @_ZN9rocsparseL44csr2gebsr_wavefront_per_row_multipass_kernelILi256ELi32ELi2ELi64E21rocsparse_complex_numIdEEEv20rocsparse_direction_iiiiii21rocsparse_index_base_PKT3_PKiS9_S4_PS5_PiSB_
; %bb.0:
	s_load_dwordx2 s[14:15], s[0:1], 0x0
	s_load_dwordx4 s[4:7], s[0:1], 0xc
	s_load_dword s20, s[0:1], 0x1c
	s_load_dwordx2 s[8:9], s[0:1], 0x28
	v_lshrrev_b32_e32 v14, 6, v0
	v_bfe_u32 v2, v0, 1, 5
	v_lshl_or_b32 v6, s2, 2, v14
	s_waitcnt lgkmcnt(0)
	v_mad_u64_u32 v[4:5], s[2:3], v6, s6, v[2:3]
	v_cmp_gt_i32_e64 s[2:3], s15, v4
	v_cmp_gt_i32_e32 vcc, s6, v2
	s_and_b64 s[2:3], vcc, s[2:3]
	v_mov_b32_e32 v15, 0
	v_mov_b32_e32 v10, 0
	s_and_saveexec_b64 s[10:11], s[2:3]
	s_cbranch_execz .LBB214_2
; %bb.1:
	v_ashrrev_i32_e32 v5, 31, v4
	v_lshl_add_u64 v[8:9], v[4:5], 2, s[8:9]
	global_load_dword v1, v[8:9], off
	s_waitcnt vmcnt(0)
	v_subrev_u32_e32 v10, s20, v1
.LBB214_2:
	s_or_b64 exec, exec, s[10:11]
	s_and_saveexec_b64 s[10:11], s[2:3]
	s_cbranch_execz .LBB214_4
; %bb.3:
	v_ashrrev_i32_e32 v5, 31, v4
	v_lshl_add_u64 v[4:5], v[4:5], 2, s[8:9]
	global_load_dword v1, v[4:5], off offset:4
	s_waitcnt vmcnt(0)
	v_subrev_u32_e32 v15, s20, v1
.LBB214_4:
	s_or_b64 exec, exec, s[10:11]
	s_load_dword s21, s[0:1], 0x38
	v_cmp_gt_i32_e64 s[2:3], s4, v6
	v_mov_b32_e32 v4, 0
	s_and_saveexec_b64 s[8:9], s[2:3]
	s_cbranch_execz .LBB214_6
; %bb.5:
	s_load_dwordx2 s[2:3], s[0:1], 0x48
	v_ashrrev_i32_e32 v7, 31, v6
	s_waitcnt lgkmcnt(0)
	v_lshl_add_u64 v[4:5], v[6:7], 2, s[2:3]
	global_load_dword v1, v[4:5], off
	s_waitcnt vmcnt(0)
	v_subrev_u32_e32 v4, s21, v1
.LBB214_6:
	s_or_b64 exec, exec, s[8:9]
	s_cmp_lt_i32 s5, 1
	s_cbranch_scc1 .LBB214_21
; %bb.7:
	v_and_b32_e32 v6, 1, v0
	v_and_b32_e32 v0, 0xc0, v0
	s_load_dwordx2 s[2:3], s[0:1], 0x20
	s_load_dwordx2 s[8:9], s[0:1], 0x50
	;; [unrolled: 1-line block ×4, first 2 shown]
	v_lshl_or_b32 v16, v2, 1, v0
	v_mbcnt_lo_u32_b32 v0, -1, 0
	v_mbcnt_hi_u32_b32 v0, -1, v0
	v_mov_b32_e32 v7, 0
	v_lshlrev_b32_e32 v5, 2, v0
	v_cmp_gt_u32_e64 s[0:1], s7, v6
	v_or_b32_e32 v0, v16, v6
	s_and_b64 s[12:13], vcc, s[0:1]
	v_lshlrev_b32_e32 v18, 4, v0
	v_mul_lo_u32 v0, v6, s6
	v_mov_b32_e32 v1, v7
	v_lshlrev_b32_e32 v8, 4, v2
	v_mul_lo_u32 v2, v2, s7
	s_cmp_eq_u32 s14, 0
	s_waitcnt lgkmcnt(0)
	v_lshl_add_u64 v[0:1], v[0:1], 4, s[16:17]
	v_mov_b32_e32 v9, v7
	v_ashrrev_i32_e32 v3, 31, v2
	v_lshl_add_u64 v[0:1], v[0:1], 0, v[8:9]
	v_lshl_add_u64 v[2:3], v[2:3], 4, s[16:17]
	v_lshlrev_b32_e32 v8, 4, v6
	s_cselect_b64 vcc, -1, 0
	s_abs_i32 s4, s7
	v_lshl_add_u64 v[2:3], v[2:3], 0, v[8:9]
	v_cvt_f32_u32_e32 v8, s4
	v_or_b32_e32 v17, 4, v5
	v_or_b32_e32 v19, 0xfc, v5
	s_ashr_i32 s22, s7, 31
	v_rcp_iflag_f32_e32 v8, v8
	s_mul_hi_u32 s0, s7, s6
	s_mul_i32 s1, s22, s6
	s_add_i32 s23, s0, s1
	v_mul_f32_e32 v5, 0x4f7ffffe, v8
	v_cvt_u32_f32_e32 v5, v5
	s_sub_i32 s0, 0, s4
	v_cndmask_b32_e32 v8, v0, v2, vcc
	s_mul_i32 s6, s7, s6
	v_mul_lo_u32 v0, s0, v5
	v_mul_hi_u32 v0, v5, v0
	v_cndmask_b32_e32 v9, v1, v3, vcc
	v_add_u32_e32 v20, v5, v0
	s_mov_b64 s[14:15], 0
	v_mov_b32_e32 v0, v7
	v_mov_b32_e32 v1, v7
	;; [unrolled: 1-line block ×6, first 2 shown]
	s_branch .LBB214_10
.LBB214_8:                              ;   in Loop: Header=BB214_10 Depth=1
	s_or_b64 exec, exec, s[16:17]
	v_mov_b32_e32 v11, 1
.LBB214_9:                              ;   in Loop: Header=BB214_10 Depth=1
	s_or_b64 exec, exec, s[0:1]
	v_mov_b32_dpp v5, v22 row_shr:1 row_mask:0xf bank_mask:0xf
	v_min_i32_e32 v5, v5, v22
	v_add_u32_e32 v4, v11, v4
	s_waitcnt lgkmcnt(0)
	v_mov_b32_dpp v12, v5 row_shr:2 row_mask:0xf bank_mask:0xf
	v_min_i32_e32 v5, v12, v5
	s_nop 1
	v_mov_b32_dpp v12, v5 row_shr:4 row_mask:0xf bank_mask:0xe
	v_min_i32_e32 v5, v12, v5
	s_nop 1
	;; [unrolled: 3-line block ×3, first 2 shown]
	v_mov_b32_dpp v12, v5 row_bcast:15 row_mask:0xa bank_mask:0xf
	v_min_i32_e32 v5, v12, v5
	s_nop 1
	v_mov_b32_dpp v12, v5 row_bcast:31 row_mask:0xc bank_mask:0xf
	v_min_i32_e32 v5, v12, v5
	ds_bpermute_b32 v5, v19, v5
	s_waitcnt lgkmcnt(0)
	v_cmp_le_i32_e32 vcc, s5, v5
	s_or_b64 s[14:15], vcc, s[14:15]
	s_andn2_b64 exec, exec, s[14:15]
	s_cbranch_execz .LBB214_21
.LBB214_10:                             ; =>This Loop Header: Depth=1
                                        ;     Child Loop BB214_13 Depth 2
	v_add_u32_e32 v23, v10, v6
	v_cmp_lt_i32_e32 vcc, v23, v15
	v_mov_b32_e32 v22, s5
	v_mov_b32_e32 v25, v15
	ds_write_b8 v14, v7 offset:4096
	ds_write_b128 v18, v[0:3]
	s_waitcnt lgkmcnt(0)
	s_and_saveexec_b64 s[16:17], vcc
	s_cbranch_execz .LBB214_18
; %bb.11:                               ;   in Loop: Header=BB214_10 Depth=1
	v_ashrrev_i32_e32 v11, 31, v10
	v_lshl_add_u64 v[12:13], v[6:7], 0, v[10:11]
	v_mul_lo_u32 v24, v5, s7
	v_lshl_add_u64 v[10:11], v[12:13], 2, s[10:11]
	v_lshl_add_u64 v[12:13], v[12:13], 4, s[2:3]
	s_mov_b64 s[18:19], 0
	v_mov_b32_e32 v22, s5
	v_mov_b32_e32 v25, v15
	s_branch .LBB214_13
.LBB214_12:                             ;   in Loop: Header=BB214_13 Depth=2
	s_or_b64 exec, exec, s[0:1]
	v_add_u32_e32 v23, 2, v23
	v_cmp_ge_i32_e64 s[0:1], v23, v15
	s_xor_b64 s[24:25], vcc, -1
	s_or_b64 s[0:1], s[24:25], s[0:1]
	s_and_b64 s[0:1], exec, s[0:1]
	v_lshl_add_u64 v[10:11], v[10:11], 0, 8
	s_or_b64 s[18:19], s[0:1], s[18:19]
	v_lshl_add_u64 v[12:13], v[12:13], 0, 32
	s_andn2_b64 exec, exec, s[18:19]
	s_cbranch_execz .LBB214_17
.LBB214_13:                             ;   Parent Loop BB214_10 Depth=1
                                        ; =>  This Inner Loop Header: Depth=2
	global_load_dword v26, v[10:11], off
	s_waitcnt vmcnt(0)
	v_subrev_u32_e32 v26, s20, v26
	v_sub_u32_e32 v28, 0, v26
	v_max_i32_e32 v28, v26, v28
	v_mul_hi_u32 v29, v28, v20
	v_mul_lo_u32 v30, v29, s4
	v_sub_u32_e32 v28, v28, v30
	v_add_u32_e32 v31, 1, v29
	v_cmp_le_u32_e32 vcc, s4, v28
	v_subrev_u32_e32 v30, s4, v28
	v_ashrrev_i32_e32 v27, 31, v26
	v_cndmask_b32_e32 v29, v29, v31, vcc
	v_cndmask_b32_e32 v28, v28, v30, vcc
	v_add_u32_e32 v30, 1, v29
	v_cmp_le_u32_e32 vcc, s4, v28
	v_xor_b32_e32 v27, s22, v27
	s_nop 0
	v_cndmask_b32_e32 v28, v29, v30, vcc
	v_xor_b32_e32 v28, v28, v27
	v_sub_u32_e32 v28, v28, v27
	v_cmp_eq_u32_e32 vcc, v28, v5
	v_cmp_ne_u32_e64 s[0:1], v28, v5
	v_mov_b32_e32 v27, v25
	s_and_saveexec_b64 s[24:25], s[0:1]
	s_xor_b64 s[0:1], exec, s[24:25]
; %bb.14:                               ;   in Loop: Header=BB214_13 Depth=2
	v_min_i32_e32 v22, v28, v22
                                        ; implicit-def: $vgpr26
                                        ; implicit-def: $vgpr27
; %bb.15:                               ;   in Loop: Header=BB214_13 Depth=2
	s_or_saveexec_b64 s[0:1], s[0:1]
	v_mov_b32_e32 v25, v23
	s_xor_b64 exec, exec, s[0:1]
	s_cbranch_execz .LBB214_12
; %bb.16:                               ;   in Loop: Header=BB214_13 Depth=2
	global_load_dwordx4 v[28:31], v[12:13], off
	v_sub_u32_e32 v25, v26, v24
	v_add_lshl_u32 v25, v16, v25, 4
	ds_write_b8 v14, v21 offset:4096
	s_waitcnt vmcnt(0)
	ds_write2_b64 v25, v[28:29], v[30:31] offset1:1
	v_mov_b32_e32 v25, v27
	s_branch .LBB214_12
.LBB214_17:                             ;   in Loop: Header=BB214_10 Depth=1
	s_or_b64 exec, exec, s[18:19]
.LBB214_18:                             ;   in Loop: Header=BB214_10 Depth=1
	s_or_b64 exec, exec, s[16:17]
	s_waitcnt lgkmcnt(0)
	ds_read_u8 v11, v14 offset:4096
	v_mov_b32_dpp v10, v25 row_shr:1 row_mask:0xf bank_mask:0xf
	v_min_i32_e32 v10, v10, v25
	ds_bpermute_b32 v10, v17, v10
	s_waitcnt lgkmcnt(1)
	v_and_b32_e32 v11, 1, v11
	v_cmp_eq_u32_e32 vcc, 1, v11
	v_mov_b32_e32 v11, 0
	s_and_saveexec_b64 s[0:1], vcc
	s_cbranch_execz .LBB214_9
; %bb.19:                               ;   in Loop: Header=BB214_10 Depth=1
	v_add_u32_e32 v11, s21, v5
	v_ashrrev_i32_e32 v5, 31, v4
	v_lshl_add_u64 v[12:13], v[4:5], 2, s[8:9]
	global_store_dword v[12:13], v11, off
	s_and_saveexec_b64 s[16:17], s[12:13]
	s_cbranch_execz .LBB214_8
; %bb.20:                               ;   in Loop: Header=BB214_10 Depth=1
	ds_read2_b64 v[24:27], v18 offset1:1
	v_mul_lo_u32 v11, s23, v4
	v_mul_lo_u32 v5, s6, v5
	v_mad_u64_u32 v[12:13], s[18:19], s6, v4, 0
	v_add3_u32 v13, v13, v5, v11
	v_lshl_add_u64 v[12:13], v[12:13], 4, v[8:9]
	s_waitcnt lgkmcnt(0)
	global_store_dwordx4 v[12:13], v[24:27], off
	s_branch .LBB214_8
.LBB214_21:
	s_endpgm
	.section	.rodata,"a",@progbits
	.p2align	6, 0x0
	.amdhsa_kernel _ZN9rocsparseL44csr2gebsr_wavefront_per_row_multipass_kernelILi256ELi32ELi2ELi64E21rocsparse_complex_numIdEEEv20rocsparse_direction_iiiiii21rocsparse_index_base_PKT3_PKiS9_S4_PS5_PiSB_
		.amdhsa_group_segment_fixed_size 4104
		.amdhsa_private_segment_fixed_size 0
		.amdhsa_kernarg_size 88
		.amdhsa_user_sgpr_count 2
		.amdhsa_user_sgpr_dispatch_ptr 0
		.amdhsa_user_sgpr_queue_ptr 0
		.amdhsa_user_sgpr_kernarg_segment_ptr 1
		.amdhsa_user_sgpr_dispatch_id 0
		.amdhsa_user_sgpr_kernarg_preload_length 0
		.amdhsa_user_sgpr_kernarg_preload_offset 0
		.amdhsa_user_sgpr_private_segment_size 0
		.amdhsa_uses_dynamic_stack 0
		.amdhsa_enable_private_segment 0
		.amdhsa_system_sgpr_workgroup_id_x 1
		.amdhsa_system_sgpr_workgroup_id_y 0
		.amdhsa_system_sgpr_workgroup_id_z 0
		.amdhsa_system_sgpr_workgroup_info 0
		.amdhsa_system_vgpr_workitem_id 0
		.amdhsa_next_free_vgpr 32
		.amdhsa_next_free_sgpr 26
		.amdhsa_accum_offset 32
		.amdhsa_reserve_vcc 1
		.amdhsa_float_round_mode_32 0
		.amdhsa_float_round_mode_16_64 0
		.amdhsa_float_denorm_mode_32 3
		.amdhsa_float_denorm_mode_16_64 3
		.amdhsa_dx10_clamp 1
		.amdhsa_ieee_mode 1
		.amdhsa_fp16_overflow 0
		.amdhsa_tg_split 0
		.amdhsa_exception_fp_ieee_invalid_op 0
		.amdhsa_exception_fp_denorm_src 0
		.amdhsa_exception_fp_ieee_div_zero 0
		.amdhsa_exception_fp_ieee_overflow 0
		.amdhsa_exception_fp_ieee_underflow 0
		.amdhsa_exception_fp_ieee_inexact 0
		.amdhsa_exception_int_div_zero 0
	.end_amdhsa_kernel
	.section	.text._ZN9rocsparseL44csr2gebsr_wavefront_per_row_multipass_kernelILi256ELi32ELi2ELi64E21rocsparse_complex_numIdEEEv20rocsparse_direction_iiiiii21rocsparse_index_base_PKT3_PKiS9_S4_PS5_PiSB_,"axG",@progbits,_ZN9rocsparseL44csr2gebsr_wavefront_per_row_multipass_kernelILi256ELi32ELi2ELi64E21rocsparse_complex_numIdEEEv20rocsparse_direction_iiiiii21rocsparse_index_base_PKT3_PKiS9_S4_PS5_PiSB_,comdat
.Lfunc_end214:
	.size	_ZN9rocsparseL44csr2gebsr_wavefront_per_row_multipass_kernelILi256ELi32ELi2ELi64E21rocsparse_complex_numIdEEEv20rocsparse_direction_iiiiii21rocsparse_index_base_PKT3_PKiS9_S4_PS5_PiSB_, .Lfunc_end214-_ZN9rocsparseL44csr2gebsr_wavefront_per_row_multipass_kernelILi256ELi32ELi2ELi64E21rocsparse_complex_numIdEEEv20rocsparse_direction_iiiiii21rocsparse_index_base_PKT3_PKiS9_S4_PS5_PiSB_
                                        ; -- End function
	.section	.AMDGPU.csdata,"",@progbits
; Kernel info:
; codeLenInByte = 1184
; NumSgprs: 32
; NumVgprs: 32
; NumAgprs: 0
; TotalNumVgprs: 32
; ScratchSize: 0
; MemoryBound: 0
; FloatMode: 240
; IeeeMode: 1
; LDSByteSize: 4104 bytes/workgroup (compile time only)
; SGPRBlocks: 3
; VGPRBlocks: 3
; NumSGPRsForWavesPerEU: 32
; NumVGPRsForWavesPerEU: 32
; AccumOffset: 32
; Occupancy: 8
; WaveLimiterHint : 0
; COMPUTE_PGM_RSRC2:SCRATCH_EN: 0
; COMPUTE_PGM_RSRC2:USER_SGPR: 2
; COMPUTE_PGM_RSRC2:TRAP_HANDLER: 0
; COMPUTE_PGM_RSRC2:TGID_X_EN: 1
; COMPUTE_PGM_RSRC2:TGID_Y_EN: 0
; COMPUTE_PGM_RSRC2:TGID_Z_EN: 0
; COMPUTE_PGM_RSRC2:TIDIG_COMP_CNT: 0
; COMPUTE_PGM_RSRC3_GFX90A:ACCUM_OFFSET: 7
; COMPUTE_PGM_RSRC3_GFX90A:TG_SPLIT: 0
	.section	.text._ZN9rocsparseL44csr2gebsr_wavefront_per_row_multipass_kernelILi256ELi32ELi2ELi32E21rocsparse_complex_numIdEEEv20rocsparse_direction_iiiiii21rocsparse_index_base_PKT3_PKiS9_S4_PS5_PiSB_,"axG",@progbits,_ZN9rocsparseL44csr2gebsr_wavefront_per_row_multipass_kernelILi256ELi32ELi2ELi32E21rocsparse_complex_numIdEEEv20rocsparse_direction_iiiiii21rocsparse_index_base_PKT3_PKiS9_S4_PS5_PiSB_,comdat
	.globl	_ZN9rocsparseL44csr2gebsr_wavefront_per_row_multipass_kernelILi256ELi32ELi2ELi32E21rocsparse_complex_numIdEEEv20rocsparse_direction_iiiiii21rocsparse_index_base_PKT3_PKiS9_S4_PS5_PiSB_ ; -- Begin function _ZN9rocsparseL44csr2gebsr_wavefront_per_row_multipass_kernelILi256ELi32ELi2ELi32E21rocsparse_complex_numIdEEEv20rocsparse_direction_iiiiii21rocsparse_index_base_PKT3_PKiS9_S4_PS5_PiSB_
	.p2align	8
	.type	_ZN9rocsparseL44csr2gebsr_wavefront_per_row_multipass_kernelILi256ELi32ELi2ELi32E21rocsparse_complex_numIdEEEv20rocsparse_direction_iiiiii21rocsparse_index_base_PKT3_PKiS9_S4_PS5_PiSB_,@function
_ZN9rocsparseL44csr2gebsr_wavefront_per_row_multipass_kernelILi256ELi32ELi2ELi32E21rocsparse_complex_numIdEEEv20rocsparse_direction_iiiiii21rocsparse_index_base_PKT3_PKiS9_S4_PS5_PiSB_: ; @_ZN9rocsparseL44csr2gebsr_wavefront_per_row_multipass_kernelILi256ELi32ELi2ELi32E21rocsparse_complex_numIdEEEv20rocsparse_direction_iiiiii21rocsparse_index_base_PKT3_PKiS9_S4_PS5_PiSB_
; %bb.0:
	s_load_dwordx2 s[14:15], s[0:1], 0x0
	s_load_dwordx4 s[4:7], s[0:1], 0xc
	s_load_dword s26, s[0:1], 0x1c
	s_load_dwordx2 s[8:9], s[0:1], 0x28
	v_lshrrev_b32_e32 v18, 5, v0
	v_and_b32_e32 v2, 31, v0
	v_lshl_or_b32 v8, s2, 3, v18
	s_waitcnt lgkmcnt(0)
	v_mad_u64_u32 v[6:7], s[2:3], v8, s6, v[2:3]
	v_cmp_gt_i32_e32 vcc, s15, v6
	v_cmp_gt_i32_e64 s[2:3], s6, v2
	s_and_b64 s[10:11], s[2:3], vcc
	v_mov_b32_e32 v19, 0
	v_mov_b32_e32 v4, 0
	s_and_saveexec_b64 s[12:13], s[10:11]
	s_cbranch_execz .LBB215_2
; %bb.1:
	v_ashrrev_i32_e32 v7, 31, v6
	v_lshl_add_u64 v[4:5], v[6:7], 2, s[8:9]
	global_load_dword v1, v[4:5], off
	s_waitcnt vmcnt(0)
	v_subrev_u32_e32 v4, s26, v1
.LBB215_2:
	s_or_b64 exec, exec, s[12:13]
	s_and_saveexec_b64 s[12:13], s[10:11]
	s_cbranch_execz .LBB215_4
; %bb.3:
	v_ashrrev_i32_e32 v7, 31, v6
	v_lshl_add_u64 v[6:7], v[6:7], 2, s[8:9]
	global_load_dword v1, v[6:7], off offset:4
	s_waitcnt vmcnt(0)
	v_subrev_u32_e32 v19, s26, v1
.LBB215_4:
	s_or_b64 exec, exec, s[12:13]
	s_load_dword s27, s[0:1], 0x38
	v_cmp_gt_i32_e32 vcc, s4, v8
	v_mov_b32_e32 v6, 0
	s_and_saveexec_b64 s[8:9], vcc
	s_cbranch_execz .LBB215_6
; %bb.5:
	s_load_dwordx2 s[10:11], s[0:1], 0x48
	v_ashrrev_i32_e32 v9, 31, v8
	s_waitcnt lgkmcnt(0)
	v_lshl_add_u64 v[6:7], v[8:9], 2, s[10:11]
	global_load_dword v1, v[6:7], off
	s_waitcnt vmcnt(0)
	v_subrev_u32_e32 v6, s27, v1
.LBB215_6:
	s_or_b64 exec, exec, s[8:9]
	s_cmp_lt_i32 s5, 1
	s_cbranch_scc1 .LBB215_23
; %bb.7:
	s_cmp_eq_u32 s14, 0
	s_cselect_b64 vcc, -1, 0
	s_ashr_i32 s4, s7, 31
	s_load_dwordx2 s[8:9], s[0:1], 0x20
	s_load_dwordx2 s[10:11], s[0:1], 0x50
	;; [unrolled: 1-line block ×4, first 2 shown]
	s_mul_hi_u32 s0, s7, s6
	s_mul_i32 s1, s4, s6
	s_add_i32 s28, s0, s1
	s_cmp_lg_u32 s7, 0
	s_cselect_b64 s[0:1], -1, 0
	s_and_b64 s[16:17], s[2:3], s[0:1]
	v_mbcnt_lo_u32_b32 v1, -1, 0
	s_cmp_gt_u32 s7, 1
	v_mbcnt_hi_u32_b32 v1, -1, v1
	s_cselect_b64 s[0:1], -1, 0
	s_abs_i32 s29, s7
	v_lshlrev_b32_e32 v20, 2, v1
	v_cvt_f32_u32_e32 v1, s29
	v_lshlrev_b32_e32 v21, 5, v0
	v_lshlrev_b32_e32 v8, 4, v2
	v_mul_lo_u32 v2, v2, s7
	v_rcp_iflag_f32_e32 v1, v1
	v_mov_b32_e32 v9, 0
	v_ashrrev_i32_e32 v3, 31, v2
	s_waitcnt lgkmcnt(0)
	v_lshl_add_u64 v[10:11], s[18:19], 0, v[8:9]
	v_mul_f32_e32 v0, 0x4f7ffffe, v1
	v_cvt_u32_f32_e32 v0, v0
	v_lshl_add_u64 v[12:13], v[2:3], 4, s[18:19]
	s_and_b64 s[18:19], s[2:3], s[0:1]
	s_sub_i32 s0, 0, s29
	s_mov_b32 s15, 0
	v_mul_lo_u32 v1, s0, v0
	v_mul_hi_u32 v1, v0, v1
	s_mov_b32 s0, s15
	s_mov_b32 s1, s15
	v_add_u32_e32 v23, v0, v1
	s_mov_b32 s2, s15
	s_mov_b32 s3, s15
	v_mov_b64_e32 v[0:1], s[0:1]
	s_mov_b32 s14, s6
	s_mul_i32 s6, s7, s6
	v_or_b32_e32 v8, 0x7c, v20
	v_or_b32_e32 v22, 16, v21
	s_mov_b64 s[20:21], 0
	v_mov_b64_e32 v[2:3], s[2:3]
	v_mov_b32_e32 v24, 1
	v_mov_b32_e32 v7, 0
	s_branch .LBB215_10
.LBB215_8:                              ;   in Loop: Header=BB215_10 Depth=1
	s_or_b64 exec, exec, s[0:1]
	v_mov_b32_e32 v14, 1
.LBB215_9:                              ;   in Loop: Header=BB215_10 Depth=1
	s_or_b64 exec, exec, s[2:3]
	v_mov_b32_dpp v7, v5 row_shr:1 row_mask:0xf bank_mask:0xf
	v_min_i32_e32 v5, v7, v5
	v_add_u32_e32 v6, v14, v6
	s_waitcnt lgkmcnt(0)
	v_mov_b32_dpp v7, v5 row_shr:2 row_mask:0xf bank_mask:0xf
	v_min_i32_e32 v5, v7, v5
	s_nop 1
	v_mov_b32_dpp v7, v5 row_shr:4 row_mask:0xf bank_mask:0xe
	v_min_i32_e32 v5, v7, v5
	s_nop 1
	;; [unrolled: 3-line block ×3, first 2 shown]
	v_mov_b32_dpp v7, v5 row_bcast:15 row_mask:0xa bank_mask:0xf
	v_min_i32_e32 v5, v7, v5
	ds_bpermute_b32 v7, v8, v5
	s_waitcnt lgkmcnt(0)
	v_cmp_le_i32_e64 s[0:1], s5, v7
	s_or_b64 s[20:21], s[0:1], s[20:21]
	s_andn2_b64 exec, exec, s[20:21]
	s_cbranch_execz .LBB215_23
.LBB215_10:                             ; =>This Loop Header: Depth=1
                                        ;     Child Loop BB215_13 Depth 2
	v_cmp_lt_i32_e64 s[0:1], v4, v19
	v_mov_b32_e32 v5, s5
	v_mov_b32_e32 v26, v19
	ds_write_b8 v18, v9 offset:8192
	ds_write_b128 v21, v[0:3]
	ds_write_b128 v21, v[0:3] offset:16
	s_waitcnt lgkmcnt(0)
	s_and_saveexec_b64 s[22:23], s[0:1]
	s_cbranch_execz .LBB215_18
; %bb.11:                               ;   in Loop: Header=BB215_10 Depth=1
	v_ashrrev_i32_e32 v5, 31, v4
	v_mul_lo_u32 v25, v7, s7
	v_lshl_add_u64 v[14:15], v[4:5], 2, s[12:13]
	v_lshl_add_u64 v[16:17], v[4:5], 4, s[8:9]
	s_mov_b64 s[24:25], 0
	v_mov_b32_e32 v5, s5
	v_mov_b32_e32 v26, v19
	s_branch .LBB215_13
.LBB215_12:                             ;   in Loop: Header=BB215_13 Depth=2
	s_or_b64 exec, exec, s[2:3]
	v_add_u32_e32 v4, 1, v4
	v_cmp_ge_i32_e64 s[2:3], v4, v19
	s_xor_b64 s[0:1], s[0:1], -1
	s_or_b64 s[0:1], s[0:1], s[2:3]
	s_and_b64 s[0:1], exec, s[0:1]
	v_lshl_add_u64 v[14:15], v[14:15], 0, 4
	s_or_b64 s[24:25], s[0:1], s[24:25]
	v_lshl_add_u64 v[16:17], v[16:17], 0, 16
	s_andn2_b64 exec, exec, s[24:25]
	s_cbranch_execz .LBB215_17
.LBB215_13:                             ;   Parent Loop BB215_10 Depth=1
                                        ; =>  This Inner Loop Header: Depth=2
	global_load_dword v27, v[14:15], off
	s_waitcnt vmcnt(0)
	v_subrev_u32_e32 v27, s26, v27
	v_sub_u32_e32 v29, 0, v27
	v_max_i32_e32 v29, v27, v29
	v_mul_hi_u32 v30, v29, v23
	v_mul_lo_u32 v31, v30, s29
	v_sub_u32_e32 v29, v29, v31
	v_add_u32_e32 v32, 1, v30
	v_cmp_le_u32_e64 s[0:1], s29, v29
	v_subrev_u32_e32 v31, s29, v29
	v_ashrrev_i32_e32 v28, 31, v27
	v_cndmask_b32_e64 v30, v30, v32, s[0:1]
	v_cndmask_b32_e64 v29, v29, v31, s[0:1]
	v_add_u32_e32 v31, 1, v30
	v_cmp_le_u32_e64 s[0:1], s29, v29
	v_xor_b32_e32 v28, s4, v28
	s_nop 0
	v_cndmask_b32_e64 v29, v30, v31, s[0:1]
	v_xor_b32_e32 v29, v29, v28
	v_sub_u32_e32 v29, v29, v28
	v_cmp_eq_u32_e64 s[0:1], v29, v7
	v_cmp_ne_u32_e64 s[2:3], v29, v7
	v_mov_b32_e32 v28, v26
	s_and_saveexec_b64 s[30:31], s[2:3]
	s_xor_b64 s[2:3], exec, s[30:31]
; %bb.14:                               ;   in Loop: Header=BB215_13 Depth=2
	v_min_i32_e32 v5, v29, v5
                                        ; implicit-def: $vgpr27
                                        ; implicit-def: $vgpr28
; %bb.15:                               ;   in Loop: Header=BB215_13 Depth=2
	s_or_saveexec_b64 s[2:3], s[2:3]
	v_mov_b32_e32 v26, v4
	s_xor_b64 exec, exec, s[2:3]
	s_cbranch_execz .LBB215_12
; %bb.16:                               ;   in Loop: Header=BB215_13 Depth=2
	global_load_dwordx4 v[30:33], v[16:17], off
	v_sub_u32_e32 v26, v27, v25
	v_lshl_add_u32 v26, v26, 4, v21
	ds_write_b8 v18, v24 offset:8192
	s_waitcnt vmcnt(0)
	ds_write2_b64 v26, v[30:31], v[32:33] offset1:1
	v_mov_b32_e32 v26, v28
	s_branch .LBB215_12
.LBB215_17:                             ;   in Loop: Header=BB215_10 Depth=1
	s_or_b64 exec, exec, s[24:25]
.LBB215_18:                             ;   in Loop: Header=BB215_10 Depth=1
	s_or_b64 exec, exec, s[22:23]
	s_waitcnt lgkmcnt(0)
	ds_read_u8 v14, v18 offset:8192
	ds_bpermute_b32 v4, v20, v26
	s_waitcnt lgkmcnt(1)
	v_and_b32_e32 v14, 1, v14
	v_cmp_eq_u32_e64 s[0:1], 1, v14
	v_mov_b32_e32 v14, 0
	s_and_saveexec_b64 s[2:3], s[0:1]
	s_cbranch_execz .LBB215_9
; %bb.19:                               ;   in Loop: Header=BB215_10 Depth=1
	v_add_u32_e32 v16, s27, v7
	v_ashrrev_i32_e32 v7, 31, v6
	v_lshl_add_u64 v[14:15], v[6:7], 2, s[10:11]
	global_store_dword v[14:15], v16, off
	v_mul_lo_u32 v16, s28, v6
	v_mul_lo_u32 v7, s6, v7
	v_mad_u64_u32 v[14:15], s[0:1], s6, v6, 0
	v_add3_u32 v15, v15, v7, v16
	v_lshlrev_b64 v[16:17], 4, v[14:15]
	v_lshl_add_u64 v[14:15], v[10:11], 0, v[16:17]
	v_lshl_add_u64 v[16:17], v[12:13], 0, v[16:17]
	s_and_saveexec_b64 s[0:1], s[16:17]
	s_cbranch_execz .LBB215_21
; %bb.20:                               ;   in Loop: Header=BB215_10 Depth=1
	ds_read2_b64 v[26:29], v21 offset1:1
	v_cndmask_b32_e32 v31, v15, v17, vcc
	v_cndmask_b32_e32 v30, v14, v16, vcc
	s_waitcnt lgkmcnt(0)
	global_store_dwordx4 v[30:31], v[26:29], off
.LBB215_21:                             ;   in Loop: Header=BB215_10 Depth=1
	s_or_b64 exec, exec, s[0:1]
	s_and_saveexec_b64 s[0:1], s[18:19]
	s_cbranch_execz .LBB215_8
; %bb.22:                               ;   in Loop: Header=BB215_10 Depth=1
	ds_read2_b64 v[26:29], v22 offset1:1
	v_lshl_add_u64 v[16:17], v[16:17], 0, 16
	v_lshl_add_u64 v[14:15], s[14:15], 4, v[14:15]
	v_cndmask_b32_e32 v15, v15, v17, vcc
	v_cndmask_b32_e32 v14, v14, v16, vcc
	s_waitcnt lgkmcnt(0)
	global_store_dwordx4 v[14:15], v[26:29], off
	s_branch .LBB215_8
.LBB215_23:
	s_endpgm
	.section	.rodata,"a",@progbits
	.p2align	6, 0x0
	.amdhsa_kernel _ZN9rocsparseL44csr2gebsr_wavefront_per_row_multipass_kernelILi256ELi32ELi2ELi32E21rocsparse_complex_numIdEEEv20rocsparse_direction_iiiiii21rocsparse_index_base_PKT3_PKiS9_S4_PS5_PiSB_
		.amdhsa_group_segment_fixed_size 8200
		.amdhsa_private_segment_fixed_size 0
		.amdhsa_kernarg_size 88
		.amdhsa_user_sgpr_count 2
		.amdhsa_user_sgpr_dispatch_ptr 0
		.amdhsa_user_sgpr_queue_ptr 0
		.amdhsa_user_sgpr_kernarg_segment_ptr 1
		.amdhsa_user_sgpr_dispatch_id 0
		.amdhsa_user_sgpr_kernarg_preload_length 0
		.amdhsa_user_sgpr_kernarg_preload_offset 0
		.amdhsa_user_sgpr_private_segment_size 0
		.amdhsa_uses_dynamic_stack 0
		.amdhsa_enable_private_segment 0
		.amdhsa_system_sgpr_workgroup_id_x 1
		.amdhsa_system_sgpr_workgroup_id_y 0
		.amdhsa_system_sgpr_workgroup_id_z 0
		.amdhsa_system_sgpr_workgroup_info 0
		.amdhsa_system_vgpr_workitem_id 0
		.amdhsa_next_free_vgpr 34
		.amdhsa_next_free_sgpr 32
		.amdhsa_accum_offset 36
		.amdhsa_reserve_vcc 1
		.amdhsa_float_round_mode_32 0
		.amdhsa_float_round_mode_16_64 0
		.amdhsa_float_denorm_mode_32 3
		.amdhsa_float_denorm_mode_16_64 3
		.amdhsa_dx10_clamp 1
		.amdhsa_ieee_mode 1
		.amdhsa_fp16_overflow 0
		.amdhsa_tg_split 0
		.amdhsa_exception_fp_ieee_invalid_op 0
		.amdhsa_exception_fp_denorm_src 0
		.amdhsa_exception_fp_ieee_div_zero 0
		.amdhsa_exception_fp_ieee_overflow 0
		.amdhsa_exception_fp_ieee_underflow 0
		.amdhsa_exception_fp_ieee_inexact 0
		.amdhsa_exception_int_div_zero 0
	.end_amdhsa_kernel
	.section	.text._ZN9rocsparseL44csr2gebsr_wavefront_per_row_multipass_kernelILi256ELi32ELi2ELi32E21rocsparse_complex_numIdEEEv20rocsparse_direction_iiiiii21rocsparse_index_base_PKT3_PKiS9_S4_PS5_PiSB_,"axG",@progbits,_ZN9rocsparseL44csr2gebsr_wavefront_per_row_multipass_kernelILi256ELi32ELi2ELi32E21rocsparse_complex_numIdEEEv20rocsparse_direction_iiiiii21rocsparse_index_base_PKT3_PKiS9_S4_PS5_PiSB_,comdat
.Lfunc_end215:
	.size	_ZN9rocsparseL44csr2gebsr_wavefront_per_row_multipass_kernelILi256ELi32ELi2ELi32E21rocsparse_complex_numIdEEEv20rocsparse_direction_iiiiii21rocsparse_index_base_PKT3_PKiS9_S4_PS5_PiSB_, .Lfunc_end215-_ZN9rocsparseL44csr2gebsr_wavefront_per_row_multipass_kernelILi256ELi32ELi2ELi32E21rocsparse_complex_numIdEEEv20rocsparse_direction_iiiiii21rocsparse_index_base_PKT3_PKiS9_S4_PS5_PiSB_
                                        ; -- End function
	.section	.AMDGPU.csdata,"",@progbits
; Kernel info:
; codeLenInByte = 1220
; NumSgprs: 38
; NumVgprs: 34
; NumAgprs: 0
; TotalNumVgprs: 34
; ScratchSize: 0
; MemoryBound: 0
; FloatMode: 240
; IeeeMode: 1
; LDSByteSize: 8200 bytes/workgroup (compile time only)
; SGPRBlocks: 4
; VGPRBlocks: 4
; NumSGPRsForWavesPerEU: 38
; NumVGPRsForWavesPerEU: 34
; AccumOffset: 36
; Occupancy: 7
; WaveLimiterHint : 0
; COMPUTE_PGM_RSRC2:SCRATCH_EN: 0
; COMPUTE_PGM_RSRC2:USER_SGPR: 2
; COMPUTE_PGM_RSRC2:TRAP_HANDLER: 0
; COMPUTE_PGM_RSRC2:TGID_X_EN: 1
; COMPUTE_PGM_RSRC2:TGID_Y_EN: 0
; COMPUTE_PGM_RSRC2:TGID_Z_EN: 0
; COMPUTE_PGM_RSRC2:TIDIG_COMP_CNT: 0
; COMPUTE_PGM_RSRC3_GFX90A:ACCUM_OFFSET: 8
; COMPUTE_PGM_RSRC3_GFX90A:TG_SPLIT: 0
	.section	.text._ZN9rocsparseL44csr2gebsr_wavefront_per_row_multipass_kernelILi256ELi32ELi4ELi64E21rocsparse_complex_numIdEEEv20rocsparse_direction_iiiiii21rocsparse_index_base_PKT3_PKiS9_S4_PS5_PiSB_,"axG",@progbits,_ZN9rocsparseL44csr2gebsr_wavefront_per_row_multipass_kernelILi256ELi32ELi4ELi64E21rocsparse_complex_numIdEEEv20rocsparse_direction_iiiiii21rocsparse_index_base_PKT3_PKiS9_S4_PS5_PiSB_,comdat
	.globl	_ZN9rocsparseL44csr2gebsr_wavefront_per_row_multipass_kernelILi256ELi32ELi4ELi64E21rocsparse_complex_numIdEEEv20rocsparse_direction_iiiiii21rocsparse_index_base_PKT3_PKiS9_S4_PS5_PiSB_ ; -- Begin function _ZN9rocsparseL44csr2gebsr_wavefront_per_row_multipass_kernelILi256ELi32ELi4ELi64E21rocsparse_complex_numIdEEEv20rocsparse_direction_iiiiii21rocsparse_index_base_PKT3_PKiS9_S4_PS5_PiSB_
	.p2align	8
	.type	_ZN9rocsparseL44csr2gebsr_wavefront_per_row_multipass_kernelILi256ELi32ELi4ELi64E21rocsparse_complex_numIdEEEv20rocsparse_direction_iiiiii21rocsparse_index_base_PKT3_PKiS9_S4_PS5_PiSB_,@function
_ZN9rocsparseL44csr2gebsr_wavefront_per_row_multipass_kernelILi256ELi32ELi4ELi64E21rocsparse_complex_numIdEEEv20rocsparse_direction_iiiiii21rocsparse_index_base_PKT3_PKiS9_S4_PS5_PiSB_: ; @_ZN9rocsparseL44csr2gebsr_wavefront_per_row_multipass_kernelILi256ELi32ELi4ELi64E21rocsparse_complex_numIdEEEv20rocsparse_direction_iiiiii21rocsparse_index_base_PKT3_PKiS9_S4_PS5_PiSB_
; %bb.0:
	s_load_dwordx2 s[14:15], s[0:1], 0x0
	s_load_dwordx4 s[4:7], s[0:1], 0xc
	s_load_dword s24, s[0:1], 0x1c
	s_load_dwordx2 s[8:9], s[0:1], 0x28
	v_lshrrev_b32_e32 v20, 6, v0
	v_bfe_u32 v2, v0, 1, 5
	v_lshl_or_b32 v6, s2, 2, v20
	s_waitcnt lgkmcnt(0)
	v_mad_u64_u32 v[4:5], s[2:3], v6, s6, v[2:3]
	v_cmp_gt_i32_e64 s[2:3], s15, v4
	v_cmp_gt_i32_e32 vcc, s6, v2
	s_and_b64 s[2:3], vcc, s[2:3]
	v_mov_b32_e32 v21, 0
	v_mov_b32_e32 v18, 0
	s_and_saveexec_b64 s[10:11], s[2:3]
	s_cbranch_execz .LBB216_2
; %bb.1:
	v_ashrrev_i32_e32 v5, 31, v4
	v_lshl_add_u64 v[8:9], v[4:5], 2, s[8:9]
	global_load_dword v1, v[8:9], off
	s_waitcnt vmcnt(0)
	v_subrev_u32_e32 v18, s24, v1
.LBB216_2:
	s_or_b64 exec, exec, s[10:11]
	s_and_saveexec_b64 s[10:11], s[2:3]
	s_cbranch_execz .LBB216_4
; %bb.3:
	v_ashrrev_i32_e32 v5, 31, v4
	v_lshl_add_u64 v[4:5], v[4:5], 2, s[8:9]
	global_load_dword v1, v[4:5], off offset:4
	s_waitcnt vmcnt(0)
	v_subrev_u32_e32 v21, s24, v1
.LBB216_4:
	s_or_b64 exec, exec, s[10:11]
	s_load_dword s25, s[0:1], 0x38
	v_cmp_gt_i32_e64 s[2:3], s4, v6
	v_mov_b32_e32 v4, 0
	s_and_saveexec_b64 s[8:9], s[2:3]
	s_cbranch_execz .LBB216_6
; %bb.5:
	s_load_dwordx2 s[2:3], s[0:1], 0x48
	v_ashrrev_i32_e32 v7, 31, v6
	s_waitcnt lgkmcnt(0)
	v_lshl_add_u64 v[4:5], v[6:7], 2, s[2:3]
	global_load_dword v1, v[4:5], off
	s_waitcnt vmcnt(0)
	v_subrev_u32_e32 v4, s25, v1
.LBB216_6:
	s_or_b64 exec, exec, s[8:9]
	s_cmp_lt_i32 s5, 1
	s_cbranch_scc1 .LBB216_32
; %bb.7:
	v_and_b32_e32 v22, 1, v0
	v_lshlrev_b32_e32 v0, 7, v20
	s_load_dwordx2 s[8:9], s[0:1], 0x20
	s_load_dwordx2 s[10:11], s[0:1], 0x50
	;; [unrolled: 1-line block ×4, first 2 shown]
	v_lshl_or_b32 v23, v2, 2, v0
	v_mbcnt_lo_u32_b32 v0, -1, 0
	v_mbcnt_hi_u32_b32 v0, -1, v0
	v_lshlrev_b32_e32 v3, 2, v0
	v_mul_lo_u32 v0, v2, s7
	v_mov_b32_e32 v7, 0
	s_cmp_lg_u32 s14, 0
	v_lshlrev_b32_e32 v6, 4, v2
	v_ashrrev_i32_e32 v1, 31, v0
	s_cselect_b64 s[14:15], -1, 0
	s_waitcnt lgkmcnt(0)
	v_lshl_add_u64 v[8:9], s[2:3], 0, v[6:7]
	v_lshl_add_u64 v[0:1], v[0:1], 4, s[2:3]
	v_lshlrev_b32_e32 v6, 4, v22
	s_abs_i32 s28, s7
	v_lshl_add_u64 v[10:11], v[0:1], 0, v[6:7]
	v_cvt_f32_u32_e32 v0, s28
	s_ashr_i32 s4, s7, 31
	s_mul_hi_u32 s0, s7, s6
	s_mul_i32 s1, s4, s6
	v_rcp_iflag_f32_e32 v0, v0
	s_add_i32 s26, s0, s1
	v_cmp_gt_u32_e64 s[0:1], s7, v22
	v_or_b32_e32 v1, 2, v22
	v_mul_f32_e32 v0, 0x4f7ffffe, v0
	v_cvt_u32_f32_e32 v0, v0
	s_and_b64 s[16:17], s[0:1], vcc
	s_sub_i32 s0, 0, s28
	v_or_b32_e32 v5, v23, v22
	v_cmp_gt_u32_e64 s[2:3], s7, v1
	v_mul_lo_u32 v1, s0, v0
	v_lshlrev_b32_e32 v26, 4, v5
	v_mul_lo_u32 v6, v22, s6
	v_mul_hi_u32 v1, v0, v1
	v_or_b32_e32 v24, 4, v3
	s_mul_i32 s27, s7, s6
	v_or_b32_e32 v25, 0xfc, v3
	v_or_b32_e32 v27, 32, v26
	v_mov_b32_e32 v28, 1
	v_lshl_add_u32 v12, s6, 1, v6
	v_mov_b32_e32 v13, v7
	s_and_b64 s[2:3], vcc, s[2:3]
	v_add_u32_e32 v29, v0, v1
	v_or_b32_e32 v30, -2, v22
	s_mov_b64 s[18:19], 0
	v_mov_b32_e32 v0, v7
	v_mov_b32_e32 v1, v7
	;; [unrolled: 1-line block ×5, first 2 shown]
	s_branch .LBB216_11
.LBB216_8:                              ;   in Loop: Header=BB216_11 Depth=1
	v_mov_b32_e32 v19, s6
.LBB216_9:                              ;   in Loop: Header=BB216_11 Depth=1
	s_or_b64 exec, exec, s[20:21]
.LBB216_10:                             ;   in Loop: Header=BB216_11 Depth=1
	s_or_b64 exec, exec, s[0:1]
	v_mov_b32_dpp v5, v31 row_shr:1 row_mask:0xf bank_mask:0xf
	v_min_i32_e32 v5, v5, v31
	v_add_u32_e32 v4, v19, v4
	s_waitcnt lgkmcnt(0)
	v_mov_b32_dpp v14, v5 row_shr:2 row_mask:0xf bank_mask:0xf
	v_min_i32_e32 v5, v14, v5
	s_nop 1
	v_mov_b32_dpp v14, v5 row_shr:4 row_mask:0xf bank_mask:0xe
	v_min_i32_e32 v5, v14, v5
	s_nop 1
	;; [unrolled: 3-line block ×3, first 2 shown]
	v_mov_b32_dpp v14, v5 row_bcast:15 row_mask:0xa bank_mask:0xf
	v_min_i32_e32 v5, v14, v5
	s_nop 1
	v_mov_b32_dpp v14, v5 row_bcast:31 row_mask:0xc bank_mask:0xf
	v_min_i32_e32 v5, v14, v5
	ds_bpermute_b32 v5, v25, v5
	s_waitcnt lgkmcnt(0)
	v_cmp_le_i32_e32 vcc, s5, v5
	s_or_b64 s[18:19], vcc, s[18:19]
	s_andn2_b64 exec, exec, s[18:19]
	s_cbranch_execz .LBB216_32
.LBB216_11:                             ; =>This Loop Header: Depth=1
                                        ;     Child Loop BB216_12 Depth 2
                                        ;     Child Loop BB216_16 Depth 2
	s_mov_b64 s[0:1], 0
	v_mov_b32_e32 v14, v26
	v_mov_b32_e32 v15, v30
	ds_write_b8 v20, v7 offset:8192
.LBB216_12:                             ;   Parent Loop BB216_11 Depth=1
                                        ; =>  This Inner Loop Header: Depth=2
	v_add_co_u32_e32 v15, vcc, 2, v15
	s_xor_b64 s[20:21], vcc, -1
	s_and_b64 s[20:21], exec, s[20:21]
	ds_write_b128 v14, v[0:3]
	s_or_b64 s[0:1], s[20:21], s[0:1]
	v_add_u32_e32 v14, 32, v14
	s_andn2_b64 exec, exec, s[0:1]
	s_cbranch_execnz .LBB216_12
; %bb.13:                               ;   in Loop: Header=BB216_11 Depth=1
	s_or_b64 exec, exec, s[0:1]
	v_add_u32_e32 v14, v18, v22
	v_cmp_lt_i32_e32 vcc, v14, v21
	v_mov_b32_e32 v31, s5
	v_mov_b32_e32 v15, v21
	s_waitcnt lgkmcnt(0)
	s_and_saveexec_b64 s[20:21], vcc
	s_cbranch_execz .LBB216_21
; %bb.14:                               ;   in Loop: Header=BB216_11 Depth=1
	v_ashrrev_i32_e32 v15, 31, v14
	v_mul_lo_u32 v32, v5, s7
	v_lshl_add_u64 v[16:17], v[14:15], 2, s[12:13]
	v_lshl_add_u64 v[18:19], v[14:15], 4, s[8:9]
	s_mov_b64 s[22:23], 0
	v_mov_b32_e32 v31, s5
	v_mov_b32_e32 v15, v21
	s_branch .LBB216_16
.LBB216_15:                             ;   in Loop: Header=BB216_16 Depth=2
	s_or_b64 exec, exec, s[0:1]
	v_add_u32_e32 v14, 2, v14
	v_cmp_ge_i32_e64 s[0:1], v14, v21
	s_xor_b64 s[30:31], vcc, -1
	s_or_b64 s[0:1], s[30:31], s[0:1]
	s_and_b64 s[0:1], exec, s[0:1]
	v_lshl_add_u64 v[16:17], v[16:17], 0, 8
	s_or_b64 s[22:23], s[0:1], s[22:23]
	v_lshl_add_u64 v[18:19], v[18:19], 0, 32
	s_andn2_b64 exec, exec, s[22:23]
	s_cbranch_execz .LBB216_20
.LBB216_16:                             ;   Parent Loop BB216_11 Depth=1
                                        ; =>  This Inner Loop Header: Depth=2
	global_load_dword v33, v[16:17], off
	s_waitcnt vmcnt(0)
	v_subrev_u32_e32 v33, s24, v33
	v_sub_u32_e32 v35, 0, v33
	v_max_i32_e32 v35, v33, v35
	v_mul_hi_u32 v36, v35, v29
	v_mul_lo_u32 v37, v36, s28
	v_sub_u32_e32 v35, v35, v37
	v_add_u32_e32 v38, 1, v36
	v_cmp_le_u32_e32 vcc, s28, v35
	v_subrev_u32_e32 v37, s28, v35
	v_ashrrev_i32_e32 v34, 31, v33
	v_cndmask_b32_e32 v36, v36, v38, vcc
	v_cndmask_b32_e32 v35, v35, v37, vcc
	v_add_u32_e32 v37, 1, v36
	v_cmp_le_u32_e32 vcc, s28, v35
	v_xor_b32_e32 v34, s4, v34
	s_nop 0
	v_cndmask_b32_e32 v35, v36, v37, vcc
	v_xor_b32_e32 v35, v35, v34
	v_sub_u32_e32 v35, v35, v34
	v_cmp_eq_u32_e32 vcc, v35, v5
	v_cmp_ne_u32_e64 s[0:1], v35, v5
	v_mov_b32_e32 v34, v15
	s_and_saveexec_b64 s[30:31], s[0:1]
	s_xor_b64 s[0:1], exec, s[30:31]
; %bb.17:                               ;   in Loop: Header=BB216_16 Depth=2
	v_min_i32_e32 v31, v35, v31
                                        ; implicit-def: $vgpr33
                                        ; implicit-def: $vgpr34
; %bb.18:                               ;   in Loop: Header=BB216_16 Depth=2
	s_or_saveexec_b64 s[0:1], s[0:1]
	v_mov_b32_e32 v15, v14
	s_xor_b64 exec, exec, s[0:1]
	s_cbranch_execz .LBB216_15
; %bb.19:                               ;   in Loop: Header=BB216_16 Depth=2
	global_load_dwordx4 v[36:39], v[18:19], off
	v_sub_u32_e32 v15, v33, v32
	v_add_lshl_u32 v15, v23, v15, 4
	ds_write_b8 v20, v28 offset:8192
	s_waitcnt vmcnt(0)
	ds_write2_b64 v15, v[36:37], v[38:39] offset1:1
	v_mov_b32_e32 v15, v34
	s_branch .LBB216_15
.LBB216_20:                             ;   in Loop: Header=BB216_11 Depth=1
	s_or_b64 exec, exec, s[22:23]
.LBB216_21:                             ;   in Loop: Header=BB216_11 Depth=1
	s_or_b64 exec, exec, s[20:21]
	s_waitcnt lgkmcnt(0)
	ds_read_u8 v14, v20 offset:8192
	v_mov_b32_dpp v16, v15 row_shr:1 row_mask:0xf bank_mask:0xf
	v_min_i32_e32 v15, v16, v15
	ds_bpermute_b32 v18, v24, v15
	v_mov_b32_e32 v19, 0
	s_waitcnt lgkmcnt(1)
	v_and_b32_e32 v14, 1, v14
	v_cmp_eq_u32_e32 vcc, 1, v14
	s_and_saveexec_b64 s[0:1], vcc
	s_cbranch_execz .LBB216_10
; %bb.22:                               ;   in Loop: Header=BB216_11 Depth=1
	v_add_u32_e32 v16, s25, v5
	v_ashrrev_i32_e32 v5, 31, v4
	v_lshl_add_u64 v[14:15], v[4:5], 2, s[10:11]
	global_store_dword v[14:15], v16, off
	v_mul_lo_u32 v16, s26, v4
	v_mul_lo_u32 v5, s27, v5
	v_mad_u64_u32 v[14:15], s[20:21], s27, v4, 0
	v_add3_u32 v15, v15, v5, v16
	v_lshlrev_b64 v[14:15], 4, v[14:15]
	v_lshl_add_u64 v[16:17], v[8:9], 0, v[14:15]
	v_lshl_add_u64 v[14:15], v[10:11], 0, v[14:15]
	s_and_saveexec_b64 s[20:21], s[16:17]
	s_cbranch_execz .LBB216_26
; %bb.23:                               ;   in Loop: Header=BB216_11 Depth=1
	s_and_b64 vcc, exec, s[14:15]
	s_cbranch_vccz .LBB216_29
; %bb.24:                               ;   in Loop: Header=BB216_11 Depth=1
	ds_read2_b64 v[32:35], v26 offset1:1
	v_lshl_add_u64 v[36:37], v[6:7], 4, v[16:17]
	s_waitcnt lgkmcnt(0)
	global_store_dwordx4 v[36:37], v[32:35], off
	s_cbranch_execnz .LBB216_26
.LBB216_25:                             ;   in Loop: Header=BB216_11 Depth=1
	ds_read2_b64 v[32:35], v26 offset1:1
	s_waitcnt lgkmcnt(0)
	global_store_dwordx4 v[14:15], v[32:35], off
.LBB216_26:                             ;   in Loop: Header=BB216_11 Depth=1
	s_or_b64 exec, exec, s[20:21]
	v_mov_b32_e32 v19, 1
	s_and_saveexec_b64 s[20:21], s[2:3]
	s_cbranch_execz .LBB216_9
; %bb.27:                               ;   in Loop: Header=BB216_11 Depth=1
	s_andn2_b64 vcc, exec, s[14:15]
	s_cbranch_vccnz .LBB216_30
; %bb.28:                               ;   in Loop: Header=BB216_11 Depth=1
	ds_read2_b64 v[32:35], v27 offset1:1
	v_lshl_add_u64 v[16:17], v[12:13], 4, v[16:17]
	s_mov_b32 s6, 1
	s_waitcnt lgkmcnt(0)
	global_store_dwordx4 v[16:17], v[32:35], off
	s_cbranch_execnz .LBB216_8
	s_branch .LBB216_31
.LBB216_29:                             ;   in Loop: Header=BB216_11 Depth=1
	s_branch .LBB216_25
.LBB216_30:                             ;   in Loop: Header=BB216_11 Depth=1
                                        ; implicit-def: $sgpr6
.LBB216_31:                             ;   in Loop: Header=BB216_11 Depth=1
	ds_read2_b64 v[32:35], v27 offset1:1
	s_mov_b32 s6, 1
	s_waitcnt lgkmcnt(0)
	global_store_dwordx4 v[14:15], v[32:35], off offset:32
	s_branch .LBB216_8
.LBB216_32:
	s_endpgm
	.section	.rodata,"a",@progbits
	.p2align	6, 0x0
	.amdhsa_kernel _ZN9rocsparseL44csr2gebsr_wavefront_per_row_multipass_kernelILi256ELi32ELi4ELi64E21rocsparse_complex_numIdEEEv20rocsparse_direction_iiiiii21rocsparse_index_base_PKT3_PKiS9_S4_PS5_PiSB_
		.amdhsa_group_segment_fixed_size 8200
		.amdhsa_private_segment_fixed_size 0
		.amdhsa_kernarg_size 88
		.amdhsa_user_sgpr_count 2
		.amdhsa_user_sgpr_dispatch_ptr 0
		.amdhsa_user_sgpr_queue_ptr 0
		.amdhsa_user_sgpr_kernarg_segment_ptr 1
		.amdhsa_user_sgpr_dispatch_id 0
		.amdhsa_user_sgpr_kernarg_preload_length 0
		.amdhsa_user_sgpr_kernarg_preload_offset 0
		.amdhsa_user_sgpr_private_segment_size 0
		.amdhsa_uses_dynamic_stack 0
		.amdhsa_enable_private_segment 0
		.amdhsa_system_sgpr_workgroup_id_x 1
		.amdhsa_system_sgpr_workgroup_id_y 0
		.amdhsa_system_sgpr_workgroup_id_z 0
		.amdhsa_system_sgpr_workgroup_info 0
		.amdhsa_system_vgpr_workitem_id 0
		.amdhsa_next_free_vgpr 40
		.amdhsa_next_free_sgpr 32
		.amdhsa_accum_offset 40
		.amdhsa_reserve_vcc 1
		.amdhsa_float_round_mode_32 0
		.amdhsa_float_round_mode_16_64 0
		.amdhsa_float_denorm_mode_32 3
		.amdhsa_float_denorm_mode_16_64 3
		.amdhsa_dx10_clamp 1
		.amdhsa_ieee_mode 1
		.amdhsa_fp16_overflow 0
		.amdhsa_tg_split 0
		.amdhsa_exception_fp_ieee_invalid_op 0
		.amdhsa_exception_fp_denorm_src 0
		.amdhsa_exception_fp_ieee_div_zero 0
		.amdhsa_exception_fp_ieee_overflow 0
		.amdhsa_exception_fp_ieee_underflow 0
		.amdhsa_exception_fp_ieee_inexact 0
		.amdhsa_exception_int_div_zero 0
	.end_amdhsa_kernel
	.section	.text._ZN9rocsparseL44csr2gebsr_wavefront_per_row_multipass_kernelILi256ELi32ELi4ELi64E21rocsparse_complex_numIdEEEv20rocsparse_direction_iiiiii21rocsparse_index_base_PKT3_PKiS9_S4_PS5_PiSB_,"axG",@progbits,_ZN9rocsparseL44csr2gebsr_wavefront_per_row_multipass_kernelILi256ELi32ELi4ELi64E21rocsparse_complex_numIdEEEv20rocsparse_direction_iiiiii21rocsparse_index_base_PKT3_PKiS9_S4_PS5_PiSB_,comdat
.Lfunc_end216:
	.size	_ZN9rocsparseL44csr2gebsr_wavefront_per_row_multipass_kernelILi256ELi32ELi4ELi64E21rocsparse_complex_numIdEEEv20rocsparse_direction_iiiiii21rocsparse_index_base_PKT3_PKiS9_S4_PS5_PiSB_, .Lfunc_end216-_ZN9rocsparseL44csr2gebsr_wavefront_per_row_multipass_kernelILi256ELi32ELi4ELi64E21rocsparse_complex_numIdEEEv20rocsparse_direction_iiiiii21rocsparse_index_base_PKT3_PKiS9_S4_PS5_PiSB_
                                        ; -- End function
	.section	.AMDGPU.csdata,"",@progbits
; Kernel info:
; codeLenInByte = 1376
; NumSgprs: 38
; NumVgprs: 40
; NumAgprs: 0
; TotalNumVgprs: 40
; ScratchSize: 0
; MemoryBound: 0
; FloatMode: 240
; IeeeMode: 1
; LDSByteSize: 8200 bytes/workgroup (compile time only)
; SGPRBlocks: 4
; VGPRBlocks: 4
; NumSGPRsForWavesPerEU: 38
; NumVGPRsForWavesPerEU: 40
; AccumOffset: 40
; Occupancy: 7
; WaveLimiterHint : 0
; COMPUTE_PGM_RSRC2:SCRATCH_EN: 0
; COMPUTE_PGM_RSRC2:USER_SGPR: 2
; COMPUTE_PGM_RSRC2:TRAP_HANDLER: 0
; COMPUTE_PGM_RSRC2:TGID_X_EN: 1
; COMPUTE_PGM_RSRC2:TGID_Y_EN: 0
; COMPUTE_PGM_RSRC2:TGID_Z_EN: 0
; COMPUTE_PGM_RSRC2:TIDIG_COMP_CNT: 0
; COMPUTE_PGM_RSRC3_GFX90A:ACCUM_OFFSET: 9
; COMPUTE_PGM_RSRC3_GFX90A:TG_SPLIT: 0
	.section	.text._ZN9rocsparseL44csr2gebsr_wavefront_per_row_multipass_kernelILi256ELi32ELi4ELi32E21rocsparse_complex_numIdEEEv20rocsparse_direction_iiiiii21rocsparse_index_base_PKT3_PKiS9_S4_PS5_PiSB_,"axG",@progbits,_ZN9rocsparseL44csr2gebsr_wavefront_per_row_multipass_kernelILi256ELi32ELi4ELi32E21rocsparse_complex_numIdEEEv20rocsparse_direction_iiiiii21rocsparse_index_base_PKT3_PKiS9_S4_PS5_PiSB_,comdat
	.globl	_ZN9rocsparseL44csr2gebsr_wavefront_per_row_multipass_kernelILi256ELi32ELi4ELi32E21rocsparse_complex_numIdEEEv20rocsparse_direction_iiiiii21rocsparse_index_base_PKT3_PKiS9_S4_PS5_PiSB_ ; -- Begin function _ZN9rocsparseL44csr2gebsr_wavefront_per_row_multipass_kernelILi256ELi32ELi4ELi32E21rocsparse_complex_numIdEEEv20rocsparse_direction_iiiiii21rocsparse_index_base_PKT3_PKiS9_S4_PS5_PiSB_
	.p2align	8
	.type	_ZN9rocsparseL44csr2gebsr_wavefront_per_row_multipass_kernelILi256ELi32ELi4ELi32E21rocsparse_complex_numIdEEEv20rocsparse_direction_iiiiii21rocsparse_index_base_PKT3_PKiS9_S4_PS5_PiSB_,@function
_ZN9rocsparseL44csr2gebsr_wavefront_per_row_multipass_kernelILi256ELi32ELi4ELi32E21rocsparse_complex_numIdEEEv20rocsparse_direction_iiiiii21rocsparse_index_base_PKT3_PKiS9_S4_PS5_PiSB_: ; @_ZN9rocsparseL44csr2gebsr_wavefront_per_row_multipass_kernelILi256ELi32ELi4ELi32E21rocsparse_complex_numIdEEEv20rocsparse_direction_iiiiii21rocsparse_index_base_PKT3_PKiS9_S4_PS5_PiSB_
; %bb.0:
	s_load_dwordx2 s[14:15], s[0:1], 0x0
	s_load_dwordx4 s[4:7], s[0:1], 0xc
	s_load_dword s33, s[0:1], 0x1c
	s_load_dwordx2 s[8:9], s[0:1], 0x28
	v_lshrrev_b32_e32 v18, 5, v0
	v_and_b32_e32 v2, 31, v0
	v_lshl_or_b32 v8, s2, 3, v18
	s_waitcnt lgkmcnt(0)
	v_mad_u64_u32 v[6:7], s[2:3], v8, s6, v[2:3]
	v_cmp_gt_i32_e32 vcc, s15, v6
	v_cmp_gt_i32_e64 s[2:3], s6, v2
	s_and_b64 s[10:11], s[2:3], vcc
	v_mov_b32_e32 v19, 0
	v_mov_b32_e32 v4, 0
	s_and_saveexec_b64 s[12:13], s[10:11]
	s_cbranch_execz .LBB217_2
; %bb.1:
	v_ashrrev_i32_e32 v7, 31, v6
	v_lshl_add_u64 v[4:5], v[6:7], 2, s[8:9]
	global_load_dword v1, v[4:5], off
	s_waitcnt vmcnt(0)
	v_subrev_u32_e32 v4, s33, v1
.LBB217_2:
	s_or_b64 exec, exec, s[12:13]
	s_and_saveexec_b64 s[12:13], s[10:11]
	s_cbranch_execz .LBB217_4
; %bb.3:
	v_ashrrev_i32_e32 v7, 31, v6
	v_lshl_add_u64 v[6:7], v[6:7], 2, s[8:9]
	global_load_dword v1, v[6:7], off offset:4
	s_waitcnt vmcnt(0)
	v_subrev_u32_e32 v19, s33, v1
.LBB217_4:
	s_or_b64 exec, exec, s[12:13]
	s_load_dword s36, s[0:1], 0x38
	v_cmp_gt_i32_e32 vcc, s4, v8
	v_mov_b32_e32 v6, 0
	s_and_saveexec_b64 s[8:9], vcc
	s_cbranch_execz .LBB217_6
; %bb.5:
	s_load_dwordx2 s[10:11], s[0:1], 0x48
	v_ashrrev_i32_e32 v9, 31, v8
	s_waitcnt lgkmcnt(0)
	v_lshl_add_u64 v[6:7], v[8:9], 2, s[10:11]
	global_load_dword v1, v[6:7], off
	s_waitcnt vmcnt(0)
	v_subrev_u32_e32 v6, s36, v1
.LBB217_6:
	s_or_b64 exec, exec, s[8:9]
	s_cmp_lt_i32 s5, 1
	s_cbranch_scc1 .LBB217_27
; %bb.7:
	s_cmp_eq_u32 s14, 0
	s_cselect_b64 vcc, -1, 0
	s_ashr_i32 s4, s7, 31
	s_load_dwordx2 s[8:9], s[0:1], 0x20
	s_load_dwordx2 s[10:11], s[0:1], 0x50
	;; [unrolled: 1-line block ×4, first 2 shown]
	s_mul_hi_u32 s0, s7, s6
	s_mul_i32 s1, s4, s6
	s_add_i32 s37, s0, s1
	v_lshlrev_b32_e32 v8, 4, v2
	v_mul_lo_u32 v2, v2, s7
	s_cmp_lg_u32 s7, 0
	v_mov_b32_e32 v9, 0
	v_ashrrev_i32_e32 v3, 31, v2
	s_cselect_b64 s[0:1], -1, 0
	s_waitcnt lgkmcnt(0)
	v_lshl_add_u64 v[10:11], s[16:17], 0, v[8:9]
	v_lshl_add_u64 v[12:13], v[2:3], 4, s[16:17]
	s_and_b64 s[16:17], s[2:3], s[0:1]
	s_cmp_gt_u32 s7, 1
	s_cselect_b64 s[0:1], -1, 0
	s_and_b64 s[18:19], s[2:3], s[0:1]
	s_cmp_gt_u32 s7, 2
	s_cselect_b64 s[0:1], -1, 0
	s_and_b64 s[20:21], s[2:3], s[0:1]
	s_lshl_b32 s22, s6, 1
	v_mbcnt_lo_u32_b32 v1, -1, 0
	s_cmp_gt_u32 s7, 3
	v_mbcnt_hi_u32_b32 v1, -1, v1
	s_cselect_b64 s[0:1], -1, 0
	s_abs_i32 s39, s7
	v_lshlrev_b32_e32 v20, 2, v1
	v_cvt_f32_u32_e32 v1, s39
	v_lshlrev_b32_e32 v21, 6, v0
	s_and_b64 s[24:25], s[2:3], s[0:1]
	s_sub_i32 s0, 0, s39
	v_rcp_iflag_f32_e32 v0, v1
	s_mov_b32 s15, 0
	s_mov_b32 s1, s15
	s_mov_b32 s2, s15
	v_mul_f32_e32 v0, 0x4f7ffffe, v0
	v_cvt_u32_f32_e32 v0, v0
	s_mov_b32 s3, s15
	s_mov_b32 s14, s6
	s_mul_i32 s38, s7, s6
	v_mul_lo_u32 v1, s0, v0
	v_mul_hi_u32 v1, v0, v1
	s_mov_b32 s0, s15
	v_add_u32_e32 v25, v0, v1
	v_mov_b64_e32 v[0:1], s[0:1]
	v_or_b32_e32 v8, 0x7c, v20
	v_or_b32_e32 v22, 16, v21
	v_or_b32_e32 v23, 32, v21
	v_or_b32_e32 v24, 48, v21
	s_mov_b32 s23, s15
	s_mul_i32 s26, s6, 3
	s_mov_b32 s27, s15
	s_mov_b64 s[28:29], 0
	v_mov_b64_e32 v[2:3], s[2:3]
	v_mov_b32_e32 v26, 1
	v_mov_b32_e32 v7, 0
	s_branch .LBB217_10
.LBB217_8:                              ;   in Loop: Header=BB217_10 Depth=1
	s_or_b64 exec, exec, s[0:1]
	v_mov_b32_e32 v14, 1
.LBB217_9:                              ;   in Loop: Header=BB217_10 Depth=1
	s_or_b64 exec, exec, s[2:3]
	v_mov_b32_dpp v7, v5 row_shr:1 row_mask:0xf bank_mask:0xf
	v_min_i32_e32 v5, v7, v5
	v_add_u32_e32 v6, v14, v6
	s_waitcnt lgkmcnt(0)
	v_mov_b32_dpp v7, v5 row_shr:2 row_mask:0xf bank_mask:0xf
	v_min_i32_e32 v5, v7, v5
	s_nop 1
	v_mov_b32_dpp v7, v5 row_shr:4 row_mask:0xf bank_mask:0xe
	v_min_i32_e32 v5, v7, v5
	s_nop 1
	v_mov_b32_dpp v7, v5 row_shr:8 row_mask:0xf bank_mask:0xc
	v_min_i32_e32 v5, v7, v5
	s_nop 1
	v_mov_b32_dpp v7, v5 row_bcast:15 row_mask:0xa bank_mask:0xf
	v_min_i32_e32 v5, v7, v5
	ds_bpermute_b32 v7, v8, v5
	s_waitcnt lgkmcnt(0)
	v_cmp_le_i32_e64 s[0:1], s5, v7
	s_or_b64 s[28:29], s[0:1], s[28:29]
	s_andn2_b64 exec, exec, s[28:29]
	s_cbranch_execz .LBB217_27
.LBB217_10:                             ; =>This Loop Header: Depth=1
                                        ;     Child Loop BB217_13 Depth 2
	v_cmp_lt_i32_e64 s[0:1], v4, v19
	v_mov_b32_e32 v5, s5
	v_mov_b32_e32 v28, v19
	ds_write_b8 v18, v9 offset:16384
	ds_write_b128 v21, v[0:3]
	ds_write_b128 v21, v[0:3] offset:16
	ds_write_b128 v21, v[0:3] offset:32
	ds_write_b128 v21, v[0:3] offset:48
	s_waitcnt lgkmcnt(0)
	s_and_saveexec_b64 s[30:31], s[0:1]
	s_cbranch_execz .LBB217_18
; %bb.11:                               ;   in Loop: Header=BB217_10 Depth=1
	v_ashrrev_i32_e32 v5, 31, v4
	v_mul_lo_u32 v27, v7, s7
	v_lshl_add_u64 v[14:15], v[4:5], 2, s[12:13]
	v_lshl_add_u64 v[16:17], v[4:5], 4, s[8:9]
	s_mov_b64 s[34:35], 0
	v_mov_b32_e32 v5, s5
	v_mov_b32_e32 v28, v19
	s_branch .LBB217_13
.LBB217_12:                             ;   in Loop: Header=BB217_13 Depth=2
	s_or_b64 exec, exec, s[2:3]
	v_add_u32_e32 v4, 1, v4
	v_cmp_ge_i32_e64 s[2:3], v4, v19
	s_xor_b64 s[0:1], s[0:1], -1
	s_or_b64 s[0:1], s[0:1], s[2:3]
	s_and_b64 s[0:1], exec, s[0:1]
	v_lshl_add_u64 v[14:15], v[14:15], 0, 4
	s_or_b64 s[34:35], s[0:1], s[34:35]
	v_lshl_add_u64 v[16:17], v[16:17], 0, 16
	s_andn2_b64 exec, exec, s[34:35]
	s_cbranch_execz .LBB217_17
.LBB217_13:                             ;   Parent Loop BB217_10 Depth=1
                                        ; =>  This Inner Loop Header: Depth=2
	global_load_dword v29, v[14:15], off
	s_waitcnt vmcnt(0)
	v_subrev_u32_e32 v29, s33, v29
	v_sub_u32_e32 v31, 0, v29
	v_max_i32_e32 v31, v29, v31
	v_mul_hi_u32 v32, v31, v25
	v_mul_lo_u32 v33, v32, s39
	v_sub_u32_e32 v31, v31, v33
	v_add_u32_e32 v34, 1, v32
	v_cmp_le_u32_e64 s[0:1], s39, v31
	v_subrev_u32_e32 v33, s39, v31
	v_ashrrev_i32_e32 v30, 31, v29
	v_cndmask_b32_e64 v32, v32, v34, s[0:1]
	v_cndmask_b32_e64 v31, v31, v33, s[0:1]
	v_add_u32_e32 v33, 1, v32
	v_cmp_le_u32_e64 s[0:1], s39, v31
	v_xor_b32_e32 v30, s4, v30
	s_nop 0
	v_cndmask_b32_e64 v31, v32, v33, s[0:1]
	v_xor_b32_e32 v31, v31, v30
	v_sub_u32_e32 v31, v31, v30
	v_cmp_eq_u32_e64 s[0:1], v31, v7
	v_cmp_ne_u32_e64 s[2:3], v31, v7
	v_mov_b32_e32 v30, v28
	s_and_saveexec_b64 s[40:41], s[2:3]
	s_xor_b64 s[2:3], exec, s[40:41]
; %bb.14:                               ;   in Loop: Header=BB217_13 Depth=2
	v_min_i32_e32 v5, v31, v5
                                        ; implicit-def: $vgpr29
                                        ; implicit-def: $vgpr30
; %bb.15:                               ;   in Loop: Header=BB217_13 Depth=2
	s_or_saveexec_b64 s[2:3], s[2:3]
	v_mov_b32_e32 v28, v4
	s_xor_b64 exec, exec, s[2:3]
	s_cbranch_execz .LBB217_12
; %bb.16:                               ;   in Loop: Header=BB217_13 Depth=2
	global_load_dwordx4 v[32:35], v[16:17], off
	v_sub_u32_e32 v28, v29, v27
	v_lshl_add_u32 v28, v28, 4, v21
	ds_write_b8 v18, v26 offset:16384
	s_waitcnt vmcnt(0)
	ds_write2_b64 v28, v[32:33], v[34:35] offset1:1
	v_mov_b32_e32 v28, v30
	s_branch .LBB217_12
.LBB217_17:                             ;   in Loop: Header=BB217_10 Depth=1
	s_or_b64 exec, exec, s[34:35]
.LBB217_18:                             ;   in Loop: Header=BB217_10 Depth=1
	s_or_b64 exec, exec, s[30:31]
	s_waitcnt lgkmcnt(0)
	ds_read_u8 v14, v18 offset:16384
	ds_bpermute_b32 v4, v20, v28
	s_waitcnt lgkmcnt(1)
	v_and_b32_e32 v14, 1, v14
	v_cmp_eq_u32_e64 s[0:1], 1, v14
	v_mov_b32_e32 v14, 0
	s_and_saveexec_b64 s[2:3], s[0:1]
	s_cbranch_execz .LBB217_9
; %bb.19:                               ;   in Loop: Header=BB217_10 Depth=1
	v_add_u32_e32 v16, s36, v7
	v_ashrrev_i32_e32 v7, 31, v6
	v_lshl_add_u64 v[14:15], v[6:7], 2, s[10:11]
	global_store_dword v[14:15], v16, off
	v_mul_lo_u32 v16, s37, v6
	v_mul_lo_u32 v7, s38, v7
	v_mad_u64_u32 v[14:15], s[0:1], s38, v6, 0
	v_add3_u32 v15, v15, v7, v16
	v_lshlrev_b64 v[16:17], 4, v[14:15]
	v_lshl_add_u64 v[14:15], v[10:11], 0, v[16:17]
	v_lshl_add_u64 v[16:17], v[12:13], 0, v[16:17]
	s_and_saveexec_b64 s[0:1], s[16:17]
	s_cbranch_execnz .LBB217_23
; %bb.20:                               ;   in Loop: Header=BB217_10 Depth=1
	s_or_b64 exec, exec, s[0:1]
	s_and_saveexec_b64 s[0:1], s[18:19]
	s_cbranch_execnz .LBB217_24
.LBB217_21:                             ;   in Loop: Header=BB217_10 Depth=1
	s_or_b64 exec, exec, s[0:1]
	s_and_saveexec_b64 s[0:1], s[20:21]
	s_cbranch_execnz .LBB217_25
.LBB217_22:                             ;   in Loop: Header=BB217_10 Depth=1
	s_or_b64 exec, exec, s[0:1]
	s_and_saveexec_b64 s[0:1], s[24:25]
	s_cbranch_execz .LBB217_8
	s_branch .LBB217_26
.LBB217_23:                             ;   in Loop: Header=BB217_10 Depth=1
	ds_read2_b64 v[28:31], v21 offset1:1
	v_cndmask_b32_e32 v33, v15, v17, vcc
	v_cndmask_b32_e32 v32, v14, v16, vcc
	s_waitcnt lgkmcnt(0)
	global_store_dwordx4 v[32:33], v[28:31], off
	s_or_b64 exec, exec, s[0:1]
	s_and_saveexec_b64 s[0:1], s[18:19]
	s_cbranch_execz .LBB217_21
.LBB217_24:                             ;   in Loop: Header=BB217_10 Depth=1
	ds_read2_b64 v[28:31], v22 offset1:1
	v_lshl_add_u64 v[32:33], v[16:17], 0, 16
	v_lshl_add_u64 v[34:35], s[14:15], 4, v[14:15]
	v_cndmask_b32_e32 v33, v35, v33, vcc
	v_cndmask_b32_e32 v32, v34, v32, vcc
	s_waitcnt lgkmcnt(0)
	global_store_dwordx4 v[32:33], v[28:31], off
	s_or_b64 exec, exec, s[0:1]
	s_and_saveexec_b64 s[0:1], s[20:21]
	s_cbranch_execz .LBB217_22
.LBB217_25:                             ;   in Loop: Header=BB217_10 Depth=1
	ds_read2_b64 v[28:31], v23 offset1:1
	v_lshl_add_u64 v[32:33], v[16:17], 0, 32
	v_lshl_add_u64 v[34:35], s[22:23], 4, v[14:15]
	v_cndmask_b32_e32 v33, v35, v33, vcc
	v_cndmask_b32_e32 v32, v34, v32, vcc
	s_waitcnt lgkmcnt(0)
	global_store_dwordx4 v[32:33], v[28:31], off
	s_or_b64 exec, exec, s[0:1]
	s_and_saveexec_b64 s[0:1], s[24:25]
	s_cbranch_execz .LBB217_8
.LBB217_26:                             ;   in Loop: Header=BB217_10 Depth=1
	ds_read2_b64 v[28:31], v24 offset1:1
	v_lshl_add_u64 v[16:17], v[16:17], 0, 48
	v_lshl_add_u64 v[14:15], s[26:27], 4, v[14:15]
	v_cndmask_b32_e32 v15, v15, v17, vcc
	v_cndmask_b32_e32 v14, v14, v16, vcc
	s_waitcnt lgkmcnt(0)
	global_store_dwordx4 v[14:15], v[28:31], off
	s_branch .LBB217_8
.LBB217_27:
	s_endpgm
	.section	.rodata,"a",@progbits
	.p2align	6, 0x0
	.amdhsa_kernel _ZN9rocsparseL44csr2gebsr_wavefront_per_row_multipass_kernelILi256ELi32ELi4ELi32E21rocsparse_complex_numIdEEEv20rocsparse_direction_iiiiii21rocsparse_index_base_PKT3_PKiS9_S4_PS5_PiSB_
		.amdhsa_group_segment_fixed_size 16392
		.amdhsa_private_segment_fixed_size 0
		.amdhsa_kernarg_size 88
		.amdhsa_user_sgpr_count 2
		.amdhsa_user_sgpr_dispatch_ptr 0
		.amdhsa_user_sgpr_queue_ptr 0
		.amdhsa_user_sgpr_kernarg_segment_ptr 1
		.amdhsa_user_sgpr_dispatch_id 0
		.amdhsa_user_sgpr_kernarg_preload_length 0
		.amdhsa_user_sgpr_kernarg_preload_offset 0
		.amdhsa_user_sgpr_private_segment_size 0
		.amdhsa_uses_dynamic_stack 0
		.amdhsa_enable_private_segment 0
		.amdhsa_system_sgpr_workgroup_id_x 1
		.amdhsa_system_sgpr_workgroup_id_y 0
		.amdhsa_system_sgpr_workgroup_id_z 0
		.amdhsa_system_sgpr_workgroup_info 0
		.amdhsa_system_vgpr_workitem_id 0
		.amdhsa_next_free_vgpr 36
		.amdhsa_next_free_sgpr 42
		.amdhsa_accum_offset 36
		.amdhsa_reserve_vcc 1
		.amdhsa_float_round_mode_32 0
		.amdhsa_float_round_mode_16_64 0
		.amdhsa_float_denorm_mode_32 3
		.amdhsa_float_denorm_mode_16_64 3
		.amdhsa_dx10_clamp 1
		.amdhsa_ieee_mode 1
		.amdhsa_fp16_overflow 0
		.amdhsa_tg_split 0
		.amdhsa_exception_fp_ieee_invalid_op 0
		.amdhsa_exception_fp_denorm_src 0
		.amdhsa_exception_fp_ieee_div_zero 0
		.amdhsa_exception_fp_ieee_overflow 0
		.amdhsa_exception_fp_ieee_underflow 0
		.amdhsa_exception_fp_ieee_inexact 0
		.amdhsa_exception_int_div_zero 0
	.end_amdhsa_kernel
	.section	.text._ZN9rocsparseL44csr2gebsr_wavefront_per_row_multipass_kernelILi256ELi32ELi4ELi32E21rocsparse_complex_numIdEEEv20rocsparse_direction_iiiiii21rocsparse_index_base_PKT3_PKiS9_S4_PS5_PiSB_,"axG",@progbits,_ZN9rocsparseL44csr2gebsr_wavefront_per_row_multipass_kernelILi256ELi32ELi4ELi32E21rocsparse_complex_numIdEEEv20rocsparse_direction_iiiiii21rocsparse_index_base_PKT3_PKiS9_S4_PS5_PiSB_,comdat
.Lfunc_end217:
	.size	_ZN9rocsparseL44csr2gebsr_wavefront_per_row_multipass_kernelILi256ELi32ELi4ELi32E21rocsparse_complex_numIdEEEv20rocsparse_direction_iiiiii21rocsparse_index_base_PKT3_PKiS9_S4_PS5_PiSB_, .Lfunc_end217-_ZN9rocsparseL44csr2gebsr_wavefront_per_row_multipass_kernelILi256ELi32ELi4ELi32E21rocsparse_complex_numIdEEEv20rocsparse_direction_iiiiii21rocsparse_index_base_PKT3_PKiS9_S4_PS5_PiSB_
                                        ; -- End function
	.section	.AMDGPU.csdata,"",@progbits
; Kernel info:
; codeLenInByte = 1436
; NumSgprs: 48
; NumVgprs: 36
; NumAgprs: 0
; TotalNumVgprs: 36
; ScratchSize: 0
; MemoryBound: 0
; FloatMode: 240
; IeeeMode: 1
; LDSByteSize: 16392 bytes/workgroup (compile time only)
; SGPRBlocks: 5
; VGPRBlocks: 4
; NumSGPRsForWavesPerEU: 48
; NumVGPRsForWavesPerEU: 36
; AccumOffset: 36
; Occupancy: 3
; WaveLimiterHint : 0
; COMPUTE_PGM_RSRC2:SCRATCH_EN: 0
; COMPUTE_PGM_RSRC2:USER_SGPR: 2
; COMPUTE_PGM_RSRC2:TRAP_HANDLER: 0
; COMPUTE_PGM_RSRC2:TGID_X_EN: 1
; COMPUTE_PGM_RSRC2:TGID_Y_EN: 0
; COMPUTE_PGM_RSRC2:TGID_Z_EN: 0
; COMPUTE_PGM_RSRC2:TIDIG_COMP_CNT: 0
; COMPUTE_PGM_RSRC3_GFX90A:ACCUM_OFFSET: 8
; COMPUTE_PGM_RSRC3_GFX90A:TG_SPLIT: 0
	.section	.text._ZN9rocsparseL44csr2gebsr_wavefront_per_row_multipass_kernelILi256ELi32ELi8ELi64E21rocsparse_complex_numIdEEEv20rocsparse_direction_iiiiii21rocsparse_index_base_PKT3_PKiS9_S4_PS5_PiSB_,"axG",@progbits,_ZN9rocsparseL44csr2gebsr_wavefront_per_row_multipass_kernelILi256ELi32ELi8ELi64E21rocsparse_complex_numIdEEEv20rocsparse_direction_iiiiii21rocsparse_index_base_PKT3_PKiS9_S4_PS5_PiSB_,comdat
	.globl	_ZN9rocsparseL44csr2gebsr_wavefront_per_row_multipass_kernelILi256ELi32ELi8ELi64E21rocsparse_complex_numIdEEEv20rocsparse_direction_iiiiii21rocsparse_index_base_PKT3_PKiS9_S4_PS5_PiSB_ ; -- Begin function _ZN9rocsparseL44csr2gebsr_wavefront_per_row_multipass_kernelILi256ELi32ELi8ELi64E21rocsparse_complex_numIdEEEv20rocsparse_direction_iiiiii21rocsparse_index_base_PKT3_PKiS9_S4_PS5_PiSB_
	.p2align	8
	.type	_ZN9rocsparseL44csr2gebsr_wavefront_per_row_multipass_kernelILi256ELi32ELi8ELi64E21rocsparse_complex_numIdEEEv20rocsparse_direction_iiiiii21rocsparse_index_base_PKT3_PKiS9_S4_PS5_PiSB_,@function
_ZN9rocsparseL44csr2gebsr_wavefront_per_row_multipass_kernelILi256ELi32ELi8ELi64E21rocsparse_complex_numIdEEEv20rocsparse_direction_iiiiii21rocsparse_index_base_PKT3_PKiS9_S4_PS5_PiSB_: ; @_ZN9rocsparseL44csr2gebsr_wavefront_per_row_multipass_kernelILi256ELi32ELi8ELi64E21rocsparse_complex_numIdEEEv20rocsparse_direction_iiiiii21rocsparse_index_base_PKT3_PKiS9_S4_PS5_PiSB_
; %bb.0:
	s_load_dwordx2 s[4:5], s[0:1], 0x0
	s_load_dwordx4 s[8:11], s[0:1], 0xc
	s_load_dword s30, s[0:1], 0x1c
	s_load_dwordx2 s[6:7], s[0:1], 0x28
	v_lshrrev_b32_e32 v24, 6, v0
	v_bfe_u32 v2, v0, 1, 5
	v_lshl_or_b32 v6, s2, 2, v24
	s_waitcnt lgkmcnt(0)
	v_mad_u64_u32 v[4:5], s[2:3], v6, s10, v[2:3]
	v_cmp_gt_i32_e64 s[2:3], s5, v4
	v_cmp_gt_i32_e32 vcc, s10, v2
	s_and_b64 s[2:3], vcc, s[2:3]
	v_mov_b32_e32 v25, 0
	v_mov_b32_e32 v22, 0
	s_and_saveexec_b64 s[12:13], s[2:3]
	s_cbranch_execz .LBB218_2
; %bb.1:
	v_ashrrev_i32_e32 v5, 31, v4
	v_lshl_add_u64 v[8:9], v[4:5], 2, s[6:7]
	global_load_dword v1, v[8:9], off
	s_waitcnt vmcnt(0)
	v_subrev_u32_e32 v22, s30, v1
.LBB218_2:
	s_or_b64 exec, exec, s[12:13]
	s_and_saveexec_b64 s[12:13], s[2:3]
	s_cbranch_execz .LBB218_4
; %bb.3:
	v_ashrrev_i32_e32 v5, 31, v4
	v_lshl_add_u64 v[4:5], v[4:5], 2, s[6:7]
	global_load_dword v1, v[4:5], off offset:4
	s_waitcnt vmcnt(0)
	v_subrev_u32_e32 v25, s30, v1
.LBB218_4:
	s_or_b64 exec, exec, s[12:13]
	s_load_dword s31, s[0:1], 0x38
	v_cmp_gt_i32_e64 s[2:3], s8, v6
	v_mov_b32_e32 v4, 0
	s_and_saveexec_b64 s[6:7], s[2:3]
	s_cbranch_execz .LBB218_6
; %bb.5:
	s_load_dwordx2 s[2:3], s[0:1], 0x48
	v_ashrrev_i32_e32 v7, 31, v6
	s_waitcnt lgkmcnt(0)
	v_lshl_add_u64 v[4:5], v[6:7], 2, s[2:3]
	global_load_dword v1, v[4:5], off
	s_waitcnt vmcnt(0)
	v_subrev_u32_e32 v4, s31, v1
.LBB218_6:
	s_or_b64 exec, exec, s[6:7]
	s_cmp_lt_i32 s9, 1
	s_cbranch_scc1 .LBB218_42
; %bb.7:
	v_and_b32_e32 v26, 1, v0
	v_lshlrev_b32_e32 v0, 8, v24
	s_load_dwordx2 s[12:13], s[0:1], 0x20
	s_load_dwordx2 s[14:15], s[0:1], 0x50
	;; [unrolled: 1-line block ×4, first 2 shown]
	v_lshl_or_b32 v27, v2, 3, v0
	v_mbcnt_lo_u32_b32 v0, -1, 0
	v_mbcnt_hi_u32_b32 v0, -1, v0
	v_lshlrev_b32_e32 v3, 2, v0
	v_mul_lo_u32 v0, v2, s11
	v_mov_b32_e32 v7, 0
	s_cmp_lg_u32 s4, 0
	v_lshlrev_b32_e32 v6, 4, v2
	v_ashrrev_i32_e32 v1, 31, v0
	s_cselect_b64 s[18:19], -1, 0
	s_ashr_i32 s8, s11, 31
	s_waitcnt lgkmcnt(0)
	v_lshl_add_u64 v[8:9], s[2:3], 0, v[6:7]
	v_lshl_add_u64 v[0:1], v[0:1], 4, s[2:3]
	v_lshlrev_b32_e32 v6, 4, v26
	s_mul_hi_u32 s0, s11, s10
	s_mul_i32 s1, s8, s10
	s_mul_i32 s34, s11, s10
	v_lshl_add_u64 v[10:11], v[0:1], 0, v[6:7]
	v_mul_lo_u32 v6, v26, s10
	s_lshl_b32 s20, s10, 1
	s_abs_i32 s10, s11
	v_cvt_f32_u32_e32 v1, s10
	v_or_b32_e32 v0, 2, v26
	v_cmp_gt_u32_e64 s[2:3], s11, v0
	v_or_b32_e32 v0, 4, v26
	v_cmp_gt_u32_e64 s[4:5], s11, v0
	;; [unrolled: 2-line block ×3, first 2 shown]
	v_rcp_iflag_f32_e32 v0, v1
	v_add_u32_e32 v12, s20, v6
	s_add_i32 s33, s0, s1
	v_cmp_gt_u32_e64 s[0:1], s11, v26
	v_mul_f32_e32 v0, 0x4f7ffffe, v0
	v_cvt_u32_f32_e32 v0, v0
	v_add_u32_e32 v14, s20, v12
	v_add_u32_e32 v16, s20, v14
	s_and_b64 s[20:21], s[0:1], vcc
	s_sub_i32 s0, 0, s10
	v_or_b32_e32 v5, v27, v26
	v_mul_lo_u32 v1, s0, v0
	v_lshlrev_b32_e32 v30, 4, v5
	v_mul_hi_u32 v1, v0, v1
	v_cndmask_b32_e64 v5, 0, 1, s[18:19]
	v_or_b32_e32 v28, 4, v3
	v_or_b32_e32 v29, 0xfc, v3
	v_or_b32_e32 v31, 32, v30
	v_mov_b32_e32 v13, v7
	v_or_b32_e32 v32, 64, v30
	v_mov_b32_e32 v15, v7
	v_or_b32_e32 v33, 0x60, v30
	v_mov_b32_e32 v17, v7
	s_and_b64 s[22:23], vcc, s[2:3]
	s_and_b64 s[4:5], vcc, s[4:5]
	;; [unrolled: 1-line block ×3, first 2 shown]
	v_add_u32_e32 v34, v0, v1
	v_or_b32_e32 v35, -2, v26
	s_mov_b64 s[24:25], 0
	v_mov_b32_e32 v0, v7
	v_mov_b32_e32 v1, v7
	;; [unrolled: 1-line block ×4, first 2 shown]
	v_cmp_ne_u32_e64 s[0:1], 1, v5
	v_mov_b32_e32 v36, 1
	v_mov_b32_e32 v5, v7
	s_branch .LBB218_11
.LBB218_8:                              ;   in Loop: Header=BB218_11 Depth=1
	v_mov_b32_e32 v23, s35
.LBB218_9:                              ;   in Loop: Header=BB218_11 Depth=1
	s_or_b64 exec, exec, s[26:27]
.LBB218_10:                             ;   in Loop: Header=BB218_11 Depth=1
	s_or_b64 exec, exec, s[2:3]
	v_mov_b32_dpp v5, v37 row_shr:1 row_mask:0xf bank_mask:0xf
	v_min_i32_e32 v5, v5, v37
	v_add_u32_e32 v4, v23, v4
	s_waitcnt lgkmcnt(0)
	v_mov_b32_dpp v18, v5 row_shr:2 row_mask:0xf bank_mask:0xf
	v_min_i32_e32 v5, v18, v5
	s_nop 1
	v_mov_b32_dpp v18, v5 row_shr:4 row_mask:0xf bank_mask:0xe
	v_min_i32_e32 v5, v18, v5
	s_nop 1
	;; [unrolled: 3-line block ×3, first 2 shown]
	v_mov_b32_dpp v18, v5 row_bcast:15 row_mask:0xa bank_mask:0xf
	v_min_i32_e32 v5, v18, v5
	s_nop 1
	v_mov_b32_dpp v18, v5 row_bcast:31 row_mask:0xc bank_mask:0xf
	v_min_i32_e32 v5, v18, v5
	ds_bpermute_b32 v5, v29, v5
	s_waitcnt lgkmcnt(0)
	v_cmp_le_i32_e32 vcc, s9, v5
	s_or_b64 s[24:25], vcc, s[24:25]
	s_andn2_b64 exec, exec, s[24:25]
	s_cbranch_execz .LBB218_42
.LBB218_11:                             ; =>This Loop Header: Depth=1
                                        ;     Child Loop BB218_12 Depth 2
                                        ;     Child Loop BB218_16 Depth 2
	s_mov_b64 s[2:3], 0
	v_mov_b32_e32 v18, v30
	v_mov_b32_e32 v19, v35
	ds_write_b8 v24, v7 offset:16384
.LBB218_12:                             ;   Parent Loop BB218_11 Depth=1
                                        ; =>  This Inner Loop Header: Depth=2
	v_add_u32_e32 v19, 2, v19
	v_cmp_lt_u32_e32 vcc, 5, v19
	ds_write_b128 v18, v[0:3]
	s_or_b64 s[2:3], vcc, s[2:3]
	v_add_u32_e32 v18, 32, v18
	s_andn2_b64 exec, exec, s[2:3]
	s_cbranch_execnz .LBB218_12
; %bb.13:                               ;   in Loop: Header=BB218_11 Depth=1
	s_or_b64 exec, exec, s[2:3]
	v_add_u32_e32 v18, v22, v26
	v_cmp_lt_i32_e32 vcc, v18, v25
	v_mov_b32_e32 v37, s9
	v_mov_b32_e32 v19, v25
	s_waitcnt lgkmcnt(0)
	s_and_saveexec_b64 s[26:27], vcc
	s_cbranch_execz .LBB218_21
; %bb.14:                               ;   in Loop: Header=BB218_11 Depth=1
	v_ashrrev_i32_e32 v19, 31, v18
	v_mul_lo_u32 v38, v5, s11
	v_lshl_add_u64 v[20:21], v[18:19], 2, s[16:17]
	v_lshl_add_u64 v[22:23], v[18:19], 4, s[12:13]
	s_mov_b64 s[28:29], 0
	v_mov_b32_e32 v37, s9
	v_mov_b32_e32 v19, v25
	s_branch .LBB218_16
.LBB218_15:                             ;   in Loop: Header=BB218_16 Depth=2
	s_or_b64 exec, exec, s[2:3]
	v_add_u32_e32 v18, 2, v18
	v_cmp_ge_i32_e64 s[2:3], v18, v25
	s_xor_b64 s[36:37], vcc, -1
	s_or_b64 s[2:3], s[36:37], s[2:3]
	s_and_b64 s[2:3], exec, s[2:3]
	v_lshl_add_u64 v[20:21], v[20:21], 0, 8
	s_or_b64 s[28:29], s[2:3], s[28:29]
	v_lshl_add_u64 v[22:23], v[22:23], 0, 32
	s_andn2_b64 exec, exec, s[28:29]
	s_cbranch_execz .LBB218_20
.LBB218_16:                             ;   Parent Loop BB218_11 Depth=1
                                        ; =>  This Inner Loop Header: Depth=2
	global_load_dword v39, v[20:21], off
	s_waitcnt vmcnt(0)
	v_subrev_u32_e32 v39, s30, v39
	v_sub_u32_e32 v41, 0, v39
	v_max_i32_e32 v41, v39, v41
	v_mul_hi_u32 v42, v41, v34
	v_mul_lo_u32 v43, v42, s10
	v_sub_u32_e32 v41, v41, v43
	v_add_u32_e32 v44, 1, v42
	v_cmp_le_u32_e32 vcc, s10, v41
	v_subrev_u32_e32 v43, s10, v41
	v_ashrrev_i32_e32 v40, 31, v39
	v_cndmask_b32_e32 v42, v42, v44, vcc
	v_cndmask_b32_e32 v41, v41, v43, vcc
	v_add_u32_e32 v43, 1, v42
	v_cmp_le_u32_e32 vcc, s10, v41
	v_xor_b32_e32 v40, s8, v40
	s_nop 0
	v_cndmask_b32_e32 v41, v42, v43, vcc
	v_xor_b32_e32 v41, v41, v40
	v_sub_u32_e32 v41, v41, v40
	v_cmp_eq_u32_e32 vcc, v41, v5
	v_cmp_ne_u32_e64 s[2:3], v41, v5
	v_mov_b32_e32 v40, v19
	s_and_saveexec_b64 s[36:37], s[2:3]
	s_xor_b64 s[2:3], exec, s[36:37]
; %bb.17:                               ;   in Loop: Header=BB218_16 Depth=2
	v_min_i32_e32 v37, v41, v37
                                        ; implicit-def: $vgpr39
                                        ; implicit-def: $vgpr40
; %bb.18:                               ;   in Loop: Header=BB218_16 Depth=2
	s_or_saveexec_b64 s[2:3], s[2:3]
	v_mov_b32_e32 v19, v18
	s_xor_b64 exec, exec, s[2:3]
	s_cbranch_execz .LBB218_15
; %bb.19:                               ;   in Loop: Header=BB218_16 Depth=2
	global_load_dwordx4 v[42:45], v[22:23], off
	v_sub_u32_e32 v19, v39, v38
	v_add_lshl_u32 v19, v27, v19, 4
	ds_write_b8 v24, v36 offset:16384
	s_waitcnt vmcnt(0)
	ds_write2_b64 v19, v[42:43], v[44:45] offset1:1
	v_mov_b32_e32 v19, v40
	s_branch .LBB218_15
.LBB218_20:                             ;   in Loop: Header=BB218_11 Depth=1
	s_or_b64 exec, exec, s[28:29]
.LBB218_21:                             ;   in Loop: Header=BB218_11 Depth=1
	s_or_b64 exec, exec, s[26:27]
	s_waitcnt lgkmcnt(0)
	ds_read_u8 v18, v24 offset:16384
	v_mov_b32_dpp v20, v19 row_shr:1 row_mask:0xf bank_mask:0xf
	v_min_i32_e32 v19, v20, v19
	ds_bpermute_b32 v22, v28, v19
	v_mov_b32_e32 v23, 0
	s_waitcnt lgkmcnt(1)
	v_and_b32_e32 v18, 1, v18
	v_cmp_eq_u32_e32 vcc, 1, v18
	s_and_saveexec_b64 s[2:3], vcc
	s_cbranch_execz .LBB218_10
; %bb.22:                               ;   in Loop: Header=BB218_11 Depth=1
	v_add_u32_e32 v20, s31, v5
	v_ashrrev_i32_e32 v5, 31, v4
	v_lshl_add_u64 v[18:19], v[4:5], 2, s[14:15]
	global_store_dword v[18:19], v20, off
	v_mul_lo_u32 v20, s33, v4
	v_mul_lo_u32 v5, s34, v5
	v_mad_u64_u32 v[18:19], s[26:27], s34, v4, 0
	v_add3_u32 v19, v19, v5, v20
	v_lshlrev_b64 v[18:19], 4, v[18:19]
	v_lshl_add_u64 v[20:21], v[8:9], 0, v[18:19]
	v_lshl_add_u64 v[18:19], v[10:11], 0, v[18:19]
	s_and_saveexec_b64 s[26:27], s[20:21]
	s_cbranch_execz .LBB218_26
; %bb.23:                               ;   in Loop: Header=BB218_11 Depth=1
	s_and_b64 vcc, exec, s[18:19]
	s_cbranch_vccz .LBB218_37
; %bb.24:                               ;   in Loop: Header=BB218_11 Depth=1
	ds_read2_b64 v[38:41], v30 offset1:1
	v_lshl_add_u64 v[42:43], v[6:7], 4, v[20:21]
	s_waitcnt lgkmcnt(0)
	global_store_dwordx4 v[42:43], v[38:41], off
	s_cbranch_execnz .LBB218_26
.LBB218_25:                             ;   in Loop: Header=BB218_11 Depth=1
	ds_read2_b64 v[38:41], v30 offset1:1
	s_waitcnt lgkmcnt(0)
	global_store_dwordx4 v[18:19], v[38:41], off
.LBB218_26:                             ;   in Loop: Header=BB218_11 Depth=1
	s_or_b64 exec, exec, s[26:27]
	s_and_saveexec_b64 s[26:27], s[22:23]
	s_cbranch_execz .LBB218_30
; %bb.27:                               ;   in Loop: Header=BB218_11 Depth=1
	s_and_b64 vcc, exec, s[0:1]
	s_cbranch_vccnz .LBB218_38
; %bb.28:                               ;   in Loop: Header=BB218_11 Depth=1
	ds_read2_b64 v[38:41], v31 offset1:1
	v_lshl_add_u64 v[42:43], v[12:13], 4, v[20:21]
	s_waitcnt lgkmcnt(0)
	global_store_dwordx4 v[42:43], v[38:41], off
	s_cbranch_execnz .LBB218_30
.LBB218_29:                             ;   in Loop: Header=BB218_11 Depth=1
	ds_read2_b64 v[38:41], v31 offset1:1
	s_waitcnt lgkmcnt(0)
	global_store_dwordx4 v[18:19], v[38:41], off offset:32
.LBB218_30:                             ;   in Loop: Header=BB218_11 Depth=1
	s_or_b64 exec, exec, s[26:27]
	s_and_saveexec_b64 s[26:27], s[4:5]
	s_cbranch_execz .LBB218_34
; %bb.31:                               ;   in Loop: Header=BB218_11 Depth=1
	s_and_b64 vcc, exec, s[0:1]
	s_cbranch_vccnz .LBB218_39
; %bb.32:                               ;   in Loop: Header=BB218_11 Depth=1
	ds_read2_b64 v[38:41], v32 offset1:1
	v_lshl_add_u64 v[42:43], v[14:15], 4, v[20:21]
	s_waitcnt lgkmcnt(0)
	global_store_dwordx4 v[42:43], v[38:41], off
	s_cbranch_execnz .LBB218_34
.LBB218_33:                             ;   in Loop: Header=BB218_11 Depth=1
	ds_read2_b64 v[38:41], v32 offset1:1
	s_waitcnt lgkmcnt(0)
	global_store_dwordx4 v[18:19], v[38:41], off offset:64
.LBB218_34:                             ;   in Loop: Header=BB218_11 Depth=1
	s_or_b64 exec, exec, s[26:27]
	v_mov_b32_e32 v23, 1
	s_and_saveexec_b64 s[26:27], s[6:7]
	s_cbranch_execz .LBB218_9
; %bb.35:                               ;   in Loop: Header=BB218_11 Depth=1
	s_and_b64 vcc, exec, s[0:1]
	s_cbranch_vccnz .LBB218_40
; %bb.36:                               ;   in Loop: Header=BB218_11 Depth=1
	ds_read2_b64 v[38:41], v33 offset1:1
	v_lshl_add_u64 v[20:21], v[16:17], 4, v[20:21]
	s_mov_b32 s35, 1
	s_waitcnt lgkmcnt(0)
	global_store_dwordx4 v[20:21], v[38:41], off
	s_cbranch_execnz .LBB218_8
	s_branch .LBB218_41
.LBB218_37:                             ;   in Loop: Header=BB218_11 Depth=1
	s_branch .LBB218_25
.LBB218_38:                             ;   in Loop: Header=BB218_11 Depth=1
	s_branch .LBB218_29
.LBB218_39:                             ;   in Loop: Header=BB218_11 Depth=1
	s_branch .LBB218_33
.LBB218_40:                             ;   in Loop: Header=BB218_11 Depth=1
                                        ; implicit-def: $sgpr35
.LBB218_41:                             ;   in Loop: Header=BB218_11 Depth=1
	ds_read2_b64 v[38:41], v33 offset1:1
	s_mov_b32 s35, 1
	s_waitcnt lgkmcnt(0)
	global_store_dwordx4 v[18:19], v[38:41], off offset:96
	s_branch .LBB218_8
.LBB218_42:
	s_endpgm
	.section	.rodata,"a",@progbits
	.p2align	6, 0x0
	.amdhsa_kernel _ZN9rocsparseL44csr2gebsr_wavefront_per_row_multipass_kernelILi256ELi32ELi8ELi64E21rocsparse_complex_numIdEEEv20rocsparse_direction_iiiiii21rocsparse_index_base_PKT3_PKiS9_S4_PS5_PiSB_
		.amdhsa_group_segment_fixed_size 16392
		.amdhsa_private_segment_fixed_size 0
		.amdhsa_kernarg_size 88
		.amdhsa_user_sgpr_count 2
		.amdhsa_user_sgpr_dispatch_ptr 0
		.amdhsa_user_sgpr_queue_ptr 0
		.amdhsa_user_sgpr_kernarg_segment_ptr 1
		.amdhsa_user_sgpr_dispatch_id 0
		.amdhsa_user_sgpr_kernarg_preload_length 0
		.amdhsa_user_sgpr_kernarg_preload_offset 0
		.amdhsa_user_sgpr_private_segment_size 0
		.amdhsa_uses_dynamic_stack 0
		.amdhsa_enable_private_segment 0
		.amdhsa_system_sgpr_workgroup_id_x 1
		.amdhsa_system_sgpr_workgroup_id_y 0
		.amdhsa_system_sgpr_workgroup_id_z 0
		.amdhsa_system_sgpr_workgroup_info 0
		.amdhsa_system_vgpr_workitem_id 0
		.amdhsa_next_free_vgpr 46
		.amdhsa_next_free_sgpr 38
		.amdhsa_accum_offset 48
		.amdhsa_reserve_vcc 1
		.amdhsa_float_round_mode_32 0
		.amdhsa_float_round_mode_16_64 0
		.amdhsa_float_denorm_mode_32 3
		.amdhsa_float_denorm_mode_16_64 3
		.amdhsa_dx10_clamp 1
		.amdhsa_ieee_mode 1
		.amdhsa_fp16_overflow 0
		.amdhsa_tg_split 0
		.amdhsa_exception_fp_ieee_invalid_op 0
		.amdhsa_exception_fp_denorm_src 0
		.amdhsa_exception_fp_ieee_div_zero 0
		.amdhsa_exception_fp_ieee_overflow 0
		.amdhsa_exception_fp_ieee_underflow 0
		.amdhsa_exception_fp_ieee_inexact 0
		.amdhsa_exception_int_div_zero 0
	.end_amdhsa_kernel
	.section	.text._ZN9rocsparseL44csr2gebsr_wavefront_per_row_multipass_kernelILi256ELi32ELi8ELi64E21rocsparse_complex_numIdEEEv20rocsparse_direction_iiiiii21rocsparse_index_base_PKT3_PKiS9_S4_PS5_PiSB_,"axG",@progbits,_ZN9rocsparseL44csr2gebsr_wavefront_per_row_multipass_kernelILi256ELi32ELi8ELi64E21rocsparse_complex_numIdEEEv20rocsparse_direction_iiiiii21rocsparse_index_base_PKT3_PKiS9_S4_PS5_PiSB_,comdat
.Lfunc_end218:
	.size	_ZN9rocsparseL44csr2gebsr_wavefront_per_row_multipass_kernelILi256ELi32ELi8ELi64E21rocsparse_complex_numIdEEEv20rocsparse_direction_iiiiii21rocsparse_index_base_PKT3_PKiS9_S4_PS5_PiSB_, .Lfunc_end218-_ZN9rocsparseL44csr2gebsr_wavefront_per_row_multipass_kernelILi256ELi32ELi8ELi64E21rocsparse_complex_numIdEEEv20rocsparse_direction_iiiiii21rocsparse_index_base_PKT3_PKiS9_S4_PS5_PiSB_
                                        ; -- End function
	.section	.AMDGPU.csdata,"",@progbits
; Kernel info:
; codeLenInByte = 1600
; NumSgprs: 44
; NumVgprs: 46
; NumAgprs: 0
; TotalNumVgprs: 46
; ScratchSize: 0
; MemoryBound: 0
; FloatMode: 240
; IeeeMode: 1
; LDSByteSize: 16392 bytes/workgroup (compile time only)
; SGPRBlocks: 5
; VGPRBlocks: 5
; NumSGPRsForWavesPerEU: 44
; NumVGPRsForWavesPerEU: 46
; AccumOffset: 48
; Occupancy: 3
; WaveLimiterHint : 0
; COMPUTE_PGM_RSRC2:SCRATCH_EN: 0
; COMPUTE_PGM_RSRC2:USER_SGPR: 2
; COMPUTE_PGM_RSRC2:TRAP_HANDLER: 0
; COMPUTE_PGM_RSRC2:TGID_X_EN: 1
; COMPUTE_PGM_RSRC2:TGID_Y_EN: 0
; COMPUTE_PGM_RSRC2:TGID_Z_EN: 0
; COMPUTE_PGM_RSRC2:TIDIG_COMP_CNT: 0
; COMPUTE_PGM_RSRC3_GFX90A:ACCUM_OFFSET: 11
; COMPUTE_PGM_RSRC3_GFX90A:TG_SPLIT: 0
	.section	.text._ZN9rocsparseL44csr2gebsr_wavefront_per_row_multipass_kernelILi256ELi32ELi8ELi32E21rocsparse_complex_numIdEEEv20rocsparse_direction_iiiiii21rocsparse_index_base_PKT3_PKiS9_S4_PS5_PiSB_,"axG",@progbits,_ZN9rocsparseL44csr2gebsr_wavefront_per_row_multipass_kernelILi256ELi32ELi8ELi32E21rocsparse_complex_numIdEEEv20rocsparse_direction_iiiiii21rocsparse_index_base_PKT3_PKiS9_S4_PS5_PiSB_,comdat
	.globl	_ZN9rocsparseL44csr2gebsr_wavefront_per_row_multipass_kernelILi256ELi32ELi8ELi32E21rocsparse_complex_numIdEEEv20rocsparse_direction_iiiiii21rocsparse_index_base_PKT3_PKiS9_S4_PS5_PiSB_ ; -- Begin function _ZN9rocsparseL44csr2gebsr_wavefront_per_row_multipass_kernelILi256ELi32ELi8ELi32E21rocsparse_complex_numIdEEEv20rocsparse_direction_iiiiii21rocsparse_index_base_PKT3_PKiS9_S4_PS5_PiSB_
	.p2align	8
	.type	_ZN9rocsparseL44csr2gebsr_wavefront_per_row_multipass_kernelILi256ELi32ELi8ELi32E21rocsparse_complex_numIdEEEv20rocsparse_direction_iiiiii21rocsparse_index_base_PKT3_PKiS9_S4_PS5_PiSB_,@function
_ZN9rocsparseL44csr2gebsr_wavefront_per_row_multipass_kernelILi256ELi32ELi8ELi32E21rocsparse_complex_numIdEEEv20rocsparse_direction_iiiiii21rocsparse_index_base_PKT3_PKiS9_S4_PS5_PiSB_: ; @_ZN9rocsparseL44csr2gebsr_wavefront_per_row_multipass_kernelILi256ELi32ELi8ELi32E21rocsparse_complex_numIdEEEv20rocsparse_direction_iiiiii21rocsparse_index_base_PKT3_PKiS9_S4_PS5_PiSB_
; %bb.0:
	s_load_dwordx2 s[14:15], s[0:1], 0x0
	s_load_dwordx4 s[4:7], s[0:1], 0xc
	s_load_dword s33, s[0:1], 0x1c
	s_load_dwordx2 s[8:9], s[0:1], 0x28
	v_lshrrev_b32_e32 v18, 5, v0
	v_and_b32_e32 v2, 31, v0
	v_lshl_or_b32 v8, s2, 3, v18
	s_waitcnt lgkmcnt(0)
	v_mad_u64_u32 v[6:7], s[2:3], v8, s6, v[2:3]
	v_cmp_gt_i32_e32 vcc, s15, v6
	v_cmp_gt_i32_e64 s[2:3], s6, v2
	s_and_b64 s[10:11], s[2:3], vcc
	v_mov_b32_e32 v19, 0
	v_mov_b32_e32 v4, 0
	s_and_saveexec_b64 s[12:13], s[10:11]
	s_cbranch_execz .LBB219_2
; %bb.1:
	v_ashrrev_i32_e32 v7, 31, v6
	v_lshl_add_u64 v[4:5], v[6:7], 2, s[8:9]
	global_load_dword v1, v[4:5], off
	s_waitcnt vmcnt(0)
	v_subrev_u32_e32 v4, s33, v1
.LBB219_2:
	s_or_b64 exec, exec, s[12:13]
	s_and_saveexec_b64 s[12:13], s[10:11]
	s_cbranch_execz .LBB219_4
; %bb.3:
	v_ashrrev_i32_e32 v7, 31, v6
	v_lshl_add_u64 v[6:7], v[6:7], 2, s[8:9]
	global_load_dword v1, v[6:7], off offset:4
	s_waitcnt vmcnt(0)
	v_subrev_u32_e32 v19, s33, v1
.LBB219_4:
	s_or_b64 exec, exec, s[12:13]
	s_load_dword s58, s[0:1], 0x38
	v_cmp_gt_i32_e32 vcc, s4, v8
	v_mov_b32_e32 v6, 0
	s_and_saveexec_b64 s[8:9], vcc
	s_cbranch_execz .LBB219_6
; %bb.5:
	s_load_dwordx2 s[10:11], s[0:1], 0x48
	v_ashrrev_i32_e32 v9, 31, v8
	s_waitcnt lgkmcnt(0)
	v_lshl_add_u64 v[6:7], v[8:9], 2, s[10:11]
	global_load_dword v1, v[6:7], off
	s_waitcnt vmcnt(0)
	v_subrev_u32_e32 v6, s58, v1
.LBB219_6:
	s_or_b64 exec, exec, s[8:9]
	s_cmp_lt_i32 s5, 1
	s_cbranch_scc1 .LBB219_35
; %bb.7:
	s_cmp_eq_u32 s14, 0
	s_cselect_b64 vcc, -1, 0
	s_ashr_i32 s4, s7, 31
	s_load_dwordx2 s[8:9], s[0:1], 0x20
	s_load_dwordx2 s[10:11], s[0:1], 0x50
	;; [unrolled: 1-line block ×4, first 2 shown]
	s_mul_hi_u32 s0, s7, s6
	s_mul_i32 s1, s4, s6
	s_add_i32 s59, s0, s1
	v_lshlrev_b32_e32 v8, 4, v2
	v_mul_lo_u32 v2, v2, s7
	s_cmp_lg_u32 s7, 0
	v_mov_b32_e32 v9, 0
	v_ashrrev_i32_e32 v3, 31, v2
	s_cselect_b64 s[0:1], -1, 0
	s_waitcnt lgkmcnt(0)
	v_lshl_add_u64 v[10:11], s[16:17], 0, v[8:9]
	v_lshl_add_u64 v[12:13], v[2:3], 4, s[16:17]
	s_and_b64 s[16:17], s[2:3], s[0:1]
	s_cmp_gt_u32 s7, 1
	s_cselect_b64 s[0:1], -1, 0
	s_and_b64 s[18:19], s[2:3], s[0:1]
	s_cmp_gt_u32 s7, 2
	s_cselect_b64 s[0:1], -1, 0
	s_and_b64 s[20:21], s[2:3], s[0:1]
	s_lshl_b32 s22, s6, 1
	s_cmp_gt_u32 s7, 3
	s_cselect_b64 s[0:1], -1, 0
	s_and_b64 s[24:25], s[2:3], s[0:1]
	s_cmp_gt_u32 s7, 4
	s_cselect_b64 s[0:1], -1, 0
	s_and_b64 s[28:29], s[2:3], s[0:1]
	s_lshl_b32 s30, s6, 2
	s_cmp_gt_u32 s7, 5
	s_cselect_b64 s[0:1], -1, 0
	s_and_b64 s[34:35], s[2:3], s[0:1]
	s_cmp_gt_u32 s7, 6
	s_cselect_b64 s[0:1], -1, 0
	s_and_b64 s[36:37], s[2:3], s[0:1]
	s_cmp_gt_u32 s7, 7
	s_cselect_b64 s[0:1], -1, 0
	s_abs_i32 s61, s7
	v_lshlrev_b32_e32 v21, 7, v0
	v_cvt_f32_u32_e32 v0, s61
	v_mbcnt_lo_u32_b32 v1, -1, 0
	v_mbcnt_hi_u32_b32 v1, -1, v1
	s_and_b64 s[42:43], s[2:3], s[0:1]
	v_rcp_iflag_f32_e32 v0, v0
	s_sub_i32 s0, 0, s61
	s_mov_b32 s15, 0
	v_lshlrev_b32_e32 v20, 2, v1
	v_mul_f32_e32 v0, 0x4f7ffffe, v0
	v_cvt_u32_f32_e32 v0, v0
	s_mov_b32 s1, s15
	s_mov_b32 s2, s15
	;; [unrolled: 1-line block ×3, first 2 shown]
	v_mul_lo_u32 v1, s0, v0
	v_mul_hi_u32 v1, v0, v1
	s_mov_b32 s0, s15
	v_add_u32_e32 v29, v0, v1
	v_mov_b64_e32 v[0:1], s[0:1]
	s_mov_b32 s14, s6
	s_mul_i32 s60, s7, s6
	v_or_b32_e32 v8, 0x7c, v20
	v_or_b32_e32 v22, 16, v21
	;; [unrolled: 1-line block ×8, first 2 shown]
	s_mov_b32 s23, s15
	s_mul_i32 s26, s6, 3
	s_mov_b32 s27, s15
	s_mov_b32 s31, s15
	s_mul_i32 s38, s6, 5
	s_mov_b32 s39, s15
	s_mul_i32 s40, s6, 6
	;; [unrolled: 2-line block ×3, first 2 shown]
	s_mov_b32 s45, s15
	s_mov_b64 s[46:47], 0
	v_mov_b64_e32 v[2:3], s[2:3]
	s_mov_b64 s[48:49], 0x50
	s_mov_b64 s[50:51], 0x60
	s_mov_b64 s[52:53], 0x70
	v_mov_b32_e32 v30, 1
	v_mov_b32_e32 v7, 0
	s_branch .LBB219_10
.LBB219_8:                              ;   in Loop: Header=BB219_10 Depth=1
	s_or_b64 exec, exec, s[0:1]
	v_mov_b32_e32 v14, 1
.LBB219_9:                              ;   in Loop: Header=BB219_10 Depth=1
	s_or_b64 exec, exec, s[2:3]
	v_mov_b32_dpp v7, v5 row_shr:1 row_mask:0xf bank_mask:0xf
	v_min_i32_e32 v5, v7, v5
	v_add_u32_e32 v6, v14, v6
	s_waitcnt lgkmcnt(0)
	v_mov_b32_dpp v7, v5 row_shr:2 row_mask:0xf bank_mask:0xf
	v_min_i32_e32 v5, v7, v5
	s_nop 1
	v_mov_b32_dpp v7, v5 row_shr:4 row_mask:0xf bank_mask:0xe
	v_min_i32_e32 v5, v7, v5
	s_nop 1
	;; [unrolled: 3-line block ×3, first 2 shown]
	v_mov_b32_dpp v7, v5 row_bcast:15 row_mask:0xa bank_mask:0xf
	v_min_i32_e32 v5, v7, v5
	ds_bpermute_b32 v7, v8, v5
	s_waitcnt lgkmcnt(0)
	v_cmp_le_i32_e64 s[0:1], s5, v7
	s_or_b64 s[46:47], s[0:1], s[46:47]
	s_andn2_b64 exec, exec, s[46:47]
	s_cbranch_execz .LBB219_35
.LBB219_10:                             ; =>This Loop Header: Depth=1
                                        ;     Child Loop BB219_13 Depth 2
	v_cmp_lt_i32_e64 s[0:1], v4, v19
	v_mov_b32_e32 v5, s5
	v_mov_b32_e32 v32, v19
	ds_write_b8 v18, v9 offset:32768
	ds_write_b128 v21, v[0:3]
	ds_write_b128 v21, v[0:3] offset:16
	ds_write_b128 v21, v[0:3] offset:32
	;; [unrolled: 1-line block ×7, first 2 shown]
	s_waitcnt lgkmcnt(0)
	s_and_saveexec_b64 s[54:55], s[0:1]
	s_cbranch_execz .LBB219_18
; %bb.11:                               ;   in Loop: Header=BB219_10 Depth=1
	v_ashrrev_i32_e32 v5, 31, v4
	v_mul_lo_u32 v31, v7, s7
	v_lshl_add_u64 v[14:15], v[4:5], 2, s[12:13]
	v_lshl_add_u64 v[16:17], v[4:5], 4, s[8:9]
	s_mov_b64 s[56:57], 0
	v_mov_b32_e32 v5, s5
	v_mov_b32_e32 v32, v19
	s_branch .LBB219_13
.LBB219_12:                             ;   in Loop: Header=BB219_13 Depth=2
	s_or_b64 exec, exec, s[2:3]
	v_add_u32_e32 v4, 1, v4
	v_cmp_ge_i32_e64 s[2:3], v4, v19
	s_xor_b64 s[0:1], s[0:1], -1
	s_or_b64 s[0:1], s[0:1], s[2:3]
	s_and_b64 s[0:1], exec, s[0:1]
	v_lshl_add_u64 v[14:15], v[14:15], 0, 4
	s_or_b64 s[56:57], s[0:1], s[56:57]
	v_lshl_add_u64 v[16:17], v[16:17], 0, 16
	s_andn2_b64 exec, exec, s[56:57]
	s_cbranch_execz .LBB219_17
.LBB219_13:                             ;   Parent Loop BB219_10 Depth=1
                                        ; =>  This Inner Loop Header: Depth=2
	global_load_dword v33, v[14:15], off
	s_waitcnt vmcnt(0)
	v_subrev_u32_e32 v33, s33, v33
	v_sub_u32_e32 v35, 0, v33
	v_max_i32_e32 v35, v33, v35
	v_mul_hi_u32 v36, v35, v29
	v_mul_lo_u32 v37, v36, s61
	v_sub_u32_e32 v35, v35, v37
	v_add_u32_e32 v38, 1, v36
	v_cmp_le_u32_e64 s[0:1], s61, v35
	v_subrev_u32_e32 v37, s61, v35
	v_ashrrev_i32_e32 v34, 31, v33
	v_cndmask_b32_e64 v36, v36, v38, s[0:1]
	v_cndmask_b32_e64 v35, v35, v37, s[0:1]
	v_add_u32_e32 v37, 1, v36
	v_cmp_le_u32_e64 s[0:1], s61, v35
	v_xor_b32_e32 v34, s4, v34
	s_nop 0
	v_cndmask_b32_e64 v35, v36, v37, s[0:1]
	v_xor_b32_e32 v35, v35, v34
	v_sub_u32_e32 v35, v35, v34
	v_cmp_eq_u32_e64 s[0:1], v35, v7
	v_cmp_ne_u32_e64 s[2:3], v35, v7
	v_mov_b32_e32 v34, v32
	s_and_saveexec_b64 s[62:63], s[2:3]
	s_xor_b64 s[2:3], exec, s[62:63]
; %bb.14:                               ;   in Loop: Header=BB219_13 Depth=2
	v_min_i32_e32 v5, v35, v5
                                        ; implicit-def: $vgpr33
                                        ; implicit-def: $vgpr34
; %bb.15:                               ;   in Loop: Header=BB219_13 Depth=2
	s_or_saveexec_b64 s[2:3], s[2:3]
	v_mov_b32_e32 v32, v4
	s_xor_b64 exec, exec, s[2:3]
	s_cbranch_execz .LBB219_12
; %bb.16:                               ;   in Loop: Header=BB219_13 Depth=2
	global_load_dwordx4 v[36:39], v[16:17], off
	v_sub_u32_e32 v32, v33, v31
	v_lshl_add_u32 v32, v32, 4, v21
	ds_write_b8 v18, v30 offset:32768
	s_waitcnt vmcnt(0)
	ds_write2_b64 v32, v[36:37], v[38:39] offset1:1
	v_mov_b32_e32 v32, v34
	s_branch .LBB219_12
.LBB219_17:                             ;   in Loop: Header=BB219_10 Depth=1
	s_or_b64 exec, exec, s[56:57]
.LBB219_18:                             ;   in Loop: Header=BB219_10 Depth=1
	s_or_b64 exec, exec, s[54:55]
	s_waitcnt lgkmcnt(0)
	ds_read_u8 v14, v18 offset:32768
	ds_bpermute_b32 v4, v20, v32
	s_waitcnt lgkmcnt(1)
	v_and_b32_e32 v14, 1, v14
	v_cmp_eq_u32_e64 s[0:1], 1, v14
	v_mov_b32_e32 v14, 0
	s_and_saveexec_b64 s[2:3], s[0:1]
	s_cbranch_execz .LBB219_9
; %bb.19:                               ;   in Loop: Header=BB219_10 Depth=1
	v_add_u32_e32 v16, s58, v7
	v_ashrrev_i32_e32 v7, 31, v6
	v_lshl_add_u64 v[14:15], v[6:7], 2, s[10:11]
	global_store_dword v[14:15], v16, off
	v_mul_lo_u32 v16, s59, v6
	v_mul_lo_u32 v7, s60, v7
	v_mad_u64_u32 v[14:15], s[0:1], s60, v6, 0
	v_add3_u32 v15, v15, v7, v16
	v_lshlrev_b64 v[16:17], 4, v[14:15]
	v_lshl_add_u64 v[14:15], v[10:11], 0, v[16:17]
	v_lshl_add_u64 v[16:17], v[12:13], 0, v[16:17]
	s_and_saveexec_b64 s[0:1], s[16:17]
	s_cbranch_execnz .LBB219_27
; %bb.20:                               ;   in Loop: Header=BB219_10 Depth=1
	s_or_b64 exec, exec, s[0:1]
	s_and_saveexec_b64 s[0:1], s[18:19]
	s_cbranch_execnz .LBB219_28
.LBB219_21:                             ;   in Loop: Header=BB219_10 Depth=1
	s_or_b64 exec, exec, s[0:1]
	s_and_saveexec_b64 s[0:1], s[20:21]
	s_cbranch_execnz .LBB219_29
.LBB219_22:                             ;   in Loop: Header=BB219_10 Depth=1
	s_or_b64 exec, exec, s[0:1]
	s_and_saveexec_b64 s[0:1], s[24:25]
	s_cbranch_execnz .LBB219_30
.LBB219_23:                             ;   in Loop: Header=BB219_10 Depth=1
	s_or_b64 exec, exec, s[0:1]
	s_and_saveexec_b64 s[0:1], s[28:29]
	s_cbranch_execnz .LBB219_31
.LBB219_24:                             ;   in Loop: Header=BB219_10 Depth=1
	s_or_b64 exec, exec, s[0:1]
	s_and_saveexec_b64 s[0:1], s[34:35]
	s_cbranch_execnz .LBB219_32
.LBB219_25:                             ;   in Loop: Header=BB219_10 Depth=1
	s_or_b64 exec, exec, s[0:1]
	s_and_saveexec_b64 s[0:1], s[36:37]
	s_cbranch_execnz .LBB219_33
.LBB219_26:                             ;   in Loop: Header=BB219_10 Depth=1
	s_or_b64 exec, exec, s[0:1]
	s_and_saveexec_b64 s[0:1], s[42:43]
	s_cbranch_execz .LBB219_8
	s_branch .LBB219_34
.LBB219_27:                             ;   in Loop: Header=BB219_10 Depth=1
	ds_read2_b64 v[32:35], v21 offset1:1
	v_cndmask_b32_e32 v37, v15, v17, vcc
	v_cndmask_b32_e32 v36, v14, v16, vcc
	s_waitcnt lgkmcnt(0)
	global_store_dwordx4 v[36:37], v[32:35], off
	s_or_b64 exec, exec, s[0:1]
	s_and_saveexec_b64 s[0:1], s[18:19]
	s_cbranch_execz .LBB219_21
.LBB219_28:                             ;   in Loop: Header=BB219_10 Depth=1
	ds_read2_b64 v[32:35], v22 offset1:1
	v_lshl_add_u64 v[36:37], v[16:17], 0, 16
	v_lshl_add_u64 v[38:39], s[14:15], 4, v[14:15]
	v_cndmask_b32_e32 v37, v39, v37, vcc
	v_cndmask_b32_e32 v36, v38, v36, vcc
	s_waitcnt lgkmcnt(0)
	global_store_dwordx4 v[36:37], v[32:35], off
	s_or_b64 exec, exec, s[0:1]
	s_and_saveexec_b64 s[0:1], s[20:21]
	s_cbranch_execz .LBB219_22
.LBB219_29:                             ;   in Loop: Header=BB219_10 Depth=1
	ds_read2_b64 v[32:35], v23 offset1:1
	v_lshl_add_u64 v[36:37], v[16:17], 0, 32
	v_lshl_add_u64 v[38:39], s[22:23], 4, v[14:15]
	v_cndmask_b32_e32 v37, v39, v37, vcc
	v_cndmask_b32_e32 v36, v38, v36, vcc
	s_waitcnt lgkmcnt(0)
	global_store_dwordx4 v[36:37], v[32:35], off
	s_or_b64 exec, exec, s[0:1]
	s_and_saveexec_b64 s[0:1], s[24:25]
	s_cbranch_execz .LBB219_23
.LBB219_30:                             ;   in Loop: Header=BB219_10 Depth=1
	ds_read2_b64 v[32:35], v24 offset1:1
	v_lshl_add_u64 v[36:37], v[16:17], 0, 48
	v_lshl_add_u64 v[38:39], s[26:27], 4, v[14:15]
	v_cndmask_b32_e32 v37, v39, v37, vcc
	v_cndmask_b32_e32 v36, v38, v36, vcc
	s_waitcnt lgkmcnt(0)
	global_store_dwordx4 v[36:37], v[32:35], off
	s_or_b64 exec, exec, s[0:1]
	s_and_saveexec_b64 s[0:1], s[28:29]
	s_cbranch_execz .LBB219_24
.LBB219_31:                             ;   in Loop: Header=BB219_10 Depth=1
	ds_read2_b64 v[32:35], v25 offset1:1
	v_lshl_add_u64 v[36:37], v[16:17], 0, 64
	v_lshl_add_u64 v[38:39], s[30:31], 4, v[14:15]
	v_cndmask_b32_e32 v37, v39, v37, vcc
	v_cndmask_b32_e32 v36, v38, v36, vcc
	s_waitcnt lgkmcnt(0)
	global_store_dwordx4 v[36:37], v[32:35], off
	s_or_b64 exec, exec, s[0:1]
	s_and_saveexec_b64 s[0:1], s[34:35]
	s_cbranch_execz .LBB219_25
.LBB219_32:                             ;   in Loop: Header=BB219_10 Depth=1
	ds_read2_b64 v[32:35], v26 offset1:1
	v_lshl_add_u64 v[36:37], v[16:17], 0, s[48:49]
	v_lshl_add_u64 v[38:39], s[38:39], 4, v[14:15]
	v_cndmask_b32_e32 v37, v39, v37, vcc
	v_cndmask_b32_e32 v36, v38, v36, vcc
	s_waitcnt lgkmcnt(0)
	global_store_dwordx4 v[36:37], v[32:35], off
	s_or_b64 exec, exec, s[0:1]
	s_and_saveexec_b64 s[0:1], s[36:37]
	s_cbranch_execz .LBB219_26
.LBB219_33:                             ;   in Loop: Header=BB219_10 Depth=1
	ds_read2_b64 v[32:35], v27 offset1:1
	v_lshl_add_u64 v[36:37], v[16:17], 0, s[50:51]
	v_lshl_add_u64 v[38:39], s[40:41], 4, v[14:15]
	v_cndmask_b32_e32 v37, v39, v37, vcc
	v_cndmask_b32_e32 v36, v38, v36, vcc
	s_waitcnt lgkmcnt(0)
	global_store_dwordx4 v[36:37], v[32:35], off
	s_or_b64 exec, exec, s[0:1]
	s_and_saveexec_b64 s[0:1], s[42:43]
	s_cbranch_execz .LBB219_8
.LBB219_34:                             ;   in Loop: Header=BB219_10 Depth=1
	ds_read2_b64 v[32:35], v28 offset1:1
	v_lshl_add_u64 v[16:17], v[16:17], 0, s[52:53]
	v_lshl_add_u64 v[14:15], s[44:45], 4, v[14:15]
	v_cndmask_b32_e32 v15, v15, v17, vcc
	v_cndmask_b32_e32 v14, v14, v16, vcc
	s_waitcnt lgkmcnt(0)
	global_store_dwordx4 v[14:15], v[32:35], off
	s_branch .LBB219_8
.LBB219_35:
	s_endpgm
	.section	.rodata,"a",@progbits
	.p2align	6, 0x0
	.amdhsa_kernel _ZN9rocsparseL44csr2gebsr_wavefront_per_row_multipass_kernelILi256ELi32ELi8ELi32E21rocsparse_complex_numIdEEEv20rocsparse_direction_iiiiii21rocsparse_index_base_PKT3_PKiS9_S4_PS5_PiSB_
		.amdhsa_group_segment_fixed_size 32776
		.amdhsa_private_segment_fixed_size 0
		.amdhsa_kernarg_size 88
		.amdhsa_user_sgpr_count 2
		.amdhsa_user_sgpr_dispatch_ptr 0
		.amdhsa_user_sgpr_queue_ptr 0
		.amdhsa_user_sgpr_kernarg_segment_ptr 1
		.amdhsa_user_sgpr_dispatch_id 0
		.amdhsa_user_sgpr_kernarg_preload_length 0
		.amdhsa_user_sgpr_kernarg_preload_offset 0
		.amdhsa_user_sgpr_private_segment_size 0
		.amdhsa_uses_dynamic_stack 0
		.amdhsa_enable_private_segment 0
		.amdhsa_system_sgpr_workgroup_id_x 1
		.amdhsa_system_sgpr_workgroup_id_y 0
		.amdhsa_system_sgpr_workgroup_id_z 0
		.amdhsa_system_sgpr_workgroup_info 0
		.amdhsa_system_vgpr_workitem_id 0
		.amdhsa_next_free_vgpr 40
		.amdhsa_next_free_sgpr 64
		.amdhsa_accum_offset 40
		.amdhsa_reserve_vcc 1
		.amdhsa_float_round_mode_32 0
		.amdhsa_float_round_mode_16_64 0
		.amdhsa_float_denorm_mode_32 3
		.amdhsa_float_denorm_mode_16_64 3
		.amdhsa_dx10_clamp 1
		.amdhsa_ieee_mode 1
		.amdhsa_fp16_overflow 0
		.amdhsa_tg_split 0
		.amdhsa_exception_fp_ieee_invalid_op 0
		.amdhsa_exception_fp_denorm_src 0
		.amdhsa_exception_fp_ieee_div_zero 0
		.amdhsa_exception_fp_ieee_overflow 0
		.amdhsa_exception_fp_ieee_underflow 0
		.amdhsa_exception_fp_ieee_inexact 0
		.amdhsa_exception_int_div_zero 0
	.end_amdhsa_kernel
	.section	.text._ZN9rocsparseL44csr2gebsr_wavefront_per_row_multipass_kernelILi256ELi32ELi8ELi32E21rocsparse_complex_numIdEEEv20rocsparse_direction_iiiiii21rocsparse_index_base_PKT3_PKiS9_S4_PS5_PiSB_,"axG",@progbits,_ZN9rocsparseL44csr2gebsr_wavefront_per_row_multipass_kernelILi256ELi32ELi8ELi32E21rocsparse_complex_numIdEEEv20rocsparse_direction_iiiiii21rocsparse_index_base_PKT3_PKiS9_S4_PS5_PiSB_,comdat
.Lfunc_end219:
	.size	_ZN9rocsparseL44csr2gebsr_wavefront_per_row_multipass_kernelILi256ELi32ELi8ELi32E21rocsparse_complex_numIdEEEv20rocsparse_direction_iiiiii21rocsparse_index_base_PKT3_PKiS9_S4_PS5_PiSB_, .Lfunc_end219-_ZN9rocsparseL44csr2gebsr_wavefront_per_row_multipass_kernelILi256ELi32ELi8ELi32E21rocsparse_complex_numIdEEEv20rocsparse_direction_iiiiii21rocsparse_index_base_PKT3_PKiS9_S4_PS5_PiSB_
                                        ; -- End function
	.section	.AMDGPU.csdata,"",@progbits
; Kernel info:
; codeLenInByte = 1872
; NumSgprs: 70
; NumVgprs: 40
; NumAgprs: 0
; TotalNumVgprs: 40
; ScratchSize: 0
; MemoryBound: 0
; FloatMode: 240
; IeeeMode: 1
; LDSByteSize: 32776 bytes/workgroup (compile time only)
; SGPRBlocks: 8
; VGPRBlocks: 4
; NumSGPRsForWavesPerEU: 70
; NumVGPRsForWavesPerEU: 40
; AccumOffset: 40
; Occupancy: 1
; WaveLimiterHint : 0
; COMPUTE_PGM_RSRC2:SCRATCH_EN: 0
; COMPUTE_PGM_RSRC2:USER_SGPR: 2
; COMPUTE_PGM_RSRC2:TRAP_HANDLER: 0
; COMPUTE_PGM_RSRC2:TGID_X_EN: 1
; COMPUTE_PGM_RSRC2:TGID_Y_EN: 0
; COMPUTE_PGM_RSRC2:TGID_Z_EN: 0
; COMPUTE_PGM_RSRC2:TIDIG_COMP_CNT: 0
; COMPUTE_PGM_RSRC3_GFX90A:ACCUM_OFFSET: 9
; COMPUTE_PGM_RSRC3_GFX90A:TG_SPLIT: 0
	.section	.text._ZN9rocsparseL40csr2gebsr_block_per_row_multipass_kernelILj256ELj32ELj16E21rocsparse_complex_numIdEEEv20rocsparse_direction_iiiiii21rocsparse_index_base_PKT2_PKiS9_S4_PS5_PiSB_,"axG",@progbits,_ZN9rocsparseL40csr2gebsr_block_per_row_multipass_kernelILj256ELj32ELj16E21rocsparse_complex_numIdEEEv20rocsparse_direction_iiiiii21rocsparse_index_base_PKT2_PKiS9_S4_PS5_PiSB_,comdat
	.globl	_ZN9rocsparseL40csr2gebsr_block_per_row_multipass_kernelILj256ELj32ELj16E21rocsparse_complex_numIdEEEv20rocsparse_direction_iiiiii21rocsparse_index_base_PKT2_PKiS9_S4_PS5_PiSB_ ; -- Begin function _ZN9rocsparseL40csr2gebsr_block_per_row_multipass_kernelILj256ELj32ELj16E21rocsparse_complex_numIdEEEv20rocsparse_direction_iiiiii21rocsparse_index_base_PKT2_PKiS9_S4_PS5_PiSB_
	.p2align	8
	.type	_ZN9rocsparseL40csr2gebsr_block_per_row_multipass_kernelILj256ELj32ELj16E21rocsparse_complex_numIdEEEv20rocsparse_direction_iiiiii21rocsparse_index_base_PKT2_PKiS9_S4_PS5_PiSB_,@function
_ZN9rocsparseL40csr2gebsr_block_per_row_multipass_kernelILj256ELj32ELj16E21rocsparse_complex_numIdEEEv20rocsparse_direction_iiiiii21rocsparse_index_base_PKT2_PKiS9_S4_PS5_PiSB_: ; @_ZN9rocsparseL40csr2gebsr_block_per_row_multipass_kernelILj256ELj32ELj16E21rocsparse_complex_numIdEEEv20rocsparse_direction_iiiiii21rocsparse_index_base_PKT2_PKiS9_S4_PS5_PiSB_
; %bb.0:
	s_load_dwordx4 s[20:23], s[0:1], 0x10
	s_load_dwordx2 s[6:7], s[0:1], 0x0
	s_load_dwordx2 s[8:9], s[0:1], 0x28
	v_lshrrev_b32_e32 v1, 3, v0
	v_mov_b32_e32 v18, 0
	s_waitcnt lgkmcnt(0)
	s_mul_i32 s3, s2, s21
	v_add_u32_e32 v2, s3, v1
	v_cmp_gt_i32_e64 s[4:5], s7, v2
	v_cmp_gt_i32_e32 vcc, s21, v1
	s_and_b64 s[4:5], vcc, s[4:5]
	v_mov_b32_e32 v26, 0
	s_and_saveexec_b64 s[10:11], s[4:5]
	s_cbranch_execnz .LBB220_3
; %bb.1:
	s_or_b64 exec, exec, s[10:11]
	s_and_saveexec_b64 s[10:11], s[4:5]
	s_cbranch_execnz .LBB220_4
.LBB220_2:
	s_or_b64 exec, exec, s[10:11]
	s_cmp_lt_i32 s20, 1
	s_cbranch_scc0 .LBB220_5
	s_branch .LBB220_37
.LBB220_3:
	v_ashrrev_i32_e32 v3, 31, v2
	v_lshl_add_u64 v[4:5], v[2:3], 2, s[8:9]
	global_load_dword v3, v[4:5], off
	s_waitcnt vmcnt(0)
	v_subrev_u32_e32 v26, s23, v3
	s_or_b64 exec, exec, s[10:11]
	s_and_saveexec_b64 s[10:11], s[4:5]
	s_cbranch_execz .LBB220_2
.LBB220_4:
	v_ashrrev_i32_e32 v3, 31, v2
	v_lshl_add_u64 v[2:3], v[2:3], 2, s[8:9]
	global_load_dword v2, v[2:3], off offset:4
	s_waitcnt vmcnt(0)
	v_subrev_u32_e32 v18, s23, v2
	s_or_b64 exec, exec, s[10:11]
	s_cmp_lt_i32 s20, 1
	s_cbranch_scc1 .LBB220_37
.LBB220_5:
	s_load_dwordx4 s[8:11], s[0:1], 0x40
	s_load_dwordx2 s[28:29], s[0:1], 0x50
	s_load_dword s33, s[0:1], 0x38
	s_ashr_i32 s3, s2, 31
	s_lshl_b64 s[2:3], s[2:3], 2
	s_waitcnt lgkmcnt(0)
	s_add_u32 s2, s10, s2
	s_addc_u32 s3, s11, s3
	s_load_dword s4, s[2:3], 0x0
	s_load_dwordx2 s[30:31], s[0:1], 0x20
	s_load_dwordx2 s[34:35], s[0:1], 0x30
	v_mbcnt_lo_u32_b32 v2, -1, 0
	v_mbcnt_hi_u32_b32 v2, -1, v2
	s_waitcnt lgkmcnt(0)
	s_sub_i32 s36, s4, s33
	s_cmp_eq_u32 s6, 0
	s_cselect_b64 s[0:1], -1, 0
	s_ashr_i32 s44, s22, 31
	v_lshl_or_b32 v21, v2, 2, 28
	s_mul_hi_u32 s2, s22, s21
	s_mul_i32 s3, s44, s21
	v_mov_b32_e32 v7, 0
	v_mul_lo_u32 v2, v1, s22
	v_and_b32_e32 v19, 7, v0
	v_lshlrev_b32_e32 v4, 4, v1
	s_add_i32 s45, s2, s3
	v_mov_b32_e32 v5, v7
	v_ashrrev_i32_e32 v3, 31, v2
	s_movk_i32 s2, 0x80
	v_lshl_add_u64 v[8:9], s[8:9], 0, v[4:5]
	v_lshl_add_u64 v[2:3], v[2:3], 4, s[8:9]
	v_lshlrev_b32_e32 v5, 2, v0
	v_cmp_gt_u32_e64 s[2:3], s2, v0
	v_cmp_gt_u32_e64 s[4:5], 64, v0
	;; [unrolled: 1-line block ×7, first 2 shown]
	v_cmp_eq_u32_e64 s[16:17], 0, v0
	v_or_b32_e32 v0, v4, v19
	s_abs_i32 s47, s22
	v_lshlrev_b32_e32 v22, 4, v0
	v_cvt_f32_u32_e32 v0, s47
	v_cmp_gt_u32_e64 s[18:19], s22, v19
	v_or_b32_e32 v1, 8, v19
	s_and_b64 s[38:39], vcc, s[18:19]
	v_rcp_iflag_f32_e32 v0, v0
	v_cmp_gt_u32_e64 s[18:19], s22, v1
	s_and_b64 s[40:41], vcc, s[18:19]
	s_sub_i32 s18, 0, s47
	v_mul_f32_e32 v0, 0x4f7ffffe, v0
	v_cvt_u32_f32_e32 v0, v0
	s_mov_b32 s24, 0
	v_lshlrev_b32_e32 v6, 4, v19
	s_mov_b32 s25, s24
	v_mul_lo_u32 v1, s18, v0
	v_mul_hi_u32 v1, v0, v1
	v_lshl_add_u64 v[10:11], v[2:3], 0, v[6:7]
	v_mul_lo_u32 v6, v19, s21
	v_add_u32_e32 v24, v0, v1
	s_mov_b32 s26, s24
	s_mov_b32 s27, s24
	v_mov_b64_e32 v[0:1], s[24:25]
	v_mov_b32_e32 v20, 0
	s_mul_i32 s46, s22, s21
	v_or_b32_e32 v23, 0x80, v22
	v_lshl_add_u32 v12, s21, 3, v6
	v_mov_b32_e32 v13, v7
	v_mov_b64_e32 v[2:3], s[26:27]
	s_mov_b64 s[24:25], 0x80
	v_mov_b32_e32 v25, 1
	v_mov_b32_e32 v16, 0
	s_branch .LBB220_7
.LBB220_6:                              ;   in Loop: Header=BB220_7 Depth=1
	s_or_b64 exec, exec, s[18:19]
	s_waitcnt lgkmcnt(0)
	s_barrier
	ds_read_b32 v16, v7
	s_add_i32 s36, s21, s36
	s_waitcnt lgkmcnt(0)
	s_barrier
	v_cmp_gt_i32_e32 vcc, s20, v16
	s_cbranch_vccz .LBB220_37
.LBB220_7:                              ; =>This Loop Header: Depth=1
                                        ;     Child Loop BB220_10 Depth 2
	v_add_u32_e32 v14, v26, v19
	v_cmp_lt_i32_e32 vcc, v14, v18
	v_mov_b32_e32 v27, s20
	v_mov_b32_e32 v26, v18
	ds_write_b8 v7, v20 offset:8192
	ds_write_b128 v22, v[0:3]
	ds_write_b128 v22, v[0:3] offset:128
	s_waitcnt lgkmcnt(0)
	s_barrier
	s_and_saveexec_b64 s[26:27], vcc
	s_cbranch_execz .LBB220_15
; %bb.8:                                ;   in Loop: Header=BB220_7 Depth=1
	v_mul_lo_u32 v17, v16, s22
	s_mov_b64 s[42:43], 0
	v_mov_b32_e32 v27, s20
	v_mov_b32_e32 v26, v18
	s_branch .LBB220_10
.LBB220_9:                              ;   in Loop: Header=BB220_10 Depth=2
	s_or_b64 exec, exec, s[18:19]
	v_add_u32_e32 v14, 8, v14
	v_cmp_ge_i32_e64 s[18:19], v14, v18
	s_xor_b64 s[48:49], vcc, -1
	s_or_b64 s[18:19], s[48:49], s[18:19]
	s_and_b64 s[18:19], exec, s[18:19]
	s_or_b64 s[42:43], s[18:19], s[42:43]
	s_andn2_b64 exec, exec, s[42:43]
	s_cbranch_execz .LBB220_14
.LBB220_10:                             ;   Parent Loop BB220_7 Depth=1
                                        ; =>  This Inner Loop Header: Depth=2
	v_ashrrev_i32_e32 v15, 31, v14
	v_lshl_add_u64 v[28:29], v[14:15], 2, s[34:35]
	global_load_dword v28, v[28:29], off
	s_waitcnt vmcnt(0)
	v_subrev_u32_e32 v28, s23, v28
	v_sub_u32_e32 v30, 0, v28
	v_max_i32_e32 v30, v28, v30
	v_mul_hi_u32 v31, v30, v24
	v_mul_lo_u32 v32, v31, s47
	v_sub_u32_e32 v30, v30, v32
	v_add_u32_e32 v33, 1, v31
	v_cmp_le_u32_e32 vcc, s47, v30
	v_subrev_u32_e32 v32, s47, v30
	v_ashrrev_i32_e32 v29, 31, v28
	v_cndmask_b32_e32 v31, v31, v33, vcc
	v_cndmask_b32_e32 v30, v30, v32, vcc
	v_add_u32_e32 v32, 1, v31
	v_cmp_le_u32_e32 vcc, s47, v30
	v_xor_b32_e32 v29, s44, v29
	s_nop 0
	v_cndmask_b32_e32 v30, v31, v32, vcc
	v_xor_b32_e32 v30, v30, v29
	v_sub_u32_e32 v30, v30, v29
	v_cmp_eq_u32_e32 vcc, v30, v16
	v_cmp_ne_u32_e64 s[18:19], v30, v16
	v_mov_b32_e32 v29, v26
	s_and_saveexec_b64 s[48:49], s[18:19]
	s_xor_b64 s[18:19], exec, s[48:49]
; %bb.11:                               ;   in Loop: Header=BB220_10 Depth=2
	v_min_i32_e32 v27, v30, v27
                                        ; implicit-def: $vgpr28
                                        ; implicit-def: $vgpr29
; %bb.12:                               ;   in Loop: Header=BB220_10 Depth=2
	s_or_saveexec_b64 s[18:19], s[18:19]
	v_mov_b32_e32 v26, v14
	s_xor_b64 exec, exec, s[18:19]
	s_cbranch_execz .LBB220_9
; %bb.13:                               ;   in Loop: Header=BB220_10 Depth=2
	v_lshl_add_u64 v[30:31], v[14:15], 4, s[30:31]
	global_load_dwordx4 v[30:33], v[30:31], off
	v_sub_u32_e32 v15, v28, v17
	v_add_lshl_u32 v15, v15, v4, 4
	v_mov_b32_e32 v26, v29
	ds_write_b8 v7, v25 offset:8192
	s_waitcnt vmcnt(0)
	ds_write2_b64 v15, v[30:31], v[32:33] offset1:1
	s_branch .LBB220_9
.LBB220_14:                             ;   in Loop: Header=BB220_7 Depth=1
	s_or_b64 exec, exec, s[42:43]
.LBB220_15:                             ;   in Loop: Header=BB220_7 Depth=1
	s_or_b64 exec, exec, s[26:27]
	v_mov_b32_dpp v14, v26 row_shr:1 row_mask:0xf bank_mask:0xf
	v_min_i32_e32 v14, v14, v26
	s_waitcnt lgkmcnt(0)
	s_barrier
	v_mov_b32_dpp v15, v14 row_shr:2 row_mask:0xf bank_mask:0xf
	v_min_i32_e32 v14, v15, v14
	ds_read_u8 v15, v7 offset:8192
	s_nop 0
	v_mov_b32_dpp v17, v14 row_shr:4 row_mask:0xf bank_mask:0xe
	v_min_i32_e32 v14, v17, v14
	ds_bpermute_b32 v26, v21, v14
	s_mov_b32 s21, 0
	s_waitcnt lgkmcnt(1)
	v_cmp_eq_u32_e32 vcc, 0, v15
	s_cbranch_vccnz .LBB220_21
; %bb.16:                               ;   in Loop: Header=BB220_7 Depth=1
	s_ashr_i32 s37, s36, 31
	s_lshl_b64 s[18:19], s[36:37], 2
	s_add_u32 s18, s28, s18
	v_add_u32_e32 v14, s33, v16
	s_addc_u32 s19, s29, s19
	global_store_dword v7, v14, s[18:19]
	s_mul_hi_u32 s18, s46, s36
	s_mul_i32 s19, s46, s37
	s_add_i32 s18, s18, s19
	s_mul_i32 s19, s45, s36
	s_add_i32 s19, s18, s19
	s_mul_i32 s18, s46, s36
	s_lshl_b64 s[18:19], s[18:19], 4
	v_lshl_add_u64 v[14:15], v[8:9], 0, s[18:19]
	v_lshl_add_u64 v[16:17], v[10:11], 0, s[18:19]
	s_and_saveexec_b64 s[18:19], s[38:39]
	s_cbranch_execz .LBB220_18
; %bb.17:                               ;   in Loop: Header=BB220_7 Depth=1
	ds_read2_b64 v[28:31], v22 offset1:1
	v_lshl_add_u64 v[32:33], v[6:7], 4, v[14:15]
	v_cndmask_b32_e64 v33, v33, v17, s[0:1]
	v_cndmask_b32_e64 v32, v32, v16, s[0:1]
	s_waitcnt lgkmcnt(0)
	global_store_dwordx4 v[32:33], v[28:31], off
.LBB220_18:                             ;   in Loop: Header=BB220_7 Depth=1
	s_or_b64 exec, exec, s[18:19]
	s_and_saveexec_b64 s[18:19], s[40:41]
	s_cbranch_execz .LBB220_20
; %bb.19:                               ;   in Loop: Header=BB220_7 Depth=1
	ds_read2_b64 v[28:31], v23 offset1:1
	v_lshl_add_u64 v[16:17], v[16:17], 0, s[24:25]
	v_lshl_add_u64 v[14:15], v[12:13], 4, v[14:15]
	v_cndmask_b32_e64 v15, v15, v17, s[0:1]
	v_cndmask_b32_e64 v14, v14, v16, s[0:1]
	s_waitcnt lgkmcnt(0)
	global_store_dwordx4 v[14:15], v[28:31], off
.LBB220_20:                             ;   in Loop: Header=BB220_7 Depth=1
	s_or_b64 exec, exec, s[18:19]
	s_mov_b32 s21, 1
.LBB220_21:                             ;   in Loop: Header=BB220_7 Depth=1
	s_waitcnt lgkmcnt(0)
	s_barrier
	ds_write_b32 v5, v27
	s_waitcnt lgkmcnt(0)
	s_barrier
	s_and_saveexec_b64 s[18:19], s[2:3]
	s_cbranch_execz .LBB220_23
; %bb.22:                               ;   in Loop: Header=BB220_7 Depth=1
	ds_read2st64_b32 v[14:15], v5 offset1:2
	s_waitcnt lgkmcnt(0)
	v_min_i32_e32 v14, v15, v14
	ds_write_b32 v5, v14
.LBB220_23:                             ;   in Loop: Header=BB220_7 Depth=1
	s_or_b64 exec, exec, s[18:19]
	s_waitcnt lgkmcnt(0)
	s_barrier
	s_and_saveexec_b64 s[18:19], s[4:5]
	s_cbranch_execz .LBB220_25
; %bb.24:                               ;   in Loop: Header=BB220_7 Depth=1
	ds_read2st64_b32 v[14:15], v5 offset1:1
	s_waitcnt lgkmcnt(0)
	v_min_i32_e32 v14, v15, v14
	ds_write_b32 v5, v14
.LBB220_25:                             ;   in Loop: Header=BB220_7 Depth=1
	s_or_b64 exec, exec, s[18:19]
	s_waitcnt lgkmcnt(0)
	s_barrier
	s_and_saveexec_b64 s[18:19], s[6:7]
	s_cbranch_execz .LBB220_27
; %bb.26:                               ;   in Loop: Header=BB220_7 Depth=1
	ds_read2_b32 v[14:15], v5 offset1:32
	s_waitcnt lgkmcnt(0)
	v_min_i32_e32 v14, v15, v14
	ds_write_b32 v5, v14
.LBB220_27:                             ;   in Loop: Header=BB220_7 Depth=1
	s_or_b64 exec, exec, s[18:19]
	s_waitcnt lgkmcnt(0)
	s_barrier
	s_and_saveexec_b64 s[18:19], s[8:9]
	s_cbranch_execz .LBB220_29
; %bb.28:                               ;   in Loop: Header=BB220_7 Depth=1
	ds_read2_b32 v[14:15], v5 offset1:16
	s_waitcnt lgkmcnt(0)
	v_min_i32_e32 v14, v15, v14
	ds_write_b32 v5, v14
.LBB220_29:                             ;   in Loop: Header=BB220_7 Depth=1
	;; [unrolled: 11-line block ×5, first 2 shown]
	s_or_b64 exec, exec, s[18:19]
	s_waitcnt lgkmcnt(0)
	s_barrier
	s_and_saveexec_b64 s[18:19], s[16:17]
	s_cbranch_execz .LBB220_6
; %bb.36:                               ;   in Loop: Header=BB220_7 Depth=1
	ds_read_b64 v[14:15], v7
	s_waitcnt lgkmcnt(0)
	v_min_i32_e32 v14, v15, v14
	ds_write_b32 v7, v14
	s_branch .LBB220_6
.LBB220_37:
	s_endpgm
	.section	.rodata,"a",@progbits
	.p2align	6, 0x0
	.amdhsa_kernel _ZN9rocsparseL40csr2gebsr_block_per_row_multipass_kernelILj256ELj32ELj16E21rocsparse_complex_numIdEEEv20rocsparse_direction_iiiiii21rocsparse_index_base_PKT2_PKiS9_S4_PS5_PiSB_
		.amdhsa_group_segment_fixed_size 8200
		.amdhsa_private_segment_fixed_size 0
		.amdhsa_kernarg_size 88
		.amdhsa_user_sgpr_count 2
		.amdhsa_user_sgpr_dispatch_ptr 0
		.amdhsa_user_sgpr_queue_ptr 0
		.amdhsa_user_sgpr_kernarg_segment_ptr 1
		.amdhsa_user_sgpr_dispatch_id 0
		.amdhsa_user_sgpr_kernarg_preload_length 0
		.amdhsa_user_sgpr_kernarg_preload_offset 0
		.amdhsa_user_sgpr_private_segment_size 0
		.amdhsa_uses_dynamic_stack 0
		.amdhsa_enable_private_segment 0
		.amdhsa_system_sgpr_workgroup_id_x 1
		.amdhsa_system_sgpr_workgroup_id_y 0
		.amdhsa_system_sgpr_workgroup_id_z 0
		.amdhsa_system_sgpr_workgroup_info 0
		.amdhsa_system_vgpr_workitem_id 0
		.amdhsa_next_free_vgpr 34
		.amdhsa_next_free_sgpr 50
		.amdhsa_accum_offset 36
		.amdhsa_reserve_vcc 1
		.amdhsa_float_round_mode_32 0
		.amdhsa_float_round_mode_16_64 0
		.amdhsa_float_denorm_mode_32 3
		.amdhsa_float_denorm_mode_16_64 3
		.amdhsa_dx10_clamp 1
		.amdhsa_ieee_mode 1
		.amdhsa_fp16_overflow 0
		.amdhsa_tg_split 0
		.amdhsa_exception_fp_ieee_invalid_op 0
		.amdhsa_exception_fp_denorm_src 0
		.amdhsa_exception_fp_ieee_div_zero 0
		.amdhsa_exception_fp_ieee_overflow 0
		.amdhsa_exception_fp_ieee_underflow 0
		.amdhsa_exception_fp_ieee_inexact 0
		.amdhsa_exception_int_div_zero 0
	.end_amdhsa_kernel
	.section	.text._ZN9rocsparseL40csr2gebsr_block_per_row_multipass_kernelILj256ELj32ELj16E21rocsparse_complex_numIdEEEv20rocsparse_direction_iiiiii21rocsparse_index_base_PKT2_PKiS9_S4_PS5_PiSB_,"axG",@progbits,_ZN9rocsparseL40csr2gebsr_block_per_row_multipass_kernelILj256ELj32ELj16E21rocsparse_complex_numIdEEEv20rocsparse_direction_iiiiii21rocsparse_index_base_PKT2_PKiS9_S4_PS5_PiSB_,comdat
.Lfunc_end220:
	.size	_ZN9rocsparseL40csr2gebsr_block_per_row_multipass_kernelILj256ELj32ELj16E21rocsparse_complex_numIdEEEv20rocsparse_direction_iiiiii21rocsparse_index_base_PKT2_PKiS9_S4_PS5_PiSB_, .Lfunc_end220-_ZN9rocsparseL40csr2gebsr_block_per_row_multipass_kernelILj256ELj32ELj16E21rocsparse_complex_numIdEEEv20rocsparse_direction_iiiiii21rocsparse_index_base_PKT2_PKiS9_S4_PS5_PiSB_
                                        ; -- End function
	.section	.AMDGPU.csdata,"",@progbits
; Kernel info:
; codeLenInByte = 1620
; NumSgprs: 56
; NumVgprs: 34
; NumAgprs: 0
; TotalNumVgprs: 34
; ScratchSize: 0
; MemoryBound: 0
; FloatMode: 240
; IeeeMode: 1
; LDSByteSize: 8200 bytes/workgroup (compile time only)
; SGPRBlocks: 6
; VGPRBlocks: 4
; NumSGPRsForWavesPerEU: 56
; NumVGPRsForWavesPerEU: 34
; AccumOffset: 36
; Occupancy: 7
; WaveLimiterHint : 0
; COMPUTE_PGM_RSRC2:SCRATCH_EN: 0
; COMPUTE_PGM_RSRC2:USER_SGPR: 2
; COMPUTE_PGM_RSRC2:TRAP_HANDLER: 0
; COMPUTE_PGM_RSRC2:TGID_X_EN: 1
; COMPUTE_PGM_RSRC2:TGID_Y_EN: 0
; COMPUTE_PGM_RSRC2:TGID_Z_EN: 0
; COMPUTE_PGM_RSRC2:TIDIG_COMP_CNT: 0
; COMPUTE_PGM_RSRC3_GFX90A:ACCUM_OFFSET: 8
; COMPUTE_PGM_RSRC3_GFX90A:TG_SPLIT: 0
	.section	.text._ZN9rocsparseL40csr2gebsr_block_per_row_multipass_kernelILj256ELj32ELj32E21rocsparse_complex_numIdEEEv20rocsparse_direction_iiiiii21rocsparse_index_base_PKT2_PKiS9_S4_PS5_PiSB_,"axG",@progbits,_ZN9rocsparseL40csr2gebsr_block_per_row_multipass_kernelILj256ELj32ELj32E21rocsparse_complex_numIdEEEv20rocsparse_direction_iiiiii21rocsparse_index_base_PKT2_PKiS9_S4_PS5_PiSB_,comdat
	.globl	_ZN9rocsparseL40csr2gebsr_block_per_row_multipass_kernelILj256ELj32ELj32E21rocsparse_complex_numIdEEEv20rocsparse_direction_iiiiii21rocsparse_index_base_PKT2_PKiS9_S4_PS5_PiSB_ ; -- Begin function _ZN9rocsparseL40csr2gebsr_block_per_row_multipass_kernelILj256ELj32ELj32E21rocsparse_complex_numIdEEEv20rocsparse_direction_iiiiii21rocsparse_index_base_PKT2_PKiS9_S4_PS5_PiSB_
	.p2align	8
	.type	_ZN9rocsparseL40csr2gebsr_block_per_row_multipass_kernelILj256ELj32ELj32E21rocsparse_complex_numIdEEEv20rocsparse_direction_iiiiii21rocsparse_index_base_PKT2_PKiS9_S4_PS5_PiSB_,@function
_ZN9rocsparseL40csr2gebsr_block_per_row_multipass_kernelILj256ELj32ELj32E21rocsparse_complex_numIdEEEv20rocsparse_direction_iiiiii21rocsparse_index_base_PKT2_PKiS9_S4_PS5_PiSB_: ; @_ZN9rocsparseL40csr2gebsr_block_per_row_multipass_kernelILj256ELj32ELj32E21rocsparse_complex_numIdEEEv20rocsparse_direction_iiiiii21rocsparse_index_base_PKT2_PKiS9_S4_PS5_PiSB_
; %bb.0:
	s_load_dwordx4 s[20:23], s[0:1], 0x10
	s_load_dwordx2 s[6:7], s[0:1], 0x0
	s_load_dwordx2 s[8:9], s[0:1], 0x28
	v_lshrrev_b32_e32 v1, 3, v0
	v_mov_b32_e32 v20, 0
	s_waitcnt lgkmcnt(0)
	s_mul_i32 s3, s2, s21
	v_add_u32_e32 v2, s3, v1
	v_cmp_gt_i32_e64 s[4:5], s7, v2
	v_cmp_gt_i32_e32 vcc, s21, v1
	s_and_b64 s[4:5], vcc, s[4:5]
	v_mov_b32_e32 v31, 0
	s_and_saveexec_b64 s[10:11], s[4:5]
	s_cbranch_execnz .LBB221_3
; %bb.1:
	s_or_b64 exec, exec, s[10:11]
	s_and_saveexec_b64 s[10:11], s[4:5]
	s_cbranch_execnz .LBB221_4
.LBB221_2:
	s_or_b64 exec, exec, s[10:11]
	s_cmp_lt_i32 s20, 1
	s_cbranch_scc0 .LBB221_5
	s_branch .LBB221_41
.LBB221_3:
	v_ashrrev_i32_e32 v3, 31, v2
	v_lshl_add_u64 v[4:5], v[2:3], 2, s[8:9]
	global_load_dword v3, v[4:5], off
	s_waitcnt vmcnt(0)
	v_subrev_u32_e32 v31, s23, v3
	s_or_b64 exec, exec, s[10:11]
	s_and_saveexec_b64 s[10:11], s[4:5]
	s_cbranch_execz .LBB221_2
.LBB221_4:
	v_ashrrev_i32_e32 v3, 31, v2
	v_lshl_add_u64 v[2:3], v[2:3], 2, s[8:9]
	global_load_dword v2, v[2:3], off offset:4
	s_waitcnt vmcnt(0)
	v_subrev_u32_e32 v20, s23, v2
	s_or_b64 exec, exec, s[10:11]
	s_cmp_lt_i32 s20, 1
	s_cbranch_scc1 .LBB221_41
.LBB221_5:
	s_load_dwordx4 s[8:11], s[0:1], 0x40
	s_load_dwordx2 s[28:29], s[0:1], 0x50
	s_load_dword s33, s[0:1], 0x38
	s_ashr_i32 s3, s2, 31
	s_lshl_b64 s[2:3], s[2:3], 2
	s_waitcnt lgkmcnt(0)
	s_add_u32 s2, s10, s2
	s_addc_u32 s3, s11, s3
	s_load_dword s4, s[2:3], 0x0
	s_load_dwordx2 s[30:31], s[0:1], 0x20
	s_load_dwordx2 s[34:35], s[0:1], 0x30
	v_mbcnt_lo_u32_b32 v2, -1, 0
	v_mbcnt_hi_u32_b32 v2, -1, v2
	s_waitcnt lgkmcnt(0)
	s_sub_i32 s36, s4, s33
	s_cmp_eq_u32 s6, 0
	s_cselect_b64 s[0:1], -1, 0
	s_ashr_i32 s52, s22, 31
	v_lshl_or_b32 v24, v2, 2, 28
	s_mul_hi_u32 s2, s22, s21
	s_mul_i32 s3, s52, s21
	v_mul_lo_u32 v2, v1, s22
	v_and_b32_e32 v21, 7, v0
	v_lshlrev_b32_e32 v22, 5, v1
	s_add_i32 s53, s2, s3
	v_lshlrev_b32_e32 v4, 4, v1
	v_mov_b32_e32 v5, 0
	v_ashrrev_i32_e32 v3, 31, v2
	s_movk_i32 s2, 0x80
	v_lshl_add_u64 v[6:7], s[8:9], 0, v[4:5]
	v_lshl_add_u64 v[2:3], v[2:3], 4, s[8:9]
	v_lshlrev_b32_e32 v25, 2, v0
	v_cmp_gt_u32_e64 s[2:3], s2, v0
	v_cmp_gt_u32_e64 s[4:5], 64, v0
	v_cmp_gt_u32_e64 s[6:7], 32, v0
	v_cmp_gt_u32_e64 s[8:9], 16, v0
	v_cmp_gt_u32_e64 s[10:11], 8, v0
	v_cmp_gt_u32_e64 s[12:13], 4, v0
	v_cmp_gt_u32_e64 s[14:15], 2, v0
	v_cmp_eq_u32_e64 s[16:17], 0, v0
	v_or_b32_e32 v0, v22, v21
	v_lshlrev_b32_e32 v4, 4, v21
	v_lshlrev_b32_e32 v26, 4, v0
	v_cmp_gt_u32_e64 s[18:19], s22, v21
	v_or_b32_e32 v0, 8, v21
	s_mul_i32 s54, s22, s21
	v_lshl_add_u64 v[8:9], v[2:3], 0, v[4:5]
	s_and_b64 s[38:39], vcc, s[18:19]
	v_mul_lo_u32 v4, v21, s21
	v_cmp_gt_u32_e64 s[18:19], s22, v0
	s_lshl_b32 s25, s21, 3
	v_or_b32_e32 v0, 16, v21
	s_abs_i32 s21, s22
	s_and_b64 s[40:41], vcc, s[18:19]
	v_cmp_gt_u32_e64 s[18:19], s22, v0
	v_cvt_f32_u32_e32 v0, s21
	v_or_b32_e32 v1, 24, v21
	s_and_b64 s[42:43], vcc, s[18:19]
	v_cmp_gt_u32_e64 s[18:19], s22, v1
	v_rcp_iflag_f32_e32 v0, v0
	v_add_u32_e32 v10, s25, v4
	s_and_b64 s[44:45], vcc, s[18:19]
	s_sub_i32 s18, 0, s21
	v_mul_f32_e32 v0, 0x4f7ffffe, v0
	v_cvt_u32_f32_e32 v0, v0
	s_mov_b32 s24, 0
	v_add_u32_e32 v12, s25, v10
	v_add_u32_e32 v14, s25, v12
	v_mul_lo_u32 v1, s18, v0
	v_mul_hi_u32 v1, v0, v1
	s_mov_b32 s25, s24
	v_add_u32_e32 v30, v0, v1
	s_mov_b32 s26, s24
	s_mov_b32 s27, s24
	v_mov_b64_e32 v[0:1], s[24:25]
	v_mov_b32_e32 v23, 0
	v_or_b32_e32 v27, 0x80, v26
	v_or_b32_e32 v28, 0x100, v26
	;; [unrolled: 1-line block ×3, first 2 shown]
	v_mov_b32_e32 v11, v5
	v_mov_b32_e32 v13, v5
	v_mov_b32_e32 v15, v5
	v_mov_b64_e32 v[2:3], s[26:27]
	s_mov_b64 s[24:25], 0x80
	s_mov_b64 s[26:27], 0x100
	;; [unrolled: 1-line block ×3, first 2 shown]
	v_mov_b32_e32 v32, 1
	v_mov_b32_e32 v18, 0
	s_branch .LBB221_7
.LBB221_6:                              ;   in Loop: Header=BB221_7 Depth=1
	s_or_b64 exec, exec, s[18:19]
	s_waitcnt lgkmcnt(0)
	s_barrier
	ds_read_b32 v18, v5
	s_add_i32 s36, s37, s36
	s_waitcnt lgkmcnt(0)
	s_barrier
	v_cmp_gt_i32_e32 vcc, s20, v18
	s_cbranch_vccz .LBB221_41
.LBB221_7:                              ; =>This Loop Header: Depth=1
                                        ;     Child Loop BB221_10 Depth 2
	v_add_u32_e32 v16, v31, v21
	v_cmp_lt_i32_e32 vcc, v16, v20
	v_mov_b32_e32 v33, s20
	v_mov_b32_e32 v31, v20
	ds_write_b8 v5, v23 offset:16384
	ds_write_b128 v26, v[0:3]
	ds_write_b128 v26, v[0:3] offset:128
	ds_write_b128 v26, v[0:3] offset:256
	;; [unrolled: 1-line block ×3, first 2 shown]
	s_waitcnt lgkmcnt(0)
	s_barrier
	s_and_saveexec_b64 s[48:49], vcc
	s_cbranch_execz .LBB221_15
; %bb.8:                                ;   in Loop: Header=BB221_7 Depth=1
	v_mul_lo_u32 v19, v18, s22
	s_mov_b64 s[50:51], 0
	v_mov_b32_e32 v33, s20
	v_mov_b32_e32 v31, v20
	s_branch .LBB221_10
.LBB221_9:                              ;   in Loop: Header=BB221_10 Depth=2
	s_or_b64 exec, exec, s[18:19]
	v_add_u32_e32 v16, 8, v16
	v_cmp_ge_i32_e64 s[18:19], v16, v20
	s_xor_b64 s[56:57], vcc, -1
	s_or_b64 s[18:19], s[56:57], s[18:19]
	s_and_b64 s[18:19], exec, s[18:19]
	s_or_b64 s[50:51], s[18:19], s[50:51]
	s_andn2_b64 exec, exec, s[50:51]
	s_cbranch_execz .LBB221_14
.LBB221_10:                             ;   Parent Loop BB221_7 Depth=1
                                        ; =>  This Inner Loop Header: Depth=2
	v_ashrrev_i32_e32 v17, 31, v16
	v_lshl_add_u64 v[34:35], v[16:17], 2, s[34:35]
	global_load_dword v34, v[34:35], off
	s_waitcnt vmcnt(0)
	v_subrev_u32_e32 v34, s23, v34
	v_sub_u32_e32 v36, 0, v34
	v_max_i32_e32 v36, v34, v36
	v_mul_hi_u32 v37, v36, v30
	v_mul_lo_u32 v38, v37, s21
	v_sub_u32_e32 v36, v36, v38
	v_add_u32_e32 v39, 1, v37
	v_cmp_le_u32_e32 vcc, s21, v36
	v_subrev_u32_e32 v38, s21, v36
	v_ashrrev_i32_e32 v35, 31, v34
	v_cndmask_b32_e32 v37, v37, v39, vcc
	v_cndmask_b32_e32 v36, v36, v38, vcc
	v_add_u32_e32 v38, 1, v37
	v_cmp_le_u32_e32 vcc, s21, v36
	v_xor_b32_e32 v35, s52, v35
	s_nop 0
	v_cndmask_b32_e32 v36, v37, v38, vcc
	v_xor_b32_e32 v36, v36, v35
	v_sub_u32_e32 v36, v36, v35
	v_cmp_eq_u32_e32 vcc, v36, v18
	v_cmp_ne_u32_e64 s[18:19], v36, v18
	v_mov_b32_e32 v35, v31
	s_and_saveexec_b64 s[56:57], s[18:19]
	s_xor_b64 s[18:19], exec, s[56:57]
; %bb.11:                               ;   in Loop: Header=BB221_10 Depth=2
	v_min_i32_e32 v33, v36, v33
                                        ; implicit-def: $vgpr34
                                        ; implicit-def: $vgpr35
; %bb.12:                               ;   in Loop: Header=BB221_10 Depth=2
	s_or_saveexec_b64 s[18:19], s[18:19]
	v_mov_b32_e32 v31, v16
	s_xor_b64 exec, exec, s[18:19]
	s_cbranch_execz .LBB221_9
; %bb.13:                               ;   in Loop: Header=BB221_10 Depth=2
	v_lshl_add_u64 v[36:37], v[16:17], 4, s[30:31]
	global_load_dwordx4 v[36:39], v[36:37], off
	v_sub_u32_e32 v17, v34, v19
	v_add_lshl_u32 v17, v17, v22, 4
	v_mov_b32_e32 v31, v35
	ds_write_b8 v5, v32 offset:16384
	s_waitcnt vmcnt(0)
	ds_write2_b64 v17, v[36:37], v[38:39] offset1:1
	s_branch .LBB221_9
.LBB221_14:                             ;   in Loop: Header=BB221_7 Depth=1
	s_or_b64 exec, exec, s[50:51]
.LBB221_15:                             ;   in Loop: Header=BB221_7 Depth=1
	s_or_b64 exec, exec, s[48:49]
	v_mov_b32_dpp v16, v31 row_shr:1 row_mask:0xf bank_mask:0xf
	v_min_i32_e32 v16, v16, v31
	s_waitcnt lgkmcnt(0)
	s_barrier
	v_mov_b32_dpp v17, v16 row_shr:2 row_mask:0xf bank_mask:0xf
	v_min_i32_e32 v16, v17, v16
	ds_read_u8 v17, v5 offset:16384
	s_nop 0
	v_mov_b32_dpp v19, v16 row_shr:4 row_mask:0xf bank_mask:0xe
	v_min_i32_e32 v16, v19, v16
	ds_bpermute_b32 v31, v24, v16
	s_mov_b32 s37, 0
	s_waitcnt lgkmcnt(1)
	v_cmp_eq_u32_e32 vcc, 0, v17
	s_cbranch_vccnz .LBB221_22
; %bb.16:                               ;   in Loop: Header=BB221_7 Depth=1
	s_ashr_i32 s37, s36, 31
	s_lshl_b64 s[18:19], s[36:37], 2
	s_add_u32 s18, s28, s18
	v_add_u32_e32 v16, s33, v18
	s_addc_u32 s19, s29, s19
	global_store_dword v5, v16, s[18:19]
	s_mul_hi_u32 s18, s54, s36
	s_mul_i32 s19, s54, s37
	s_add_i32 s18, s18, s19
	s_mul_i32 s19, s53, s36
	s_add_i32 s19, s18, s19
	s_mul_i32 s18, s54, s36
	s_lshl_b64 s[18:19], s[18:19], 4
	v_lshl_add_u64 v[16:17], v[6:7], 0, s[18:19]
	v_lshl_add_u64 v[18:19], v[8:9], 0, s[18:19]
	s_and_saveexec_b64 s[18:19], s[38:39]
	s_cbranch_execnz .LBB221_38
; %bb.17:                               ;   in Loop: Header=BB221_7 Depth=1
	s_or_b64 exec, exec, s[18:19]
	s_and_saveexec_b64 s[18:19], s[40:41]
	s_cbranch_execnz .LBB221_39
.LBB221_18:                             ;   in Loop: Header=BB221_7 Depth=1
	s_or_b64 exec, exec, s[18:19]
	s_and_saveexec_b64 s[18:19], s[42:43]
	s_cbranch_execnz .LBB221_40
.LBB221_19:                             ;   in Loop: Header=BB221_7 Depth=1
	s_or_b64 exec, exec, s[18:19]
	s_and_saveexec_b64 s[18:19], s[44:45]
	s_cbranch_execz .LBB221_21
.LBB221_20:                             ;   in Loop: Header=BB221_7 Depth=1
	ds_read2_b64 v[34:37], v29 offset1:1
	v_lshl_add_u64 v[18:19], v[18:19], 0, s[46:47]
	v_lshl_add_u64 v[16:17], v[14:15], 4, v[16:17]
	v_cndmask_b32_e64 v17, v17, v19, s[0:1]
	v_cndmask_b32_e64 v16, v16, v18, s[0:1]
	s_waitcnt lgkmcnt(0)
	global_store_dwordx4 v[16:17], v[34:37], off
.LBB221_21:                             ;   in Loop: Header=BB221_7 Depth=1
	s_or_b64 exec, exec, s[18:19]
	s_mov_b32 s37, 1
.LBB221_22:                             ;   in Loop: Header=BB221_7 Depth=1
	s_waitcnt lgkmcnt(0)
	s_barrier
	ds_write_b32 v25, v33
	s_waitcnt lgkmcnt(0)
	s_barrier
	s_and_saveexec_b64 s[18:19], s[2:3]
	s_cbranch_execz .LBB221_24
; %bb.23:                               ;   in Loop: Header=BB221_7 Depth=1
	ds_read2st64_b32 v[16:17], v25 offset1:2
	s_waitcnt lgkmcnt(0)
	v_min_i32_e32 v16, v17, v16
	ds_write_b32 v25, v16
.LBB221_24:                             ;   in Loop: Header=BB221_7 Depth=1
	s_or_b64 exec, exec, s[18:19]
	s_waitcnt lgkmcnt(0)
	s_barrier
	s_and_saveexec_b64 s[18:19], s[4:5]
	s_cbranch_execz .LBB221_26
; %bb.25:                               ;   in Loop: Header=BB221_7 Depth=1
	ds_read2st64_b32 v[16:17], v25 offset1:1
	s_waitcnt lgkmcnt(0)
	v_min_i32_e32 v16, v17, v16
	ds_write_b32 v25, v16
.LBB221_26:                             ;   in Loop: Header=BB221_7 Depth=1
	s_or_b64 exec, exec, s[18:19]
	s_waitcnt lgkmcnt(0)
	s_barrier
	s_and_saveexec_b64 s[18:19], s[6:7]
	s_cbranch_execz .LBB221_28
; %bb.27:                               ;   in Loop: Header=BB221_7 Depth=1
	ds_read2_b32 v[16:17], v25 offset1:32
	s_waitcnt lgkmcnt(0)
	v_min_i32_e32 v16, v17, v16
	ds_write_b32 v25, v16
.LBB221_28:                             ;   in Loop: Header=BB221_7 Depth=1
	s_or_b64 exec, exec, s[18:19]
	s_waitcnt lgkmcnt(0)
	s_barrier
	s_and_saveexec_b64 s[18:19], s[8:9]
	s_cbranch_execz .LBB221_30
; %bb.29:                               ;   in Loop: Header=BB221_7 Depth=1
	ds_read2_b32 v[16:17], v25 offset1:16
	s_waitcnt lgkmcnt(0)
	v_min_i32_e32 v16, v17, v16
	ds_write_b32 v25, v16
.LBB221_30:                             ;   in Loop: Header=BB221_7 Depth=1
	;; [unrolled: 11-line block ×5, first 2 shown]
	s_or_b64 exec, exec, s[18:19]
	s_waitcnt lgkmcnt(0)
	s_barrier
	s_and_saveexec_b64 s[18:19], s[16:17]
	s_cbranch_execz .LBB221_6
; %bb.37:                               ;   in Loop: Header=BB221_7 Depth=1
	ds_read_b64 v[16:17], v5
	s_waitcnt lgkmcnt(0)
	v_min_i32_e32 v16, v17, v16
	ds_write_b32 v5, v16
	s_branch .LBB221_6
.LBB221_38:                             ;   in Loop: Header=BB221_7 Depth=1
	ds_read2_b64 v[34:37], v26 offset1:1
	v_lshl_add_u64 v[38:39], v[4:5], 4, v[16:17]
	v_cndmask_b32_e64 v39, v39, v19, s[0:1]
	v_cndmask_b32_e64 v38, v38, v18, s[0:1]
	s_waitcnt lgkmcnt(0)
	global_store_dwordx4 v[38:39], v[34:37], off
	s_or_b64 exec, exec, s[18:19]
	s_and_saveexec_b64 s[18:19], s[40:41]
	s_cbranch_execz .LBB221_18
.LBB221_39:                             ;   in Loop: Header=BB221_7 Depth=1
	ds_read2_b64 v[34:37], v27 offset1:1
	v_lshl_add_u64 v[38:39], v[18:19], 0, s[24:25]
	v_lshl_add_u64 v[40:41], v[10:11], 4, v[16:17]
	v_cndmask_b32_e64 v39, v41, v39, s[0:1]
	v_cndmask_b32_e64 v38, v40, v38, s[0:1]
	s_waitcnt lgkmcnt(0)
	global_store_dwordx4 v[38:39], v[34:37], off
	s_or_b64 exec, exec, s[18:19]
	s_and_saveexec_b64 s[18:19], s[42:43]
	s_cbranch_execz .LBB221_19
.LBB221_40:                             ;   in Loop: Header=BB221_7 Depth=1
	ds_read2_b64 v[34:37], v28 offset1:1
	v_lshl_add_u64 v[38:39], v[18:19], 0, s[26:27]
	v_lshl_add_u64 v[40:41], v[12:13], 4, v[16:17]
	v_cndmask_b32_e64 v39, v41, v39, s[0:1]
	v_cndmask_b32_e64 v38, v40, v38, s[0:1]
	s_waitcnt lgkmcnt(0)
	global_store_dwordx4 v[38:39], v[34:37], off
	s_or_b64 exec, exec, s[18:19]
	s_and_saveexec_b64 s[18:19], s[44:45]
	s_cbranch_execnz .LBB221_20
	s_branch .LBB221_21
.LBB221_41:
	s_endpgm
	.section	.rodata,"a",@progbits
	.p2align	6, 0x0
	.amdhsa_kernel _ZN9rocsparseL40csr2gebsr_block_per_row_multipass_kernelILj256ELj32ELj32E21rocsparse_complex_numIdEEEv20rocsparse_direction_iiiiii21rocsparse_index_base_PKT2_PKiS9_S4_PS5_PiSB_
		.amdhsa_group_segment_fixed_size 16392
		.amdhsa_private_segment_fixed_size 0
		.amdhsa_kernarg_size 88
		.amdhsa_user_sgpr_count 2
		.amdhsa_user_sgpr_dispatch_ptr 0
		.amdhsa_user_sgpr_queue_ptr 0
		.amdhsa_user_sgpr_kernarg_segment_ptr 1
		.amdhsa_user_sgpr_dispatch_id 0
		.amdhsa_user_sgpr_kernarg_preload_length 0
		.amdhsa_user_sgpr_kernarg_preload_offset 0
		.amdhsa_user_sgpr_private_segment_size 0
		.amdhsa_uses_dynamic_stack 0
		.amdhsa_enable_private_segment 0
		.amdhsa_system_sgpr_workgroup_id_x 1
		.amdhsa_system_sgpr_workgroup_id_y 0
		.amdhsa_system_sgpr_workgroup_id_z 0
		.amdhsa_system_sgpr_workgroup_info 0
		.amdhsa_system_vgpr_workitem_id 0
		.amdhsa_next_free_vgpr 42
		.amdhsa_next_free_sgpr 58
		.amdhsa_accum_offset 44
		.amdhsa_reserve_vcc 1
		.amdhsa_float_round_mode_32 0
		.amdhsa_float_round_mode_16_64 0
		.amdhsa_float_denorm_mode_32 3
		.amdhsa_float_denorm_mode_16_64 3
		.amdhsa_dx10_clamp 1
		.amdhsa_ieee_mode 1
		.amdhsa_fp16_overflow 0
		.amdhsa_tg_split 0
		.amdhsa_exception_fp_ieee_invalid_op 0
		.amdhsa_exception_fp_denorm_src 0
		.amdhsa_exception_fp_ieee_div_zero 0
		.amdhsa_exception_fp_ieee_overflow 0
		.amdhsa_exception_fp_ieee_underflow 0
		.amdhsa_exception_fp_ieee_inexact 0
		.amdhsa_exception_int_div_zero 0
	.end_amdhsa_kernel
	.section	.text._ZN9rocsparseL40csr2gebsr_block_per_row_multipass_kernelILj256ELj32ELj32E21rocsparse_complex_numIdEEEv20rocsparse_direction_iiiiii21rocsparse_index_base_PKT2_PKiS9_S4_PS5_PiSB_,"axG",@progbits,_ZN9rocsparseL40csr2gebsr_block_per_row_multipass_kernelILj256ELj32ELj32E21rocsparse_complex_numIdEEEv20rocsparse_direction_iiiiii21rocsparse_index_base_PKT2_PKiS9_S4_PS5_PiSB_,comdat
.Lfunc_end221:
	.size	_ZN9rocsparseL40csr2gebsr_block_per_row_multipass_kernelILj256ELj32ELj32E21rocsparse_complex_numIdEEEv20rocsparse_direction_iiiiii21rocsparse_index_base_PKT2_PKiS9_S4_PS5_PiSB_, .Lfunc_end221-_ZN9rocsparseL40csr2gebsr_block_per_row_multipass_kernelILj256ELj32ELj32E21rocsparse_complex_numIdEEEv20rocsparse_direction_iiiiii21rocsparse_index_base_PKT2_PKiS9_S4_PS5_PiSB_
                                        ; -- End function
	.section	.AMDGPU.csdata,"",@progbits
; Kernel info:
; codeLenInByte = 1884
; NumSgprs: 64
; NumVgprs: 42
; NumAgprs: 0
; TotalNumVgprs: 42
; ScratchSize: 0
; MemoryBound: 0
; FloatMode: 240
; IeeeMode: 1
; LDSByteSize: 16392 bytes/workgroup (compile time only)
; SGPRBlocks: 7
; VGPRBlocks: 5
; NumSGPRsForWavesPerEU: 64
; NumVGPRsForWavesPerEU: 42
; AccumOffset: 44
; Occupancy: 3
; WaveLimiterHint : 0
; COMPUTE_PGM_RSRC2:SCRATCH_EN: 0
; COMPUTE_PGM_RSRC2:USER_SGPR: 2
; COMPUTE_PGM_RSRC2:TRAP_HANDLER: 0
; COMPUTE_PGM_RSRC2:TGID_X_EN: 1
; COMPUTE_PGM_RSRC2:TGID_Y_EN: 0
; COMPUTE_PGM_RSRC2:TGID_Z_EN: 0
; COMPUTE_PGM_RSRC2:TIDIG_COMP_CNT: 0
; COMPUTE_PGM_RSRC3_GFX90A:ACCUM_OFFSET: 10
; COMPUTE_PGM_RSRC3_GFX90A:TG_SPLIT: 0
	.section	.text._ZN9rocsparseL40csr2gebsr_block_per_row_multipass_kernelILj256ELj32ELj64E21rocsparse_complex_numIdEEEv20rocsparse_direction_iiiiii21rocsparse_index_base_PKT2_PKiS9_S4_PS5_PiSB_,"axG",@progbits,_ZN9rocsparseL40csr2gebsr_block_per_row_multipass_kernelILj256ELj32ELj64E21rocsparse_complex_numIdEEEv20rocsparse_direction_iiiiii21rocsparse_index_base_PKT2_PKiS9_S4_PS5_PiSB_,comdat
	.globl	_ZN9rocsparseL40csr2gebsr_block_per_row_multipass_kernelILj256ELj32ELj64E21rocsparse_complex_numIdEEEv20rocsparse_direction_iiiiii21rocsparse_index_base_PKT2_PKiS9_S4_PS5_PiSB_ ; -- Begin function _ZN9rocsparseL40csr2gebsr_block_per_row_multipass_kernelILj256ELj32ELj64E21rocsparse_complex_numIdEEEv20rocsparse_direction_iiiiii21rocsparse_index_base_PKT2_PKiS9_S4_PS5_PiSB_
	.p2align	8
	.type	_ZN9rocsparseL40csr2gebsr_block_per_row_multipass_kernelILj256ELj32ELj64E21rocsparse_complex_numIdEEEv20rocsparse_direction_iiiiii21rocsparse_index_base_PKT2_PKiS9_S4_PS5_PiSB_,@function
_ZN9rocsparseL40csr2gebsr_block_per_row_multipass_kernelILj256ELj32ELj64E21rocsparse_complex_numIdEEEv20rocsparse_direction_iiiiii21rocsparse_index_base_PKT2_PKiS9_S4_PS5_PiSB_: ; @_ZN9rocsparseL40csr2gebsr_block_per_row_multipass_kernelILj256ELj32ELj64E21rocsparse_complex_numIdEEEv20rocsparse_direction_iiiiii21rocsparse_index_base_PKT2_PKiS9_S4_PS5_PiSB_
; %bb.0:
	s_load_dwordx4 s[20:23], s[0:1], 0x10
	s_load_dwordx2 s[6:7], s[0:1], 0x0
	s_load_dwordx2 s[8:9], s[0:1], 0x28
	v_lshrrev_b32_e32 v1, 3, v0
	v_mov_b32_e32 v28, 0
	s_waitcnt lgkmcnt(0)
	s_mul_i32 s3, s2, s21
	v_add_u32_e32 v2, s3, v1
	v_cmp_gt_i32_e64 s[4:5], s7, v2
	v_cmp_gt_i32_e32 vcc, s21, v1
	s_and_b64 s[4:5], vcc, s[4:5]
	v_mov_b32_e32 v42, 0
	s_and_saveexec_b64 s[10:11], s[4:5]
	s_cbranch_execnz .LBB222_3
; %bb.1:
	s_or_b64 exec, exec, s[10:11]
	s_and_saveexec_b64 s[10:11], s[4:5]
	s_cbranch_execnz .LBB222_4
.LBB222_2:
	s_or_b64 exec, exec, s[10:11]
	s_cmp_lt_i32 s20, 1
	s_cbranch_scc0 .LBB222_5
	s_branch .LBB222_49
.LBB222_3:
	v_ashrrev_i32_e32 v3, 31, v2
	v_lshl_add_u64 v[4:5], v[2:3], 2, s[8:9]
	global_load_dword v3, v[4:5], off
	s_waitcnt vmcnt(0)
	v_subrev_u32_e32 v42, s23, v3
	s_or_b64 exec, exec, s[10:11]
	s_and_saveexec_b64 s[10:11], s[4:5]
	s_cbranch_execz .LBB222_2
.LBB222_4:
	v_ashrrev_i32_e32 v3, 31, v2
	v_lshl_add_u64 v[2:3], v[2:3], 2, s[8:9]
	global_load_dword v2, v[2:3], off offset:4
	s_waitcnt vmcnt(0)
	v_subrev_u32_e32 v28, s23, v2
	s_or_b64 exec, exec, s[10:11]
	s_cmp_lt_i32 s20, 1
	s_cbranch_scc1 .LBB222_49
.LBB222_5:
	s_load_dwordx4 s[8:11], s[0:1], 0x40
	s_load_dwordx2 s[28:29], s[0:1], 0x50
	s_load_dword s33, s[0:1], 0x38
	s_ashr_i32 s3, s2, 31
	s_lshl_b64 s[2:3], s[2:3], 2
	s_waitcnt lgkmcnt(0)
	s_add_u32 s2, s10, s2
	s_addc_u32 s3, s11, s3
	s_load_dword s4, s[2:3], 0x0
	s_load_dwordx2 s[30:31], s[0:1], 0x20
	s_load_dwordx2 s[34:35], s[0:1], 0x30
	v_mbcnt_lo_u32_b32 v2, -1, 0
	v_mbcnt_hi_u32_b32 v2, -1, v2
	s_waitcnt lgkmcnt(0)
	s_sub_i32 s36, s4, s33
	s_cmp_eq_u32 s6, 0
	s_cselect_b64 s[0:1], -1, 0
	s_ashr_i32 s68, s22, 31
	v_lshl_or_b32 v32, v2, 2, 28
	s_mul_hi_u32 s2, s22, s21
	s_mul_i32 s3, s68, s21
	v_mul_lo_u32 v2, v1, s22
	v_and_b32_e32 v29, 7, v0
	v_lshlrev_b32_e32 v30, 6, v1
	s_add_i32 s69, s2, s3
	v_lshlrev_b32_e32 v4, 4, v1
	v_mov_b32_e32 v5, 0
	v_ashrrev_i32_e32 v3, 31, v2
	s_movk_i32 s2, 0x80
	v_lshl_add_u64 v[6:7], s[8:9], 0, v[4:5]
	v_lshl_add_u64 v[2:3], v[2:3], 4, s[8:9]
	v_lshlrev_b32_e32 v33, 2, v0
	v_cmp_gt_u32_e64 s[2:3], s2, v0
	v_cmp_gt_u32_e64 s[4:5], 64, v0
	;; [unrolled: 1-line block ×7, first 2 shown]
	v_cmp_eq_u32_e64 s[16:17], 0, v0
	v_or_b32_e32 v0, v30, v29
	v_lshlrev_b32_e32 v34, 4, v0
	v_cmp_gt_u32_e64 s[18:19], s22, v29
	v_or_b32_e32 v0, 8, v29
	s_and_b64 s[38:39], vcc, s[18:19]
	v_cmp_gt_u32_e64 s[18:19], s22, v0
	v_or_b32_e32 v0, 16, v29
	s_and_b64 s[40:41], vcc, s[18:19]
	;; [unrolled: 3-line block ×3, first 2 shown]
	v_cmp_gt_u32_e64 s[18:19], s22, v0
	v_or_b32_e32 v0, 32, v29
	v_lshlrev_b32_e32 v4, 4, v29
	s_and_b64 s[44:45], vcc, s[18:19]
	v_cmp_gt_u32_e64 s[18:19], s22, v0
	v_or_b32_e32 v0, 40, v29
	s_mul_i32 s70, s22, s21
	v_lshl_add_u64 v[8:9], v[2:3], 0, v[4:5]
	v_mul_lo_u32 v4, v29, s21
	s_lshl_b32 s25, s21, 3
	s_and_b64 s[46:47], vcc, s[18:19]
	v_cmp_gt_u32_e64 s[18:19], s22, v0
	v_or_b32_e32 v0, 48, v29
	s_abs_i32 s21, s22
	s_and_b64 s[48:49], vcc, s[18:19]
	v_cmp_gt_u32_e64 s[18:19], s22, v0
	v_cvt_f32_u32_e32 v0, s21
	v_add_u32_e32 v10, s25, v4
	v_add_u32_e32 v12, s25, v10
	;; [unrolled: 1-line block ×3, first 2 shown]
	v_rcp_iflag_f32_e32 v0, v0
	v_or_b32_e32 v1, 56, v29
	v_add_u32_e32 v16, s25, v14
	s_and_b64 s[50:51], vcc, s[18:19]
	v_mul_f32_e32 v0, 0x4f7ffffe, v0
	v_cvt_u32_f32_e32 v0, v0
	v_cmp_gt_u32_e64 s[18:19], s22, v1
	v_add_u32_e32 v18, s25, v16
	s_and_b64 s[52:53], vcc, s[18:19]
	s_sub_i32 s18, 0, s21
	s_mov_b32 s24, 0
	v_add_u32_e32 v20, s25, v18
	v_mul_lo_u32 v1, s18, v0
	v_add_u32_e32 v22, s25, v20
	v_mul_hi_u32 v1, v0, v1
	s_mov_b32 s25, s24
	v_add_u32_e32 v43, v0, v1
	s_mov_b32 s26, s24
	s_mov_b32 s27, s24
	v_mov_b64_e32 v[0:1], s[24:25]
	v_mov_b32_e32 v31, 0
	v_or_b32_e32 v35, 0x80, v34
	v_or_b32_e32 v36, 0x100, v34
	;; [unrolled: 1-line block ×7, first 2 shown]
	v_mov_b32_e32 v11, v5
	v_mov_b32_e32 v13, v5
	;; [unrolled: 1-line block ×7, first 2 shown]
	v_mov_b64_e32 v[2:3], s[26:27]
	s_mov_b64 s[24:25], 0x80
	s_mov_b64 s[26:27], 0x100
	;; [unrolled: 1-line block ×7, first 2 shown]
	v_mov_b32_e32 v44, 1
	v_mov_b32_e32 v26, 0
	s_branch .LBB222_7
.LBB222_6:                              ;   in Loop: Header=BB222_7 Depth=1
	s_or_b64 exec, exec, s[18:19]
	s_waitcnt lgkmcnt(0)
	s_barrier
	ds_read_b32 v26, v5
	s_add_i32 s36, s37, s36
	s_waitcnt lgkmcnt(0)
	s_barrier
	v_cmp_gt_i32_e32 vcc, s20, v26
	s_cbranch_vccz .LBB222_49
.LBB222_7:                              ; =>This Loop Header: Depth=1
                                        ;     Child Loop BB222_10 Depth 2
	v_add_u32_e32 v24, v42, v29
	v_cmp_lt_i32_e32 vcc, v24, v28
	v_mov_b32_e32 v45, s20
	v_mov_b32_e32 v42, v28
	ds_write_b8 v5, v31 offset:32768
	ds_write_b128 v34, v[0:3]
	ds_write_b128 v34, v[0:3] offset:128
	ds_write_b128 v34, v[0:3] offset:256
	;; [unrolled: 1-line block ×7, first 2 shown]
	s_waitcnt lgkmcnt(0)
	s_barrier
	s_and_saveexec_b64 s[64:65], vcc
	s_cbranch_execz .LBB222_15
; %bb.8:                                ;   in Loop: Header=BB222_7 Depth=1
	v_mul_lo_u32 v27, v26, s22
	s_mov_b64 s[66:67], 0
	v_mov_b32_e32 v45, s20
	v_mov_b32_e32 v42, v28
	s_branch .LBB222_10
.LBB222_9:                              ;   in Loop: Header=BB222_10 Depth=2
	s_or_b64 exec, exec, s[18:19]
	v_add_u32_e32 v24, 8, v24
	v_cmp_ge_i32_e64 s[18:19], v24, v28
	s_xor_b64 s[72:73], vcc, -1
	s_or_b64 s[18:19], s[72:73], s[18:19]
	s_and_b64 s[18:19], exec, s[18:19]
	s_or_b64 s[66:67], s[18:19], s[66:67]
	s_andn2_b64 exec, exec, s[66:67]
	s_cbranch_execz .LBB222_14
.LBB222_10:                             ;   Parent Loop BB222_7 Depth=1
                                        ; =>  This Inner Loop Header: Depth=2
	v_ashrrev_i32_e32 v25, 31, v24
	v_lshl_add_u64 v[46:47], v[24:25], 2, s[34:35]
	global_load_dword v46, v[46:47], off
	s_waitcnt vmcnt(0)
	v_subrev_u32_e32 v46, s23, v46
	v_sub_u32_e32 v48, 0, v46
	v_max_i32_e32 v48, v46, v48
	v_mul_hi_u32 v49, v48, v43
	v_mul_lo_u32 v50, v49, s21
	v_sub_u32_e32 v48, v48, v50
	v_add_u32_e32 v51, 1, v49
	v_cmp_le_u32_e32 vcc, s21, v48
	v_subrev_u32_e32 v50, s21, v48
	v_ashrrev_i32_e32 v47, 31, v46
	v_cndmask_b32_e32 v49, v49, v51, vcc
	v_cndmask_b32_e32 v48, v48, v50, vcc
	v_add_u32_e32 v50, 1, v49
	v_cmp_le_u32_e32 vcc, s21, v48
	v_xor_b32_e32 v47, s68, v47
	s_nop 0
	v_cndmask_b32_e32 v48, v49, v50, vcc
	v_xor_b32_e32 v48, v48, v47
	v_sub_u32_e32 v48, v48, v47
	v_cmp_eq_u32_e32 vcc, v48, v26
	v_cmp_ne_u32_e64 s[18:19], v48, v26
	v_mov_b32_e32 v47, v42
	s_and_saveexec_b64 s[72:73], s[18:19]
	s_xor_b64 s[18:19], exec, s[72:73]
; %bb.11:                               ;   in Loop: Header=BB222_10 Depth=2
	v_min_i32_e32 v45, v48, v45
                                        ; implicit-def: $vgpr46
                                        ; implicit-def: $vgpr47
; %bb.12:                               ;   in Loop: Header=BB222_10 Depth=2
	s_or_saveexec_b64 s[18:19], s[18:19]
	v_mov_b32_e32 v42, v24
	s_xor_b64 exec, exec, s[18:19]
	s_cbranch_execz .LBB222_9
; %bb.13:                               ;   in Loop: Header=BB222_10 Depth=2
	v_lshl_add_u64 v[48:49], v[24:25], 4, s[30:31]
	global_load_dwordx4 v[48:51], v[48:49], off
	v_sub_u32_e32 v25, v46, v27
	v_add_lshl_u32 v25, v25, v30, 4
	v_mov_b32_e32 v42, v47
	ds_write_b8 v5, v44 offset:32768
	s_waitcnt vmcnt(0)
	ds_write2_b64 v25, v[48:49], v[50:51] offset1:1
	s_branch .LBB222_9
.LBB222_14:                             ;   in Loop: Header=BB222_7 Depth=1
	s_or_b64 exec, exec, s[66:67]
.LBB222_15:                             ;   in Loop: Header=BB222_7 Depth=1
	s_or_b64 exec, exec, s[64:65]
	v_mov_b32_dpp v24, v42 row_shr:1 row_mask:0xf bank_mask:0xf
	v_min_i32_e32 v24, v24, v42
	s_waitcnt lgkmcnt(0)
	s_barrier
	v_mov_b32_dpp v25, v24 row_shr:2 row_mask:0xf bank_mask:0xf
	v_min_i32_e32 v24, v25, v24
	ds_read_u8 v25, v5 offset:32768
	s_nop 0
	v_mov_b32_dpp v27, v24 row_shr:4 row_mask:0xf bank_mask:0xe
	v_min_i32_e32 v24, v27, v24
	ds_bpermute_b32 v42, v32, v24
	s_mov_b32 s37, 0
	s_waitcnt lgkmcnt(1)
	v_cmp_eq_u32_e32 vcc, 0, v25
	s_cbranch_vccnz .LBB222_26
; %bb.16:                               ;   in Loop: Header=BB222_7 Depth=1
	s_ashr_i32 s37, s36, 31
	s_lshl_b64 s[18:19], s[36:37], 2
	s_add_u32 s18, s28, s18
	v_add_u32_e32 v24, s33, v26
	s_addc_u32 s19, s29, s19
	global_store_dword v5, v24, s[18:19]
	s_mul_hi_u32 s18, s70, s36
	s_mul_i32 s19, s70, s37
	s_add_i32 s18, s18, s19
	s_mul_i32 s19, s69, s36
	s_add_i32 s19, s18, s19
	s_mul_i32 s18, s70, s36
	s_lshl_b64 s[18:19], s[18:19], 4
	v_lshl_add_u64 v[24:25], v[6:7], 0, s[18:19]
	v_lshl_add_u64 v[26:27], v[8:9], 0, s[18:19]
	s_and_saveexec_b64 s[18:19], s[38:39]
	s_cbranch_execnz .LBB222_42
; %bb.17:                               ;   in Loop: Header=BB222_7 Depth=1
	s_or_b64 exec, exec, s[18:19]
	s_and_saveexec_b64 s[18:19], s[40:41]
	s_cbranch_execnz .LBB222_43
.LBB222_18:                             ;   in Loop: Header=BB222_7 Depth=1
	s_or_b64 exec, exec, s[18:19]
	s_and_saveexec_b64 s[18:19], s[42:43]
	s_cbranch_execnz .LBB222_44
.LBB222_19:                             ;   in Loop: Header=BB222_7 Depth=1
	s_or_b64 exec, exec, s[18:19]
	s_and_saveexec_b64 s[18:19], s[44:45]
	s_cbranch_execnz .LBB222_45
.LBB222_20:                             ;   in Loop: Header=BB222_7 Depth=1
	s_or_b64 exec, exec, s[18:19]
	s_and_saveexec_b64 s[18:19], s[46:47]
	s_cbranch_execnz .LBB222_46
.LBB222_21:                             ;   in Loop: Header=BB222_7 Depth=1
	s_or_b64 exec, exec, s[18:19]
	s_and_saveexec_b64 s[18:19], s[48:49]
	s_cbranch_execnz .LBB222_47
.LBB222_22:                             ;   in Loop: Header=BB222_7 Depth=1
	s_or_b64 exec, exec, s[18:19]
	s_and_saveexec_b64 s[18:19], s[50:51]
	s_cbranch_execnz .LBB222_48
.LBB222_23:                             ;   in Loop: Header=BB222_7 Depth=1
	s_or_b64 exec, exec, s[18:19]
	s_and_saveexec_b64 s[18:19], s[52:53]
	s_cbranch_execz .LBB222_25
.LBB222_24:                             ;   in Loop: Header=BB222_7 Depth=1
	ds_read2_b64 v[46:49], v41 offset1:1
	v_lshl_add_u64 v[26:27], v[26:27], 0, s[62:63]
	v_lshl_add_u64 v[24:25], v[22:23], 4, v[24:25]
	v_cndmask_b32_e64 v25, v25, v27, s[0:1]
	v_cndmask_b32_e64 v24, v24, v26, s[0:1]
	s_waitcnt lgkmcnt(0)
	global_store_dwordx4 v[24:25], v[46:49], off
.LBB222_25:                             ;   in Loop: Header=BB222_7 Depth=1
	s_or_b64 exec, exec, s[18:19]
	s_mov_b32 s37, 1
.LBB222_26:                             ;   in Loop: Header=BB222_7 Depth=1
	s_waitcnt lgkmcnt(0)
	s_barrier
	ds_write_b32 v33, v45
	s_waitcnt lgkmcnt(0)
	s_barrier
	s_and_saveexec_b64 s[18:19], s[2:3]
	s_cbranch_execz .LBB222_28
; %bb.27:                               ;   in Loop: Header=BB222_7 Depth=1
	ds_read2st64_b32 v[24:25], v33 offset1:2
	s_waitcnt lgkmcnt(0)
	v_min_i32_e32 v24, v25, v24
	ds_write_b32 v33, v24
.LBB222_28:                             ;   in Loop: Header=BB222_7 Depth=1
	s_or_b64 exec, exec, s[18:19]
	s_waitcnt lgkmcnt(0)
	s_barrier
	s_and_saveexec_b64 s[18:19], s[4:5]
	s_cbranch_execz .LBB222_30
; %bb.29:                               ;   in Loop: Header=BB222_7 Depth=1
	ds_read2st64_b32 v[24:25], v33 offset1:1
	s_waitcnt lgkmcnt(0)
	v_min_i32_e32 v24, v25, v24
	ds_write_b32 v33, v24
.LBB222_30:                             ;   in Loop: Header=BB222_7 Depth=1
	s_or_b64 exec, exec, s[18:19]
	s_waitcnt lgkmcnt(0)
	s_barrier
	s_and_saveexec_b64 s[18:19], s[6:7]
	s_cbranch_execz .LBB222_32
; %bb.31:                               ;   in Loop: Header=BB222_7 Depth=1
	ds_read2_b32 v[24:25], v33 offset1:32
	s_waitcnt lgkmcnt(0)
	v_min_i32_e32 v24, v25, v24
	ds_write_b32 v33, v24
.LBB222_32:                             ;   in Loop: Header=BB222_7 Depth=1
	s_or_b64 exec, exec, s[18:19]
	s_waitcnt lgkmcnt(0)
	s_barrier
	s_and_saveexec_b64 s[18:19], s[8:9]
	s_cbranch_execz .LBB222_34
; %bb.33:                               ;   in Loop: Header=BB222_7 Depth=1
	ds_read2_b32 v[24:25], v33 offset1:16
	s_waitcnt lgkmcnt(0)
	v_min_i32_e32 v24, v25, v24
	ds_write_b32 v33, v24
.LBB222_34:                             ;   in Loop: Header=BB222_7 Depth=1
	;; [unrolled: 11-line block ×5, first 2 shown]
	s_or_b64 exec, exec, s[18:19]
	s_waitcnt lgkmcnt(0)
	s_barrier
	s_and_saveexec_b64 s[18:19], s[16:17]
	s_cbranch_execz .LBB222_6
; %bb.41:                               ;   in Loop: Header=BB222_7 Depth=1
	ds_read_b64 v[24:25], v5
	s_waitcnt lgkmcnt(0)
	v_min_i32_e32 v24, v25, v24
	ds_write_b32 v5, v24
	s_branch .LBB222_6
.LBB222_42:                             ;   in Loop: Header=BB222_7 Depth=1
	ds_read2_b64 v[46:49], v34 offset1:1
	v_lshl_add_u64 v[50:51], v[4:5], 4, v[24:25]
	v_cndmask_b32_e64 v51, v51, v27, s[0:1]
	v_cndmask_b32_e64 v50, v50, v26, s[0:1]
	s_waitcnt lgkmcnt(0)
	global_store_dwordx4 v[50:51], v[46:49], off
	s_or_b64 exec, exec, s[18:19]
	s_and_saveexec_b64 s[18:19], s[40:41]
	s_cbranch_execz .LBB222_18
.LBB222_43:                             ;   in Loop: Header=BB222_7 Depth=1
	ds_read2_b64 v[46:49], v35 offset1:1
	v_lshl_add_u64 v[50:51], v[26:27], 0, s[24:25]
	v_lshl_add_u64 v[52:53], v[10:11], 4, v[24:25]
	v_cndmask_b32_e64 v51, v53, v51, s[0:1]
	v_cndmask_b32_e64 v50, v52, v50, s[0:1]
	s_waitcnt lgkmcnt(0)
	global_store_dwordx4 v[50:51], v[46:49], off
	s_or_b64 exec, exec, s[18:19]
	s_and_saveexec_b64 s[18:19], s[42:43]
	s_cbranch_execz .LBB222_19
.LBB222_44:                             ;   in Loop: Header=BB222_7 Depth=1
	ds_read2_b64 v[46:49], v36 offset1:1
	v_lshl_add_u64 v[50:51], v[26:27], 0, s[26:27]
	v_lshl_add_u64 v[52:53], v[12:13], 4, v[24:25]
	v_cndmask_b32_e64 v51, v53, v51, s[0:1]
	v_cndmask_b32_e64 v50, v52, v50, s[0:1]
	s_waitcnt lgkmcnt(0)
	global_store_dwordx4 v[50:51], v[46:49], off
	s_or_b64 exec, exec, s[18:19]
	s_and_saveexec_b64 s[18:19], s[44:45]
	s_cbranch_execz .LBB222_20
.LBB222_45:                             ;   in Loop: Header=BB222_7 Depth=1
	ds_read2_b64 v[46:49], v37 offset1:1
	v_lshl_add_u64 v[50:51], v[26:27], 0, s[54:55]
	v_lshl_add_u64 v[52:53], v[14:15], 4, v[24:25]
	v_cndmask_b32_e64 v51, v53, v51, s[0:1]
	v_cndmask_b32_e64 v50, v52, v50, s[0:1]
	s_waitcnt lgkmcnt(0)
	global_store_dwordx4 v[50:51], v[46:49], off
	s_or_b64 exec, exec, s[18:19]
	s_and_saveexec_b64 s[18:19], s[46:47]
	s_cbranch_execz .LBB222_21
.LBB222_46:                             ;   in Loop: Header=BB222_7 Depth=1
	ds_read2_b64 v[46:49], v38 offset1:1
	v_lshl_add_u64 v[50:51], v[26:27], 0, s[56:57]
	v_lshl_add_u64 v[52:53], v[16:17], 4, v[24:25]
	v_cndmask_b32_e64 v51, v53, v51, s[0:1]
	v_cndmask_b32_e64 v50, v52, v50, s[0:1]
	s_waitcnt lgkmcnt(0)
	global_store_dwordx4 v[50:51], v[46:49], off
	s_or_b64 exec, exec, s[18:19]
	s_and_saveexec_b64 s[18:19], s[48:49]
	s_cbranch_execz .LBB222_22
.LBB222_47:                             ;   in Loop: Header=BB222_7 Depth=1
	ds_read2_b64 v[46:49], v39 offset1:1
	v_lshl_add_u64 v[50:51], v[26:27], 0, s[58:59]
	v_lshl_add_u64 v[52:53], v[18:19], 4, v[24:25]
	v_cndmask_b32_e64 v51, v53, v51, s[0:1]
	v_cndmask_b32_e64 v50, v52, v50, s[0:1]
	s_waitcnt lgkmcnt(0)
	global_store_dwordx4 v[50:51], v[46:49], off
	s_or_b64 exec, exec, s[18:19]
	s_and_saveexec_b64 s[18:19], s[50:51]
	s_cbranch_execz .LBB222_23
.LBB222_48:                             ;   in Loop: Header=BB222_7 Depth=1
	ds_read2_b64 v[46:49], v40 offset1:1
	v_lshl_add_u64 v[50:51], v[26:27], 0, s[60:61]
	v_lshl_add_u64 v[52:53], v[20:21], 4, v[24:25]
	v_cndmask_b32_e64 v51, v53, v51, s[0:1]
	v_cndmask_b32_e64 v50, v52, v50, s[0:1]
	s_waitcnt lgkmcnt(0)
	global_store_dwordx4 v[50:51], v[46:49], off
	s_or_b64 exec, exec, s[18:19]
	s_and_saveexec_b64 s[18:19], s[52:53]
	s_cbranch_execnz .LBB222_24
	s_branch .LBB222_25
.LBB222_49:
	s_endpgm
	.section	.rodata,"a",@progbits
	.p2align	6, 0x0
	.amdhsa_kernel _ZN9rocsparseL40csr2gebsr_block_per_row_multipass_kernelILj256ELj32ELj64E21rocsparse_complex_numIdEEEv20rocsparse_direction_iiiiii21rocsparse_index_base_PKT2_PKiS9_S4_PS5_PiSB_
		.amdhsa_group_segment_fixed_size 32776
		.amdhsa_private_segment_fixed_size 0
		.amdhsa_kernarg_size 88
		.amdhsa_user_sgpr_count 2
		.amdhsa_user_sgpr_dispatch_ptr 0
		.amdhsa_user_sgpr_queue_ptr 0
		.amdhsa_user_sgpr_kernarg_segment_ptr 1
		.amdhsa_user_sgpr_dispatch_id 0
		.amdhsa_user_sgpr_kernarg_preload_length 0
		.amdhsa_user_sgpr_kernarg_preload_offset 0
		.amdhsa_user_sgpr_private_segment_size 0
		.amdhsa_uses_dynamic_stack 0
		.amdhsa_enable_private_segment 0
		.amdhsa_system_sgpr_workgroup_id_x 1
		.amdhsa_system_sgpr_workgroup_id_y 0
		.amdhsa_system_sgpr_workgroup_id_z 0
		.amdhsa_system_sgpr_workgroup_info 0
		.amdhsa_system_vgpr_workitem_id 0
		.amdhsa_next_free_vgpr 54
		.amdhsa_next_free_sgpr 74
		.amdhsa_accum_offset 56
		.amdhsa_reserve_vcc 1
		.amdhsa_float_round_mode_32 0
		.amdhsa_float_round_mode_16_64 0
		.amdhsa_float_denorm_mode_32 3
		.amdhsa_float_denorm_mode_16_64 3
		.amdhsa_dx10_clamp 1
		.amdhsa_ieee_mode 1
		.amdhsa_fp16_overflow 0
		.amdhsa_tg_split 0
		.amdhsa_exception_fp_ieee_invalid_op 0
		.amdhsa_exception_fp_denorm_src 0
		.amdhsa_exception_fp_ieee_div_zero 0
		.amdhsa_exception_fp_ieee_overflow 0
		.amdhsa_exception_fp_ieee_underflow 0
		.amdhsa_exception_fp_ieee_inexact 0
		.amdhsa_exception_int_div_zero 0
	.end_amdhsa_kernel
	.section	.text._ZN9rocsparseL40csr2gebsr_block_per_row_multipass_kernelILj256ELj32ELj64E21rocsparse_complex_numIdEEEv20rocsparse_direction_iiiiii21rocsparse_index_base_PKT2_PKiS9_S4_PS5_PiSB_,"axG",@progbits,_ZN9rocsparseL40csr2gebsr_block_per_row_multipass_kernelILj256ELj32ELj64E21rocsparse_complex_numIdEEEv20rocsparse_direction_iiiiii21rocsparse_index_base_PKT2_PKiS9_S4_PS5_PiSB_,comdat
.Lfunc_end222:
	.size	_ZN9rocsparseL40csr2gebsr_block_per_row_multipass_kernelILj256ELj32ELj64E21rocsparse_complex_numIdEEEv20rocsparse_direction_iiiiii21rocsparse_index_base_PKT2_PKiS9_S4_PS5_PiSB_, .Lfunc_end222-_ZN9rocsparseL40csr2gebsr_block_per_row_multipass_kernelILj256ELj32ELj64E21rocsparse_complex_numIdEEEv20rocsparse_direction_iiiiii21rocsparse_index_base_PKT2_PKiS9_S4_PS5_PiSB_
                                        ; -- End function
	.section	.AMDGPU.csdata,"",@progbits
; Kernel info:
; codeLenInByte = 2380
; NumSgprs: 80
; NumVgprs: 54
; NumAgprs: 0
; TotalNumVgprs: 54
; ScratchSize: 0
; MemoryBound: 0
; FloatMode: 240
; IeeeMode: 1
; LDSByteSize: 32776 bytes/workgroup (compile time only)
; SGPRBlocks: 9
; VGPRBlocks: 6
; NumSGPRsForWavesPerEU: 80
; NumVGPRsForWavesPerEU: 54
; AccumOffset: 56
; Occupancy: 1
; WaveLimiterHint : 0
; COMPUTE_PGM_RSRC2:SCRATCH_EN: 0
; COMPUTE_PGM_RSRC2:USER_SGPR: 2
; COMPUTE_PGM_RSRC2:TRAP_HANDLER: 0
; COMPUTE_PGM_RSRC2:TGID_X_EN: 1
; COMPUTE_PGM_RSRC2:TGID_Y_EN: 0
; COMPUTE_PGM_RSRC2:TGID_Z_EN: 0
; COMPUTE_PGM_RSRC2:TIDIG_COMP_CNT: 0
; COMPUTE_PGM_RSRC3_GFX90A:ACCUM_OFFSET: 13
; COMPUTE_PGM_RSRC3_GFX90A:TG_SPLIT: 0
	.section	.text._ZN9rocsparseL40csr2gebsr_block_per_row_multipass_kernelILj128ELj64ELj2E21rocsparse_complex_numIdEEEv20rocsparse_direction_iiiiii21rocsparse_index_base_PKT2_PKiS9_S4_PS5_PiSB_,"axG",@progbits,_ZN9rocsparseL40csr2gebsr_block_per_row_multipass_kernelILj128ELj64ELj2E21rocsparse_complex_numIdEEEv20rocsparse_direction_iiiiii21rocsparse_index_base_PKT2_PKiS9_S4_PS5_PiSB_,comdat
	.globl	_ZN9rocsparseL40csr2gebsr_block_per_row_multipass_kernelILj128ELj64ELj2E21rocsparse_complex_numIdEEEv20rocsparse_direction_iiiiii21rocsparse_index_base_PKT2_PKiS9_S4_PS5_PiSB_ ; -- Begin function _ZN9rocsparseL40csr2gebsr_block_per_row_multipass_kernelILj128ELj64ELj2E21rocsparse_complex_numIdEEEv20rocsparse_direction_iiiiii21rocsparse_index_base_PKT2_PKiS9_S4_PS5_PiSB_
	.p2align	8
	.type	_ZN9rocsparseL40csr2gebsr_block_per_row_multipass_kernelILj128ELj64ELj2E21rocsparse_complex_numIdEEEv20rocsparse_direction_iiiiii21rocsparse_index_base_PKT2_PKiS9_S4_PS5_PiSB_,@function
_ZN9rocsparseL40csr2gebsr_block_per_row_multipass_kernelILj128ELj64ELj2E21rocsparse_complex_numIdEEEv20rocsparse_direction_iiiiii21rocsparse_index_base_PKT2_PKiS9_S4_PS5_PiSB_: ; @_ZN9rocsparseL40csr2gebsr_block_per_row_multipass_kernelILj128ELj64ELj2E21rocsparse_complex_numIdEEEv20rocsparse_direction_iiiiii21rocsparse_index_base_PKT2_PKiS9_S4_PS5_PiSB_
; %bb.0:
	s_load_dwordx4 s[16:19], s[0:1], 0x10
	s_load_dwordx2 s[8:9], s[0:1], 0x0
	s_load_dwordx2 s[6:7], s[0:1], 0x28
	v_lshrrev_b32_e32 v1, 1, v0
	v_mov_b32_e32 v8, 0
	s_waitcnt lgkmcnt(0)
	s_mul_i32 s3, s2, s17
	v_add_u32_e32 v2, s3, v1
	v_cmp_gt_i32_e64 s[4:5], s9, v2
	v_cmp_gt_i32_e32 vcc, s17, v1
	s_and_b64 s[4:5], vcc, s[4:5]
	v_mov_b32_e32 v6, 0
	s_and_saveexec_b64 s[10:11], s[4:5]
	s_cbranch_execnz .LBB223_3
; %bb.1:
	s_or_b64 exec, exec, s[10:11]
	s_and_saveexec_b64 s[10:11], s[4:5]
	s_cbranch_execnz .LBB223_4
.LBB223_2:
	s_or_b64 exec, exec, s[10:11]
	s_cmp_lt_i32 s16, 1
	s_cbranch_scc0 .LBB223_5
	s_branch .LBB223_33
.LBB223_3:
	v_ashrrev_i32_e32 v3, 31, v2
	v_lshl_add_u64 v[4:5], v[2:3], 2, s[6:7]
	global_load_dword v3, v[4:5], off
	s_waitcnt vmcnt(0)
	v_subrev_u32_e32 v6, s19, v3
	s_or_b64 exec, exec, s[10:11]
	s_and_saveexec_b64 s[10:11], s[4:5]
	s_cbranch_execz .LBB223_2
.LBB223_4:
	v_ashrrev_i32_e32 v3, 31, v2
	v_lshl_add_u64 v[2:3], v[2:3], 2, s[6:7]
	global_load_dword v2, v[2:3], off offset:4
	s_waitcnt vmcnt(0)
	v_subrev_u32_e32 v8, s19, v2
	s_or_b64 exec, exec, s[10:11]
	s_cmp_lt_i32 s16, 1
	s_cbranch_scc1 .LBB223_33
.LBB223_5:
	s_load_dwordx4 s[4:7], s[0:1], 0x40
	s_load_dwordx2 s[20:21], s[0:1], 0x50
	s_load_dword s33, s[0:1], 0x38
	s_ashr_i32 s3, s2, 31
	s_lshl_b64 s[2:3], s[2:3], 2
	s_waitcnt lgkmcnt(0)
	s_add_u32 s2, s6, s2
	s_addc_u32 s3, s7, s3
	s_load_dword s6, s[2:3], 0x0
	s_load_dwordx2 s[22:23], s[0:1], 0x20
	s_load_dwordx2 s[24:25], s[0:1], 0x30
	v_and_b32_e32 v9, 1, v0
	v_cmp_gt_u32_e64 s[0:1], s18, v9
	s_waitcnt lgkmcnt(0)
	s_sub_i32 s26, s6, s33
	v_mov_b32_e32 v2, 0
	s_and_b64 s[28:29], vcc, s[0:1]
	s_cmp_eq_u32 s8, 0
	v_mul_lo_u32 v4, v9, s17
	v_mov_b32_e32 v5, v2
	v_lshl_add_u64 v[4:5], v[4:5], 4, s[4:5]
	v_lshlrev_b32_e32 v14, 4, v1
	v_mov_b32_e32 v15, v2
	s_cselect_b64 vcc, -1, 0
	s_abs_i32 s38, s18
	v_lshl_add_u64 v[4:5], v[4:5], 0, v[14:15]
	v_mul_lo_u32 v14, v1, s18
	v_cvt_f32_u32_e32 v1, s38
	s_ashr_i32 s36, s18, 31
	v_mbcnt_lo_u32_b32 v3, -1, 0
	v_ashrrev_i32_e32 v15, 31, v14
	v_rcp_iflag_f32_e32 v1, v1
	s_mul_hi_u32 s0, s18, s17
	s_mul_i32 s1, s36, s17
	v_lshlrev_b32_e32 v10, 4, v0
	v_and_b32_e32 v11, 0x7e, v0
	v_mbcnt_hi_u32_b32 v3, -1, v3
	v_lshl_add_u64 v[14:15], v[14:15], 4, s[4:5]
	s_add_i32 s37, s0, s1
	v_mul_i32_i24_e32 v7, -12, v0
	v_cmp_gt_u32_e64 s[0:1], 64, v0
	v_cmp_gt_u32_e64 s[2:3], 32, v0
	;; [unrolled: 1-line block ×6, first 2 shown]
	v_cmp_eq_u32_e64 s[12:13], 0, v0
	v_mul_f32_e32 v0, 0x4f7ffffe, v1
	v_lshl_or_b32 v12, v3, 2, 4
	v_cvt_u32_f32_e32 v3, v0
	v_lshlrev_b32_e32 v16, 4, v9
	v_mov_b32_e32 v17, v2
	v_lshl_add_u64 v[14:15], v[14:15], 0, v[16:17]
	s_sub_i32 s14, 0, s38
	v_cndmask_b32_e32 v0, v4, v14, vcc
	v_mul_lo_u32 v4, s14, v3
	v_mul_hi_u32 v4, v3, v4
	s_mul_i32 s17, s18, s17
	v_cndmask_b32_e32 v1, v5, v15, vcc
	v_add_u32_e32 v13, v3, v4
	v_mov_b32_e32 v3, v2
	v_mov_b32_e32 v4, v2
	;; [unrolled: 1-line block ×3, first 2 shown]
	v_add_u32_e32 v14, v10, v7
	v_mov_b32_e32 v15, 1
	s_branch .LBB223_7
.LBB223_6:                              ;   in Loop: Header=BB223_7 Depth=1
	s_or_b64 exec, exec, s[14:15]
	s_waitcnt lgkmcnt(0)
	s_barrier
	ds_read_b32 v17, v2
	s_add_i32 s26, s27, s26
	s_waitcnt lgkmcnt(0)
	s_barrier
	v_cmp_gt_i32_e32 vcc, s16, v17
	s_cbranch_vccz .LBB223_33
.LBB223_7:                              ; =>This Loop Header: Depth=1
                                        ;     Child Loop BB223_10 Depth 2
	v_add_u32_e32 v6, v6, v9
	v_cmp_lt_i32_e32 vcc, v6, v8
	v_mov_b32_e32 v16, s16
	v_mov_b32_e32 v19, v8
	ds_write_b8 v2, v2 offset:2048
	ds_write_b128 v10, v[2:5]
	s_waitcnt lgkmcnt(0)
	s_barrier
	s_and_saveexec_b64 s[30:31], vcc
	s_cbranch_execz .LBB223_15
; %bb.8:                                ;   in Loop: Header=BB223_7 Depth=1
	v_mul_lo_u32 v18, v17, s18
	s_mov_b64 s[34:35], 0
	v_mov_b32_e32 v16, s16
	v_mov_b32_e32 v19, v8
	s_branch .LBB223_10
.LBB223_9:                              ;   in Loop: Header=BB223_10 Depth=2
	s_or_b64 exec, exec, s[14:15]
	v_add_u32_e32 v6, 2, v6
	v_cmp_ge_i32_e64 s[14:15], v6, v8
	s_xor_b64 s[40:41], vcc, -1
	s_or_b64 s[14:15], s[40:41], s[14:15]
	s_and_b64 s[14:15], exec, s[14:15]
	s_or_b64 s[34:35], s[14:15], s[34:35]
	s_andn2_b64 exec, exec, s[34:35]
	s_cbranch_execz .LBB223_14
.LBB223_10:                             ;   Parent Loop BB223_7 Depth=1
                                        ; =>  This Inner Loop Header: Depth=2
	v_ashrrev_i32_e32 v7, 31, v6
	v_lshl_add_u64 v[20:21], v[6:7], 2, s[24:25]
	global_load_dword v20, v[20:21], off
	s_waitcnt vmcnt(0)
	v_subrev_u32_e32 v20, s19, v20
	v_sub_u32_e32 v22, 0, v20
	v_max_i32_e32 v22, v20, v22
	v_mul_hi_u32 v23, v22, v13
	v_mul_lo_u32 v24, v23, s38
	v_sub_u32_e32 v22, v22, v24
	v_add_u32_e32 v25, 1, v23
	v_cmp_le_u32_e32 vcc, s38, v22
	v_subrev_u32_e32 v24, s38, v22
	v_ashrrev_i32_e32 v21, 31, v20
	v_cndmask_b32_e32 v23, v23, v25, vcc
	v_cndmask_b32_e32 v22, v22, v24, vcc
	v_add_u32_e32 v24, 1, v23
	v_cmp_le_u32_e32 vcc, s38, v22
	v_xor_b32_e32 v21, s36, v21
	s_nop 0
	v_cndmask_b32_e32 v22, v23, v24, vcc
	v_xor_b32_e32 v22, v22, v21
	v_sub_u32_e32 v22, v22, v21
	v_cmp_eq_u32_e32 vcc, v22, v17
	v_cmp_ne_u32_e64 s[14:15], v22, v17
	v_mov_b32_e32 v21, v19
	s_and_saveexec_b64 s[40:41], s[14:15]
	s_xor_b64 s[14:15], exec, s[40:41]
; %bb.11:                               ;   in Loop: Header=BB223_10 Depth=2
	v_min_i32_e32 v16, v22, v16
                                        ; implicit-def: $vgpr20
                                        ; implicit-def: $vgpr21
; %bb.12:                               ;   in Loop: Header=BB223_10 Depth=2
	s_or_saveexec_b64 s[14:15], s[14:15]
	v_mov_b32_e32 v19, v6
	s_xor_b64 exec, exec, s[14:15]
	s_cbranch_execz .LBB223_9
; %bb.13:                               ;   in Loop: Header=BB223_10 Depth=2
	v_lshl_add_u64 v[22:23], v[6:7], 4, s[22:23]
	global_load_dwordx4 v[22:25], v[22:23], off
	v_sub_u32_e32 v7, v20, v18
	v_add_lshl_u32 v7, v7, v11, 4
	v_mov_b32_e32 v19, v21
	ds_write_b8 v2, v15 offset:2048
	s_waitcnt vmcnt(0)
	ds_write2_b64 v7, v[22:23], v[24:25] offset1:1
	s_branch .LBB223_9
.LBB223_14:                             ;   in Loop: Header=BB223_7 Depth=1
	s_or_b64 exec, exec, s[34:35]
.LBB223_15:                             ;   in Loop: Header=BB223_7 Depth=1
	s_or_b64 exec, exec, s[30:31]
	s_waitcnt lgkmcnt(0)
	s_barrier
	ds_read_u8 v7, v2 offset:2048
	v_mov_b32_dpp v6, v19 row_shr:1 row_mask:0xf bank_mask:0xf
	v_min_i32_e32 v6, v6, v19
	ds_bpermute_b32 v6, v12, v6
	s_mov_b32 s27, 0
	s_waitcnt lgkmcnt(1)
	v_cmp_eq_u32_e32 vcc, 0, v7
	s_cbranch_vccnz .LBB223_19
; %bb.16:                               ;   in Loop: Header=BB223_7 Depth=1
	s_ashr_i32 s27, s26, 31
	s_lshl_b64 s[14:15], s[26:27], 2
	s_add_u32 s14, s20, s14
	v_add_u32_e32 v7, s33, v17
	s_addc_u32 s15, s21, s15
	global_store_dword v2, v7, s[14:15]
	s_and_saveexec_b64 s[14:15], s[28:29]
	s_cbranch_execz .LBB223_18
; %bb.17:                               ;   in Loop: Header=BB223_7 Depth=1
	ds_read2_b64 v[18:21], v10 offset1:1
	s_mul_i32 s27, s17, s27
	s_mul_hi_u32 s30, s17, s26
	s_add_i32 s27, s30, s27
	s_mul_i32 s30, s37, s26
	s_add_i32 s31, s27, s30
	s_mul_i32 s30, s17, s26
	v_lshl_add_u64 v[22:23], s[30:31], 4, v[0:1]
	s_waitcnt lgkmcnt(0)
	global_store_dwordx4 v[22:23], v[18:21], off
.LBB223_18:                             ;   in Loop: Header=BB223_7 Depth=1
	s_or_b64 exec, exec, s[14:15]
	s_mov_b32 s27, 1
.LBB223_19:                             ;   in Loop: Header=BB223_7 Depth=1
	s_waitcnt lgkmcnt(0)
	s_barrier
	ds_write_b32 v14, v16
	s_waitcnt lgkmcnt(0)
	s_barrier
	s_and_saveexec_b64 s[14:15], s[0:1]
	s_cbranch_execz .LBB223_21
; %bb.20:                               ;   in Loop: Header=BB223_7 Depth=1
	ds_read2st64_b32 v[16:17], v14 offset1:1
	s_waitcnt lgkmcnt(0)
	v_min_i32_e32 v7, v17, v16
	ds_write_b32 v14, v7
.LBB223_21:                             ;   in Loop: Header=BB223_7 Depth=1
	s_or_b64 exec, exec, s[14:15]
	s_waitcnt lgkmcnt(0)
	s_barrier
	s_and_saveexec_b64 s[14:15], s[2:3]
	s_cbranch_execz .LBB223_23
; %bb.22:                               ;   in Loop: Header=BB223_7 Depth=1
	ds_read2_b32 v[16:17], v14 offset1:32
	s_waitcnt lgkmcnt(0)
	v_min_i32_e32 v7, v17, v16
	ds_write_b32 v14, v7
.LBB223_23:                             ;   in Loop: Header=BB223_7 Depth=1
	s_or_b64 exec, exec, s[14:15]
	s_waitcnt lgkmcnt(0)
	s_barrier
	s_and_saveexec_b64 s[14:15], s[4:5]
	s_cbranch_execz .LBB223_25
; %bb.24:                               ;   in Loop: Header=BB223_7 Depth=1
	ds_read2_b32 v[16:17], v14 offset1:16
	s_waitcnt lgkmcnt(0)
	v_min_i32_e32 v7, v17, v16
	ds_write_b32 v14, v7
.LBB223_25:                             ;   in Loop: Header=BB223_7 Depth=1
	;; [unrolled: 11-line block ×5, first 2 shown]
	s_or_b64 exec, exec, s[14:15]
	s_waitcnt lgkmcnt(0)
	s_barrier
	s_and_saveexec_b64 s[14:15], s[12:13]
	s_cbranch_execz .LBB223_6
; %bb.32:                               ;   in Loop: Header=BB223_7 Depth=1
	ds_read_b64 v[16:17], v2
	s_waitcnt lgkmcnt(0)
	v_min_i32_e32 v7, v17, v16
	ds_write_b32 v2, v7
	s_branch .LBB223_6
.LBB223_33:
	s_endpgm
	.section	.rodata,"a",@progbits
	.p2align	6, 0x0
	.amdhsa_kernel _ZN9rocsparseL40csr2gebsr_block_per_row_multipass_kernelILj128ELj64ELj2E21rocsparse_complex_numIdEEEv20rocsparse_direction_iiiiii21rocsparse_index_base_PKT2_PKiS9_S4_PS5_PiSB_
		.amdhsa_group_segment_fixed_size 2056
		.amdhsa_private_segment_fixed_size 0
		.amdhsa_kernarg_size 88
		.amdhsa_user_sgpr_count 2
		.amdhsa_user_sgpr_dispatch_ptr 0
		.amdhsa_user_sgpr_queue_ptr 0
		.amdhsa_user_sgpr_kernarg_segment_ptr 1
		.amdhsa_user_sgpr_dispatch_id 0
		.amdhsa_user_sgpr_kernarg_preload_length 0
		.amdhsa_user_sgpr_kernarg_preload_offset 0
		.amdhsa_user_sgpr_private_segment_size 0
		.amdhsa_uses_dynamic_stack 0
		.amdhsa_enable_private_segment 0
		.amdhsa_system_sgpr_workgroup_id_x 1
		.amdhsa_system_sgpr_workgroup_id_y 0
		.amdhsa_system_sgpr_workgroup_id_z 0
		.amdhsa_system_sgpr_workgroup_info 0
		.amdhsa_system_vgpr_workitem_id 0
		.amdhsa_next_free_vgpr 26
		.amdhsa_next_free_sgpr 42
		.amdhsa_accum_offset 28
		.amdhsa_reserve_vcc 1
		.amdhsa_float_round_mode_32 0
		.amdhsa_float_round_mode_16_64 0
		.amdhsa_float_denorm_mode_32 3
		.amdhsa_float_denorm_mode_16_64 3
		.amdhsa_dx10_clamp 1
		.amdhsa_ieee_mode 1
		.amdhsa_fp16_overflow 0
		.amdhsa_tg_split 0
		.amdhsa_exception_fp_ieee_invalid_op 0
		.amdhsa_exception_fp_denorm_src 0
		.amdhsa_exception_fp_ieee_div_zero 0
		.amdhsa_exception_fp_ieee_overflow 0
		.amdhsa_exception_fp_ieee_underflow 0
		.amdhsa_exception_fp_ieee_inexact 0
		.amdhsa_exception_int_div_zero 0
	.end_amdhsa_kernel
	.section	.text._ZN9rocsparseL40csr2gebsr_block_per_row_multipass_kernelILj128ELj64ELj2E21rocsparse_complex_numIdEEEv20rocsparse_direction_iiiiii21rocsparse_index_base_PKT2_PKiS9_S4_PS5_PiSB_,"axG",@progbits,_ZN9rocsparseL40csr2gebsr_block_per_row_multipass_kernelILj128ELj64ELj2E21rocsparse_complex_numIdEEEv20rocsparse_direction_iiiiii21rocsparse_index_base_PKT2_PKiS9_S4_PS5_PiSB_,comdat
.Lfunc_end223:
	.size	_ZN9rocsparseL40csr2gebsr_block_per_row_multipass_kernelILj128ELj64ELj2E21rocsparse_complex_numIdEEEv20rocsparse_direction_iiiiii21rocsparse_index_base_PKT2_PKiS9_S4_PS5_PiSB_, .Lfunc_end223-_ZN9rocsparseL40csr2gebsr_block_per_row_multipass_kernelILj128ELj64ELj2E21rocsparse_complex_numIdEEEv20rocsparse_direction_iiiiii21rocsparse_index_base_PKT2_PKiS9_S4_PS5_PiSB_
                                        ; -- End function
	.section	.AMDGPU.csdata,"",@progbits
; Kernel info:
; codeLenInByte = 1396
; NumSgprs: 48
; NumVgprs: 26
; NumAgprs: 0
; TotalNumVgprs: 26
; ScratchSize: 0
; MemoryBound: 0
; FloatMode: 240
; IeeeMode: 1
; LDSByteSize: 2056 bytes/workgroup (compile time only)
; SGPRBlocks: 5
; VGPRBlocks: 3
; NumSGPRsForWavesPerEU: 48
; NumVGPRsForWavesPerEU: 26
; AccumOffset: 28
; Occupancy: 8
; WaveLimiterHint : 0
; COMPUTE_PGM_RSRC2:SCRATCH_EN: 0
; COMPUTE_PGM_RSRC2:USER_SGPR: 2
; COMPUTE_PGM_RSRC2:TRAP_HANDLER: 0
; COMPUTE_PGM_RSRC2:TGID_X_EN: 1
; COMPUTE_PGM_RSRC2:TGID_Y_EN: 0
; COMPUTE_PGM_RSRC2:TGID_Z_EN: 0
; COMPUTE_PGM_RSRC2:TIDIG_COMP_CNT: 0
; COMPUTE_PGM_RSRC3_GFX90A:ACCUM_OFFSET: 6
; COMPUTE_PGM_RSRC3_GFX90A:TG_SPLIT: 0
	.section	.text._ZN9rocsparseL40csr2gebsr_block_per_row_multipass_kernelILj256ELj64ELj4E21rocsparse_complex_numIdEEEv20rocsparse_direction_iiiiii21rocsparse_index_base_PKT2_PKiS9_S4_PS5_PiSB_,"axG",@progbits,_ZN9rocsparseL40csr2gebsr_block_per_row_multipass_kernelILj256ELj64ELj4E21rocsparse_complex_numIdEEEv20rocsparse_direction_iiiiii21rocsparse_index_base_PKT2_PKiS9_S4_PS5_PiSB_,comdat
	.globl	_ZN9rocsparseL40csr2gebsr_block_per_row_multipass_kernelILj256ELj64ELj4E21rocsparse_complex_numIdEEEv20rocsparse_direction_iiiiii21rocsparse_index_base_PKT2_PKiS9_S4_PS5_PiSB_ ; -- Begin function _ZN9rocsparseL40csr2gebsr_block_per_row_multipass_kernelILj256ELj64ELj4E21rocsparse_complex_numIdEEEv20rocsparse_direction_iiiiii21rocsparse_index_base_PKT2_PKiS9_S4_PS5_PiSB_
	.p2align	8
	.type	_ZN9rocsparseL40csr2gebsr_block_per_row_multipass_kernelILj256ELj64ELj4E21rocsparse_complex_numIdEEEv20rocsparse_direction_iiiiii21rocsparse_index_base_PKT2_PKiS9_S4_PS5_PiSB_,@function
_ZN9rocsparseL40csr2gebsr_block_per_row_multipass_kernelILj256ELj64ELj4E21rocsparse_complex_numIdEEEv20rocsparse_direction_iiiiii21rocsparse_index_base_PKT2_PKiS9_S4_PS5_PiSB_: ; @_ZN9rocsparseL40csr2gebsr_block_per_row_multipass_kernelILj256ELj64ELj4E21rocsparse_complex_numIdEEEv20rocsparse_direction_iiiiii21rocsparse_index_base_PKT2_PKiS9_S4_PS5_PiSB_
; %bb.0:
	s_load_dwordx4 s[20:23], s[0:1], 0x10
	s_load_dwordx2 s[8:9], s[0:1], 0x0
	s_load_dwordx2 s[6:7], s[0:1], 0x28
	v_lshrrev_b32_e32 v1, 2, v0
	v_mov_b32_e32 v8, 0
	s_waitcnt lgkmcnt(0)
	s_mul_i32 s3, s2, s21
	v_add_u32_e32 v2, s3, v1
	v_cmp_gt_i32_e64 s[4:5], s9, v2
	v_cmp_gt_i32_e32 vcc, s21, v1
	s_and_b64 s[4:5], vcc, s[4:5]
	v_mov_b32_e32 v6, 0
	s_and_saveexec_b64 s[10:11], s[4:5]
	s_cbranch_execnz .LBB224_3
; %bb.1:
	s_or_b64 exec, exec, s[10:11]
	s_and_saveexec_b64 s[10:11], s[4:5]
	s_cbranch_execnz .LBB224_4
.LBB224_2:
	s_or_b64 exec, exec, s[10:11]
	s_cmp_lt_i32 s20, 1
	s_cbranch_scc0 .LBB224_5
	s_branch .LBB224_35
.LBB224_3:
	v_ashrrev_i32_e32 v3, 31, v2
	v_lshl_add_u64 v[4:5], v[2:3], 2, s[6:7]
	global_load_dword v3, v[4:5], off
	s_waitcnt vmcnt(0)
	v_subrev_u32_e32 v6, s23, v3
	s_or_b64 exec, exec, s[10:11]
	s_and_saveexec_b64 s[10:11], s[4:5]
	s_cbranch_execz .LBB224_2
.LBB224_4:
	v_ashrrev_i32_e32 v3, 31, v2
	v_lshl_add_u64 v[2:3], v[2:3], 2, s[6:7]
	global_load_dword v2, v[2:3], off offset:4
	s_waitcnt vmcnt(0)
	v_subrev_u32_e32 v8, s23, v2
	s_or_b64 exec, exec, s[10:11]
	s_cmp_lt_i32 s20, 1
	s_cbranch_scc1 .LBB224_35
.LBB224_5:
	s_load_dwordx4 s[4:7], s[0:1], 0x40
	s_load_dwordx2 s[18:19], s[0:1], 0x50
	s_load_dword s33, s[0:1], 0x38
	s_ashr_i32 s3, s2, 31
	s_lshl_b64 s[2:3], s[2:3], 2
	s_waitcnt lgkmcnt(0)
	s_add_u32 s2, s6, s2
	s_addc_u32 s3, s7, s3
	s_load_dword s6, s[2:3], 0x0
	s_load_dwordx2 s[24:25], s[0:1], 0x20
	s_load_dwordx2 s[26:27], s[0:1], 0x30
	v_and_b32_e32 v9, 3, v0
	v_cmp_gt_u32_e64 s[0:1], s22, v9
	s_waitcnt lgkmcnt(0)
	s_sub_i32 s28, s6, s33
	v_mov_b32_e32 v2, 0
	s_and_b64 s[30:31], vcc, s[0:1]
	s_cmp_eq_u32 s8, 0
	v_mul_lo_u32 v4, v9, s21
	v_mov_b32_e32 v5, v2
	v_lshl_add_u64 v[4:5], v[4:5], 4, s[4:5]
	v_lshlrev_b32_e32 v14, 4, v1
	v_mov_b32_e32 v15, v2
	s_cselect_b64 vcc, -1, 0
	s_abs_i32 s40, s22
	v_lshl_add_u64 v[4:5], v[4:5], 0, v[14:15]
	v_mul_lo_u32 v14, v1, s22
	v_cvt_f32_u32_e32 v1, s40
	s_ashr_i32 s38, s22, 31
	s_mul_hi_u32 s0, s22, s21
	s_mul_i32 s1, s38, s21
	v_rcp_iflag_f32_e32 v1, v1
	v_mbcnt_lo_u32_b32 v3, -1, 0
	v_ashrrev_i32_e32 v15, 31, v14
	s_add_i32 s39, s0, s1
	s_movk_i32 s0, 0x80
	v_lshlrev_b32_e32 v10, 4, v0
	v_and_b32_e32 v11, 0xfc, v0
	v_mbcnt_hi_u32_b32 v3, -1, v3
	v_lshl_add_u64 v[14:15], v[14:15], 4, s[4:5]
	v_mul_i32_i24_e32 v7, -12, v0
	v_cmp_gt_u32_e64 s[0:1], s0, v0
	v_cmp_gt_u32_e64 s[2:3], 64, v0
	;; [unrolled: 1-line block ×7, first 2 shown]
	v_cmp_eq_u32_e64 s[14:15], 0, v0
	v_mul_f32_e32 v0, 0x4f7ffffe, v1
	v_lshl_or_b32 v12, v3, 2, 12
	v_cvt_u32_f32_e32 v3, v0
	v_lshlrev_b32_e32 v16, 4, v9
	v_mov_b32_e32 v17, v2
	v_lshl_add_u64 v[14:15], v[14:15], 0, v[16:17]
	s_sub_i32 s16, 0, s40
	v_cndmask_b32_e32 v0, v4, v14, vcc
	v_mul_lo_u32 v4, s16, v3
	v_mul_hi_u32 v4, v3, v4
	s_mul_i32 s21, s22, s21
	v_cndmask_b32_e32 v1, v5, v15, vcc
	v_add_u32_e32 v13, v3, v4
	v_mov_b32_e32 v3, v2
	v_mov_b32_e32 v4, v2
	;; [unrolled: 1-line block ×3, first 2 shown]
	v_add_u32_e32 v14, v10, v7
	v_mov_b32_e32 v15, 1
	s_branch .LBB224_7
.LBB224_6:                              ;   in Loop: Header=BB224_7 Depth=1
	s_or_b64 exec, exec, s[16:17]
	s_waitcnt lgkmcnt(0)
	s_barrier
	ds_read_b32 v17, v2
	s_add_i32 s28, s29, s28
	s_waitcnt lgkmcnt(0)
	s_barrier
	v_cmp_gt_i32_e32 vcc, s20, v17
	s_cbranch_vccz .LBB224_35
.LBB224_7:                              ; =>This Loop Header: Depth=1
                                        ;     Child Loop BB224_10 Depth 2
	v_add_u32_e32 v6, v6, v9
	v_cmp_lt_i32_e32 vcc, v6, v8
	v_mov_b32_e32 v16, s20
	v_mov_b32_e32 v19, v8
	ds_write_b8 v2, v2 offset:4096
	ds_write_b128 v10, v[2:5]
	s_waitcnt lgkmcnt(0)
	s_barrier
	s_and_saveexec_b64 s[34:35], vcc
	s_cbranch_execz .LBB224_15
; %bb.8:                                ;   in Loop: Header=BB224_7 Depth=1
	v_mul_lo_u32 v18, v17, s22
	s_mov_b64 s[36:37], 0
	v_mov_b32_e32 v16, s20
	v_mov_b32_e32 v19, v8
	s_branch .LBB224_10
.LBB224_9:                              ;   in Loop: Header=BB224_10 Depth=2
	s_or_b64 exec, exec, s[16:17]
	v_add_u32_e32 v6, 4, v6
	v_cmp_ge_i32_e64 s[16:17], v6, v8
	s_xor_b64 s[42:43], vcc, -1
	s_or_b64 s[16:17], s[42:43], s[16:17]
	s_and_b64 s[16:17], exec, s[16:17]
	s_or_b64 s[36:37], s[16:17], s[36:37]
	s_andn2_b64 exec, exec, s[36:37]
	s_cbranch_execz .LBB224_14
.LBB224_10:                             ;   Parent Loop BB224_7 Depth=1
                                        ; =>  This Inner Loop Header: Depth=2
	v_ashrrev_i32_e32 v7, 31, v6
	v_lshl_add_u64 v[20:21], v[6:7], 2, s[26:27]
	global_load_dword v20, v[20:21], off
	s_waitcnt vmcnt(0)
	v_subrev_u32_e32 v20, s23, v20
	v_sub_u32_e32 v22, 0, v20
	v_max_i32_e32 v22, v20, v22
	v_mul_hi_u32 v23, v22, v13
	v_mul_lo_u32 v24, v23, s40
	v_sub_u32_e32 v22, v22, v24
	v_add_u32_e32 v25, 1, v23
	v_cmp_le_u32_e32 vcc, s40, v22
	v_subrev_u32_e32 v24, s40, v22
	v_ashrrev_i32_e32 v21, 31, v20
	v_cndmask_b32_e32 v23, v23, v25, vcc
	v_cndmask_b32_e32 v22, v22, v24, vcc
	v_add_u32_e32 v24, 1, v23
	v_cmp_le_u32_e32 vcc, s40, v22
	v_xor_b32_e32 v21, s38, v21
	s_nop 0
	v_cndmask_b32_e32 v22, v23, v24, vcc
	v_xor_b32_e32 v22, v22, v21
	v_sub_u32_e32 v22, v22, v21
	v_cmp_eq_u32_e32 vcc, v22, v17
	v_cmp_ne_u32_e64 s[16:17], v22, v17
	v_mov_b32_e32 v21, v19
	s_and_saveexec_b64 s[42:43], s[16:17]
	s_xor_b64 s[16:17], exec, s[42:43]
; %bb.11:                               ;   in Loop: Header=BB224_10 Depth=2
	v_min_i32_e32 v16, v22, v16
                                        ; implicit-def: $vgpr20
                                        ; implicit-def: $vgpr21
; %bb.12:                               ;   in Loop: Header=BB224_10 Depth=2
	s_or_saveexec_b64 s[16:17], s[16:17]
	v_mov_b32_e32 v19, v6
	s_xor_b64 exec, exec, s[16:17]
	s_cbranch_execz .LBB224_9
; %bb.13:                               ;   in Loop: Header=BB224_10 Depth=2
	v_lshl_add_u64 v[22:23], v[6:7], 4, s[24:25]
	global_load_dwordx4 v[22:25], v[22:23], off
	v_sub_u32_e32 v7, v20, v18
	v_add_lshl_u32 v7, v7, v11, 4
	v_mov_b32_e32 v19, v21
	ds_write_b8 v2, v15 offset:4096
	s_waitcnt vmcnt(0)
	ds_write2_b64 v7, v[22:23], v[24:25] offset1:1
	s_branch .LBB224_9
.LBB224_14:                             ;   in Loop: Header=BB224_7 Depth=1
	s_or_b64 exec, exec, s[36:37]
.LBB224_15:                             ;   in Loop: Header=BB224_7 Depth=1
	s_or_b64 exec, exec, s[34:35]
	v_mov_b32_dpp v6, v19 row_shr:1 row_mask:0xf bank_mask:0xf
	v_min_i32_e32 v6, v6, v19
	s_waitcnt lgkmcnt(0)
	s_barrier
	ds_read_u8 v7, v2 offset:4096
	v_mov_b32_dpp v18, v6 row_shr:2 row_mask:0xf bank_mask:0xf
	v_min_i32_e32 v6, v18, v6
	ds_bpermute_b32 v6, v12, v6
	s_mov_b32 s29, 0
	s_waitcnt lgkmcnt(1)
	v_cmp_eq_u32_e32 vcc, 0, v7
	s_cbranch_vccnz .LBB224_19
; %bb.16:                               ;   in Loop: Header=BB224_7 Depth=1
	s_ashr_i32 s29, s28, 31
	s_lshl_b64 s[16:17], s[28:29], 2
	s_add_u32 s16, s18, s16
	v_add_u32_e32 v7, s33, v17
	s_addc_u32 s17, s19, s17
	global_store_dword v2, v7, s[16:17]
	s_and_saveexec_b64 s[16:17], s[30:31]
	s_cbranch_execz .LBB224_18
; %bb.17:                               ;   in Loop: Header=BB224_7 Depth=1
	ds_read2_b64 v[18:21], v10 offset1:1
	s_mul_i32 s29, s21, s29
	s_mul_hi_u32 s34, s21, s28
	s_add_i32 s29, s34, s29
	s_mul_i32 s34, s39, s28
	s_add_i32 s35, s29, s34
	s_mul_i32 s34, s21, s28
	v_lshl_add_u64 v[22:23], s[34:35], 4, v[0:1]
	s_waitcnt lgkmcnt(0)
	global_store_dwordx4 v[22:23], v[18:21], off
.LBB224_18:                             ;   in Loop: Header=BB224_7 Depth=1
	s_or_b64 exec, exec, s[16:17]
	s_mov_b32 s29, 1
.LBB224_19:                             ;   in Loop: Header=BB224_7 Depth=1
	s_waitcnt lgkmcnt(0)
	s_barrier
	ds_write_b32 v14, v16
	s_waitcnt lgkmcnt(0)
	s_barrier
	s_and_saveexec_b64 s[16:17], s[0:1]
	s_cbranch_execz .LBB224_21
; %bb.20:                               ;   in Loop: Header=BB224_7 Depth=1
	ds_read2st64_b32 v[16:17], v14 offset1:2
	s_waitcnt lgkmcnt(0)
	v_min_i32_e32 v7, v17, v16
	ds_write_b32 v14, v7
.LBB224_21:                             ;   in Loop: Header=BB224_7 Depth=1
	s_or_b64 exec, exec, s[16:17]
	s_waitcnt lgkmcnt(0)
	s_barrier
	s_and_saveexec_b64 s[16:17], s[2:3]
	s_cbranch_execz .LBB224_23
; %bb.22:                               ;   in Loop: Header=BB224_7 Depth=1
	ds_read2st64_b32 v[16:17], v14 offset1:1
	s_waitcnt lgkmcnt(0)
	v_min_i32_e32 v7, v17, v16
	ds_write_b32 v14, v7
.LBB224_23:                             ;   in Loop: Header=BB224_7 Depth=1
	s_or_b64 exec, exec, s[16:17]
	s_waitcnt lgkmcnt(0)
	s_barrier
	s_and_saveexec_b64 s[16:17], s[4:5]
	s_cbranch_execz .LBB224_25
; %bb.24:                               ;   in Loop: Header=BB224_7 Depth=1
	ds_read2_b32 v[16:17], v14 offset1:32
	s_waitcnt lgkmcnt(0)
	v_min_i32_e32 v7, v17, v16
	ds_write_b32 v14, v7
.LBB224_25:                             ;   in Loop: Header=BB224_7 Depth=1
	s_or_b64 exec, exec, s[16:17]
	s_waitcnt lgkmcnt(0)
	s_barrier
	s_and_saveexec_b64 s[16:17], s[6:7]
	s_cbranch_execz .LBB224_27
; %bb.26:                               ;   in Loop: Header=BB224_7 Depth=1
	ds_read2_b32 v[16:17], v14 offset1:16
	s_waitcnt lgkmcnt(0)
	v_min_i32_e32 v7, v17, v16
	ds_write_b32 v14, v7
.LBB224_27:                             ;   in Loop: Header=BB224_7 Depth=1
	;; [unrolled: 11-line block ×5, first 2 shown]
	s_or_b64 exec, exec, s[16:17]
	s_waitcnt lgkmcnt(0)
	s_barrier
	s_and_saveexec_b64 s[16:17], s[14:15]
	s_cbranch_execz .LBB224_6
; %bb.34:                               ;   in Loop: Header=BB224_7 Depth=1
	ds_read_b64 v[16:17], v2
	s_waitcnt lgkmcnt(0)
	v_min_i32_e32 v7, v17, v16
	ds_write_b32 v2, v7
	s_branch .LBB224_6
.LBB224_35:
	s_endpgm
	.section	.rodata,"a",@progbits
	.p2align	6, 0x0
	.amdhsa_kernel _ZN9rocsparseL40csr2gebsr_block_per_row_multipass_kernelILj256ELj64ELj4E21rocsparse_complex_numIdEEEv20rocsparse_direction_iiiiii21rocsparse_index_base_PKT2_PKiS9_S4_PS5_PiSB_
		.amdhsa_group_segment_fixed_size 4104
		.amdhsa_private_segment_fixed_size 0
		.amdhsa_kernarg_size 88
		.amdhsa_user_sgpr_count 2
		.amdhsa_user_sgpr_dispatch_ptr 0
		.amdhsa_user_sgpr_queue_ptr 0
		.amdhsa_user_sgpr_kernarg_segment_ptr 1
		.amdhsa_user_sgpr_dispatch_id 0
		.amdhsa_user_sgpr_kernarg_preload_length 0
		.amdhsa_user_sgpr_kernarg_preload_offset 0
		.amdhsa_user_sgpr_private_segment_size 0
		.amdhsa_uses_dynamic_stack 0
		.amdhsa_enable_private_segment 0
		.amdhsa_system_sgpr_workgroup_id_x 1
		.amdhsa_system_sgpr_workgroup_id_y 0
		.amdhsa_system_sgpr_workgroup_id_z 0
		.amdhsa_system_sgpr_workgroup_info 0
		.amdhsa_system_vgpr_workitem_id 0
		.amdhsa_next_free_vgpr 26
		.amdhsa_next_free_sgpr 44
		.amdhsa_accum_offset 28
		.amdhsa_reserve_vcc 1
		.amdhsa_float_round_mode_32 0
		.amdhsa_float_round_mode_16_64 0
		.amdhsa_float_denorm_mode_32 3
		.amdhsa_float_denorm_mode_16_64 3
		.amdhsa_dx10_clamp 1
		.amdhsa_ieee_mode 1
		.amdhsa_fp16_overflow 0
		.amdhsa_tg_split 0
		.amdhsa_exception_fp_ieee_invalid_op 0
		.amdhsa_exception_fp_denorm_src 0
		.amdhsa_exception_fp_ieee_div_zero 0
		.amdhsa_exception_fp_ieee_overflow 0
		.amdhsa_exception_fp_ieee_underflow 0
		.amdhsa_exception_fp_ieee_inexact 0
		.amdhsa_exception_int_div_zero 0
	.end_amdhsa_kernel
	.section	.text._ZN9rocsparseL40csr2gebsr_block_per_row_multipass_kernelILj256ELj64ELj4E21rocsparse_complex_numIdEEEv20rocsparse_direction_iiiiii21rocsparse_index_base_PKT2_PKiS9_S4_PS5_PiSB_,"axG",@progbits,_ZN9rocsparseL40csr2gebsr_block_per_row_multipass_kernelILj256ELj64ELj4E21rocsparse_complex_numIdEEEv20rocsparse_direction_iiiiii21rocsparse_index_base_PKT2_PKiS9_S4_PS5_PiSB_,comdat
.Lfunc_end224:
	.size	_ZN9rocsparseL40csr2gebsr_block_per_row_multipass_kernelILj256ELj64ELj4E21rocsparse_complex_numIdEEEv20rocsparse_direction_iiiiii21rocsparse_index_base_PKT2_PKiS9_S4_PS5_PiSB_, .Lfunc_end224-_ZN9rocsparseL40csr2gebsr_block_per_row_multipass_kernelILj256ELj64ELj4E21rocsparse_complex_numIdEEEv20rocsparse_direction_iiiiii21rocsparse_index_base_PKT2_PKiS9_S4_PS5_PiSB_
                                        ; -- End function
	.section	.AMDGPU.csdata,"",@progbits
; Kernel info:
; codeLenInByte = 1464
; NumSgprs: 50
; NumVgprs: 26
; NumAgprs: 0
; TotalNumVgprs: 26
; ScratchSize: 0
; MemoryBound: 0
; FloatMode: 240
; IeeeMode: 1
; LDSByteSize: 4104 bytes/workgroup (compile time only)
; SGPRBlocks: 6
; VGPRBlocks: 3
; NumSGPRsForWavesPerEU: 50
; NumVGPRsForWavesPerEU: 26
; AccumOffset: 28
; Occupancy: 8
; WaveLimiterHint : 0
; COMPUTE_PGM_RSRC2:SCRATCH_EN: 0
; COMPUTE_PGM_RSRC2:USER_SGPR: 2
; COMPUTE_PGM_RSRC2:TRAP_HANDLER: 0
; COMPUTE_PGM_RSRC2:TGID_X_EN: 1
; COMPUTE_PGM_RSRC2:TGID_Y_EN: 0
; COMPUTE_PGM_RSRC2:TGID_Z_EN: 0
; COMPUTE_PGM_RSRC2:TIDIG_COMP_CNT: 0
; COMPUTE_PGM_RSRC3_GFX90A:ACCUM_OFFSET: 6
; COMPUTE_PGM_RSRC3_GFX90A:TG_SPLIT: 0
	.section	.text._ZN9rocsparseL40csr2gebsr_block_per_row_multipass_kernelILj256ELj64ELj8E21rocsparse_complex_numIdEEEv20rocsparse_direction_iiiiii21rocsparse_index_base_PKT2_PKiS9_S4_PS5_PiSB_,"axG",@progbits,_ZN9rocsparseL40csr2gebsr_block_per_row_multipass_kernelILj256ELj64ELj8E21rocsparse_complex_numIdEEEv20rocsparse_direction_iiiiii21rocsparse_index_base_PKT2_PKiS9_S4_PS5_PiSB_,comdat
	.globl	_ZN9rocsparseL40csr2gebsr_block_per_row_multipass_kernelILj256ELj64ELj8E21rocsparse_complex_numIdEEEv20rocsparse_direction_iiiiii21rocsparse_index_base_PKT2_PKiS9_S4_PS5_PiSB_ ; -- Begin function _ZN9rocsparseL40csr2gebsr_block_per_row_multipass_kernelILj256ELj64ELj8E21rocsparse_complex_numIdEEEv20rocsparse_direction_iiiiii21rocsparse_index_base_PKT2_PKiS9_S4_PS5_PiSB_
	.p2align	8
	.type	_ZN9rocsparseL40csr2gebsr_block_per_row_multipass_kernelILj256ELj64ELj8E21rocsparse_complex_numIdEEEv20rocsparse_direction_iiiiii21rocsparse_index_base_PKT2_PKiS9_S4_PS5_PiSB_,@function
_ZN9rocsparseL40csr2gebsr_block_per_row_multipass_kernelILj256ELj64ELj8E21rocsparse_complex_numIdEEEv20rocsparse_direction_iiiiii21rocsparse_index_base_PKT2_PKiS9_S4_PS5_PiSB_: ; @_ZN9rocsparseL40csr2gebsr_block_per_row_multipass_kernelILj256ELj64ELj8E21rocsparse_complex_numIdEEEv20rocsparse_direction_iiiiii21rocsparse_index_base_PKT2_PKiS9_S4_PS5_PiSB_
; %bb.0:
	s_load_dwordx4 s[20:23], s[0:1], 0x10
	s_load_dwordx2 s[6:7], s[0:1], 0x0
	s_load_dwordx2 s[8:9], s[0:1], 0x28
	v_lshrrev_b32_e32 v1, 2, v0
	v_mov_b32_e32 v16, 0
	s_waitcnt lgkmcnt(0)
	s_mul_i32 s3, s2, s21
	v_add_u32_e32 v2, s3, v1
	v_cmp_gt_i32_e64 s[4:5], s7, v2
	v_cmp_gt_i32_e32 vcc, s21, v1
	s_and_b64 s[4:5], vcc, s[4:5]
	v_mov_b32_e32 v26, 0
	s_and_saveexec_b64 s[10:11], s[4:5]
	s_cbranch_execnz .LBB225_3
; %bb.1:
	s_or_b64 exec, exec, s[10:11]
	s_and_saveexec_b64 s[10:11], s[4:5]
	s_cbranch_execnz .LBB225_4
.LBB225_2:
	s_or_b64 exec, exec, s[10:11]
	s_cmp_lt_i32 s20, 1
	s_cbranch_scc0 .LBB225_5
	s_branch .LBB225_37
.LBB225_3:
	v_ashrrev_i32_e32 v3, 31, v2
	v_lshl_add_u64 v[4:5], v[2:3], 2, s[8:9]
	global_load_dword v3, v[4:5], off
	s_waitcnt vmcnt(0)
	v_subrev_u32_e32 v26, s23, v3
	s_or_b64 exec, exec, s[10:11]
	s_and_saveexec_b64 s[10:11], s[4:5]
	s_cbranch_execz .LBB225_2
.LBB225_4:
	v_ashrrev_i32_e32 v3, 31, v2
	v_lshl_add_u64 v[2:3], v[2:3], 2, s[8:9]
	global_load_dword v2, v[2:3], off offset:4
	s_waitcnt vmcnt(0)
	v_subrev_u32_e32 v16, s23, v2
	s_or_b64 exec, exec, s[10:11]
	s_cmp_lt_i32 s20, 1
	s_cbranch_scc1 .LBB225_37
.LBB225_5:
	s_load_dwordx4 s[8:11], s[0:1], 0x40
	s_load_dwordx2 s[28:29], s[0:1], 0x50
	s_load_dword s33, s[0:1], 0x38
	s_ashr_i32 s3, s2, 31
	s_lshl_b64 s[2:3], s[2:3], 2
	s_waitcnt lgkmcnt(0)
	s_add_u32 s2, s10, s2
	s_addc_u32 s3, s11, s3
	s_load_dword s4, s[2:3], 0x0
	s_load_dwordx2 s[30:31], s[0:1], 0x20
	s_load_dwordx2 s[34:35], s[0:1], 0x30
	v_mbcnt_lo_u32_b32 v2, -1, 0
	v_mbcnt_hi_u32_b32 v2, -1, v2
	s_waitcnt lgkmcnt(0)
	s_sub_i32 s36, s4, s33
	s_cmp_eq_u32 s6, 0
	s_cselect_b64 s[0:1], -1, 0
	s_ashr_i32 s42, s22, 31
	v_lshl_or_b32 v20, v2, 2, 12
	s_mul_hi_u32 s2, s22, s21
	s_mul_i32 s3, s42, s21
	v_mul_lo_u32 v2, v1, s22
	v_and_b32_e32 v17, 3, v0
	v_lshlrev_b32_e32 v18, 3, v1
	s_add_i32 s43, s2, s3
	v_lshlrev_b32_e32 v4, 4, v1
	v_mov_b32_e32 v5, 0
	v_ashrrev_i32_e32 v3, 31, v2
	s_movk_i32 s2, 0x80
	v_lshl_add_u64 v[6:7], s[8:9], 0, v[4:5]
	v_lshl_add_u64 v[2:3], v[2:3], 4, s[8:9]
	v_lshlrev_b32_e32 v21, 2, v0
	v_cmp_gt_u32_e64 s[2:3], s2, v0
	v_cmp_gt_u32_e64 s[4:5], 64, v0
	;; [unrolled: 1-line block ×7, first 2 shown]
	v_cmp_eq_u32_e64 s[16:17], 0, v0
	v_or_b32_e32 v0, v18, v17
	s_abs_i32 s45, s22
	v_lshlrev_b32_e32 v22, 4, v0
	v_cvt_f32_u32_e32 v0, s45
	v_cmp_gt_u32_e64 s[18:19], s22, v17
	v_or_b32_e32 v1, 4, v17
	s_and_b64 s[38:39], vcc, s[18:19]
	v_rcp_iflag_f32_e32 v0, v0
	v_cmp_gt_u32_e64 s[18:19], s22, v1
	s_and_b64 s[40:41], vcc, s[18:19]
	s_sub_i32 s18, 0, s45
	v_mul_f32_e32 v0, 0x4f7ffffe, v0
	v_cvt_u32_f32_e32 v0, v0
	s_mov_b32 s24, 0
	v_lshlrev_b32_e32 v4, 4, v17
	s_mov_b32 s25, s24
	v_mul_lo_u32 v1, s18, v0
	v_mul_hi_u32 v1, v0, v1
	v_lshl_add_u64 v[8:9], v[2:3], 0, v[4:5]
	v_mul_lo_u32 v4, v17, s21
	v_add_u32_e32 v24, v0, v1
	s_mov_b32 s26, s24
	s_mov_b32 s27, s24
	v_mov_b64_e32 v[0:1], s[24:25]
	v_mov_b32_e32 v19, 0
	s_mul_i32 s44, s22, s21
	v_or_b32_e32 v23, 64, v22
	v_lshl_add_u32 v10, s21, 2, v4
	v_mov_b32_e32 v11, v5
	v_mov_b64_e32 v[2:3], s[26:27]
	v_mov_b32_e32 v25, 1
	v_mov_b32_e32 v14, 0
	s_branch .LBB225_7
.LBB225_6:                              ;   in Loop: Header=BB225_7 Depth=1
	s_or_b64 exec, exec, s[18:19]
	s_waitcnt lgkmcnt(0)
	s_barrier
	ds_read_b32 v14, v5
	s_add_i32 s36, s21, s36
	s_waitcnt lgkmcnt(0)
	s_barrier
	v_cmp_gt_i32_e32 vcc, s20, v14
	s_cbranch_vccz .LBB225_37
.LBB225_7:                              ; =>This Loop Header: Depth=1
                                        ;     Child Loop BB225_10 Depth 2
	v_add_u32_e32 v12, v26, v17
	v_cmp_lt_i32_e32 vcc, v12, v16
	v_mov_b32_e32 v27, s20
	v_mov_b32_e32 v26, v16
	ds_write_b8 v5, v19 offset:8192
	ds_write_b128 v22, v[0:3]
	ds_write_b128 v22, v[0:3] offset:64
	s_waitcnt lgkmcnt(0)
	s_barrier
	s_and_saveexec_b64 s[24:25], vcc
	s_cbranch_execz .LBB225_15
; %bb.8:                                ;   in Loop: Header=BB225_7 Depth=1
	v_mul_lo_u32 v15, v14, s22
	s_mov_b64 s[26:27], 0
	v_mov_b32_e32 v27, s20
	v_mov_b32_e32 v26, v16
	s_branch .LBB225_10
.LBB225_9:                              ;   in Loop: Header=BB225_10 Depth=2
	s_or_b64 exec, exec, s[18:19]
	v_add_u32_e32 v12, 4, v12
	v_cmp_ge_i32_e64 s[18:19], v12, v16
	s_xor_b64 s[46:47], vcc, -1
	s_or_b64 s[18:19], s[46:47], s[18:19]
	s_and_b64 s[18:19], exec, s[18:19]
	s_or_b64 s[26:27], s[18:19], s[26:27]
	s_andn2_b64 exec, exec, s[26:27]
	s_cbranch_execz .LBB225_14
.LBB225_10:                             ;   Parent Loop BB225_7 Depth=1
                                        ; =>  This Inner Loop Header: Depth=2
	v_ashrrev_i32_e32 v13, 31, v12
	v_lshl_add_u64 v[28:29], v[12:13], 2, s[34:35]
	global_load_dword v28, v[28:29], off
	s_waitcnt vmcnt(0)
	v_subrev_u32_e32 v28, s23, v28
	v_sub_u32_e32 v30, 0, v28
	v_max_i32_e32 v30, v28, v30
	v_mul_hi_u32 v31, v30, v24
	v_mul_lo_u32 v32, v31, s45
	v_sub_u32_e32 v30, v30, v32
	v_add_u32_e32 v33, 1, v31
	v_cmp_le_u32_e32 vcc, s45, v30
	v_subrev_u32_e32 v32, s45, v30
	v_ashrrev_i32_e32 v29, 31, v28
	v_cndmask_b32_e32 v31, v31, v33, vcc
	v_cndmask_b32_e32 v30, v30, v32, vcc
	v_add_u32_e32 v32, 1, v31
	v_cmp_le_u32_e32 vcc, s45, v30
	v_xor_b32_e32 v29, s42, v29
	s_nop 0
	v_cndmask_b32_e32 v30, v31, v32, vcc
	v_xor_b32_e32 v30, v30, v29
	v_sub_u32_e32 v30, v30, v29
	v_cmp_eq_u32_e32 vcc, v30, v14
	v_cmp_ne_u32_e64 s[18:19], v30, v14
	v_mov_b32_e32 v29, v26
	s_and_saveexec_b64 s[46:47], s[18:19]
	s_xor_b64 s[18:19], exec, s[46:47]
; %bb.11:                               ;   in Loop: Header=BB225_10 Depth=2
	v_min_i32_e32 v27, v30, v27
                                        ; implicit-def: $vgpr28
                                        ; implicit-def: $vgpr29
; %bb.12:                               ;   in Loop: Header=BB225_10 Depth=2
	s_or_saveexec_b64 s[18:19], s[18:19]
	v_mov_b32_e32 v26, v12
	s_xor_b64 exec, exec, s[18:19]
	s_cbranch_execz .LBB225_9
; %bb.13:                               ;   in Loop: Header=BB225_10 Depth=2
	v_lshl_add_u64 v[30:31], v[12:13], 4, s[30:31]
	global_load_dwordx4 v[30:33], v[30:31], off
	v_sub_u32_e32 v13, v28, v15
	v_add_lshl_u32 v13, v13, v18, 4
	v_mov_b32_e32 v26, v29
	ds_write_b8 v5, v25 offset:8192
	s_waitcnt vmcnt(0)
	ds_write2_b64 v13, v[30:31], v[32:33] offset1:1
	s_branch .LBB225_9
.LBB225_14:                             ;   in Loop: Header=BB225_7 Depth=1
	s_or_b64 exec, exec, s[26:27]
.LBB225_15:                             ;   in Loop: Header=BB225_7 Depth=1
	s_or_b64 exec, exec, s[24:25]
	v_mov_b32_dpp v12, v26 row_shr:1 row_mask:0xf bank_mask:0xf
	v_min_i32_e32 v12, v12, v26
	s_waitcnt lgkmcnt(0)
	s_barrier
	ds_read_u8 v13, v5 offset:8192
	v_mov_b32_dpp v15, v12 row_shr:2 row_mask:0xf bank_mask:0xf
	v_min_i32_e32 v12, v15, v12
	ds_bpermute_b32 v26, v20, v12
	s_mov_b32 s21, 0
	s_waitcnt lgkmcnt(1)
	v_cmp_eq_u32_e32 vcc, 0, v13
	s_cbranch_vccnz .LBB225_21
; %bb.16:                               ;   in Loop: Header=BB225_7 Depth=1
	s_ashr_i32 s37, s36, 31
	s_lshl_b64 s[18:19], s[36:37], 2
	s_add_u32 s18, s28, s18
	v_add_u32_e32 v12, s33, v14
	s_addc_u32 s19, s29, s19
	global_store_dword v5, v12, s[18:19]
	s_mul_hi_u32 s18, s44, s36
	s_mul_i32 s19, s44, s37
	s_add_i32 s18, s18, s19
	s_mul_i32 s19, s43, s36
	s_add_i32 s19, s18, s19
	s_mul_i32 s18, s44, s36
	s_lshl_b64 s[18:19], s[18:19], 4
	v_lshl_add_u64 v[12:13], v[6:7], 0, s[18:19]
	v_lshl_add_u64 v[14:15], v[8:9], 0, s[18:19]
	s_and_saveexec_b64 s[18:19], s[38:39]
	s_cbranch_execz .LBB225_18
; %bb.17:                               ;   in Loop: Header=BB225_7 Depth=1
	ds_read2_b64 v[28:31], v22 offset1:1
	v_lshl_add_u64 v[32:33], v[4:5], 4, v[12:13]
	v_cndmask_b32_e64 v33, v33, v15, s[0:1]
	v_cndmask_b32_e64 v32, v32, v14, s[0:1]
	s_waitcnt lgkmcnt(0)
	global_store_dwordx4 v[32:33], v[28:31], off
.LBB225_18:                             ;   in Loop: Header=BB225_7 Depth=1
	s_or_b64 exec, exec, s[18:19]
	s_and_saveexec_b64 s[18:19], s[40:41]
	s_cbranch_execz .LBB225_20
; %bb.19:                               ;   in Loop: Header=BB225_7 Depth=1
	ds_read2_b64 v[28:31], v23 offset1:1
	v_lshl_add_u64 v[14:15], v[14:15], 0, 64
	v_lshl_add_u64 v[12:13], v[10:11], 4, v[12:13]
	v_cndmask_b32_e64 v13, v13, v15, s[0:1]
	v_cndmask_b32_e64 v12, v12, v14, s[0:1]
	s_waitcnt lgkmcnt(0)
	global_store_dwordx4 v[12:13], v[28:31], off
.LBB225_20:                             ;   in Loop: Header=BB225_7 Depth=1
	s_or_b64 exec, exec, s[18:19]
	s_mov_b32 s21, 1
.LBB225_21:                             ;   in Loop: Header=BB225_7 Depth=1
	s_waitcnt lgkmcnt(0)
	s_barrier
	ds_write_b32 v21, v27
	s_waitcnt lgkmcnt(0)
	s_barrier
	s_and_saveexec_b64 s[18:19], s[2:3]
	s_cbranch_execz .LBB225_23
; %bb.22:                               ;   in Loop: Header=BB225_7 Depth=1
	ds_read2st64_b32 v[12:13], v21 offset1:2
	s_waitcnt lgkmcnt(0)
	v_min_i32_e32 v12, v13, v12
	ds_write_b32 v21, v12
.LBB225_23:                             ;   in Loop: Header=BB225_7 Depth=1
	s_or_b64 exec, exec, s[18:19]
	s_waitcnt lgkmcnt(0)
	s_barrier
	s_and_saveexec_b64 s[18:19], s[4:5]
	s_cbranch_execz .LBB225_25
; %bb.24:                               ;   in Loop: Header=BB225_7 Depth=1
	ds_read2st64_b32 v[12:13], v21 offset1:1
	s_waitcnt lgkmcnt(0)
	v_min_i32_e32 v12, v13, v12
	ds_write_b32 v21, v12
.LBB225_25:                             ;   in Loop: Header=BB225_7 Depth=1
	s_or_b64 exec, exec, s[18:19]
	s_waitcnt lgkmcnt(0)
	s_barrier
	s_and_saveexec_b64 s[18:19], s[6:7]
	s_cbranch_execz .LBB225_27
; %bb.26:                               ;   in Loop: Header=BB225_7 Depth=1
	ds_read2_b32 v[12:13], v21 offset1:32
	s_waitcnt lgkmcnt(0)
	v_min_i32_e32 v12, v13, v12
	ds_write_b32 v21, v12
.LBB225_27:                             ;   in Loop: Header=BB225_7 Depth=1
	s_or_b64 exec, exec, s[18:19]
	s_waitcnt lgkmcnt(0)
	s_barrier
	s_and_saveexec_b64 s[18:19], s[8:9]
	s_cbranch_execz .LBB225_29
; %bb.28:                               ;   in Loop: Header=BB225_7 Depth=1
	ds_read2_b32 v[12:13], v21 offset1:16
	s_waitcnt lgkmcnt(0)
	v_min_i32_e32 v12, v13, v12
	ds_write_b32 v21, v12
.LBB225_29:                             ;   in Loop: Header=BB225_7 Depth=1
	;; [unrolled: 11-line block ×5, first 2 shown]
	s_or_b64 exec, exec, s[18:19]
	s_waitcnt lgkmcnt(0)
	s_barrier
	s_and_saveexec_b64 s[18:19], s[16:17]
	s_cbranch_execz .LBB225_6
; %bb.36:                               ;   in Loop: Header=BB225_7 Depth=1
	ds_read_b64 v[12:13], v5
	s_waitcnt lgkmcnt(0)
	v_min_i32_e32 v12, v13, v12
	ds_write_b32 v5, v12
	s_branch .LBB225_6
.LBB225_37:
	s_endpgm
	.section	.rodata,"a",@progbits
	.p2align	6, 0x0
	.amdhsa_kernel _ZN9rocsparseL40csr2gebsr_block_per_row_multipass_kernelILj256ELj64ELj8E21rocsparse_complex_numIdEEEv20rocsparse_direction_iiiiii21rocsparse_index_base_PKT2_PKiS9_S4_PS5_PiSB_
		.amdhsa_group_segment_fixed_size 8200
		.amdhsa_private_segment_fixed_size 0
		.amdhsa_kernarg_size 88
		.amdhsa_user_sgpr_count 2
		.amdhsa_user_sgpr_dispatch_ptr 0
		.amdhsa_user_sgpr_queue_ptr 0
		.amdhsa_user_sgpr_kernarg_segment_ptr 1
		.amdhsa_user_sgpr_dispatch_id 0
		.amdhsa_user_sgpr_kernarg_preload_length 0
		.amdhsa_user_sgpr_kernarg_preload_offset 0
		.amdhsa_user_sgpr_private_segment_size 0
		.amdhsa_uses_dynamic_stack 0
		.amdhsa_enable_private_segment 0
		.amdhsa_system_sgpr_workgroup_id_x 1
		.amdhsa_system_sgpr_workgroup_id_y 0
		.amdhsa_system_sgpr_workgroup_id_z 0
		.amdhsa_system_sgpr_workgroup_info 0
		.amdhsa_system_vgpr_workitem_id 0
		.amdhsa_next_free_vgpr 34
		.amdhsa_next_free_sgpr 48
		.amdhsa_accum_offset 36
		.amdhsa_reserve_vcc 1
		.amdhsa_float_round_mode_32 0
		.amdhsa_float_round_mode_16_64 0
		.amdhsa_float_denorm_mode_32 3
		.amdhsa_float_denorm_mode_16_64 3
		.amdhsa_dx10_clamp 1
		.amdhsa_ieee_mode 1
		.amdhsa_fp16_overflow 0
		.amdhsa_tg_split 0
		.amdhsa_exception_fp_ieee_invalid_op 0
		.amdhsa_exception_fp_denorm_src 0
		.amdhsa_exception_fp_ieee_div_zero 0
		.amdhsa_exception_fp_ieee_overflow 0
		.amdhsa_exception_fp_ieee_underflow 0
		.amdhsa_exception_fp_ieee_inexact 0
		.amdhsa_exception_int_div_zero 0
	.end_amdhsa_kernel
	.section	.text._ZN9rocsparseL40csr2gebsr_block_per_row_multipass_kernelILj256ELj64ELj8E21rocsparse_complex_numIdEEEv20rocsparse_direction_iiiiii21rocsparse_index_base_PKT2_PKiS9_S4_PS5_PiSB_,"axG",@progbits,_ZN9rocsparseL40csr2gebsr_block_per_row_multipass_kernelILj256ELj64ELj8E21rocsparse_complex_numIdEEEv20rocsparse_direction_iiiiii21rocsparse_index_base_PKT2_PKiS9_S4_PS5_PiSB_,comdat
.Lfunc_end225:
	.size	_ZN9rocsparseL40csr2gebsr_block_per_row_multipass_kernelILj256ELj64ELj8E21rocsparse_complex_numIdEEEv20rocsparse_direction_iiiiii21rocsparse_index_base_PKT2_PKiS9_S4_PS5_PiSB_, .Lfunc_end225-_ZN9rocsparseL40csr2gebsr_block_per_row_multipass_kernelILj256ELj64ELj8E21rocsparse_complex_numIdEEEv20rocsparse_direction_iiiiii21rocsparse_index_base_PKT2_PKiS9_S4_PS5_PiSB_
                                        ; -- End function
	.section	.AMDGPU.csdata,"",@progbits
; Kernel info:
; codeLenInByte = 1592
; NumSgprs: 54
; NumVgprs: 34
; NumAgprs: 0
; TotalNumVgprs: 34
; ScratchSize: 0
; MemoryBound: 0
; FloatMode: 240
; IeeeMode: 1
; LDSByteSize: 8200 bytes/workgroup (compile time only)
; SGPRBlocks: 6
; VGPRBlocks: 4
; NumSGPRsForWavesPerEU: 54
; NumVGPRsForWavesPerEU: 34
; AccumOffset: 36
; Occupancy: 7
; WaveLimiterHint : 0
; COMPUTE_PGM_RSRC2:SCRATCH_EN: 0
; COMPUTE_PGM_RSRC2:USER_SGPR: 2
; COMPUTE_PGM_RSRC2:TRAP_HANDLER: 0
; COMPUTE_PGM_RSRC2:TGID_X_EN: 1
; COMPUTE_PGM_RSRC2:TGID_Y_EN: 0
; COMPUTE_PGM_RSRC2:TGID_Z_EN: 0
; COMPUTE_PGM_RSRC2:TIDIG_COMP_CNT: 0
; COMPUTE_PGM_RSRC3_GFX90A:ACCUM_OFFSET: 8
; COMPUTE_PGM_RSRC3_GFX90A:TG_SPLIT: 0
	.section	.text._ZN9rocsparseL40csr2gebsr_block_per_row_multipass_kernelILj256ELj64ELj16E21rocsparse_complex_numIdEEEv20rocsparse_direction_iiiiii21rocsparse_index_base_PKT2_PKiS9_S4_PS5_PiSB_,"axG",@progbits,_ZN9rocsparseL40csr2gebsr_block_per_row_multipass_kernelILj256ELj64ELj16E21rocsparse_complex_numIdEEEv20rocsparse_direction_iiiiii21rocsparse_index_base_PKT2_PKiS9_S4_PS5_PiSB_,comdat
	.globl	_ZN9rocsparseL40csr2gebsr_block_per_row_multipass_kernelILj256ELj64ELj16E21rocsparse_complex_numIdEEEv20rocsparse_direction_iiiiii21rocsparse_index_base_PKT2_PKiS9_S4_PS5_PiSB_ ; -- Begin function _ZN9rocsparseL40csr2gebsr_block_per_row_multipass_kernelILj256ELj64ELj16E21rocsparse_complex_numIdEEEv20rocsparse_direction_iiiiii21rocsparse_index_base_PKT2_PKiS9_S4_PS5_PiSB_
	.p2align	8
	.type	_ZN9rocsparseL40csr2gebsr_block_per_row_multipass_kernelILj256ELj64ELj16E21rocsparse_complex_numIdEEEv20rocsparse_direction_iiiiii21rocsparse_index_base_PKT2_PKiS9_S4_PS5_PiSB_,@function
_ZN9rocsparseL40csr2gebsr_block_per_row_multipass_kernelILj256ELj64ELj16E21rocsparse_complex_numIdEEEv20rocsparse_direction_iiiiii21rocsparse_index_base_PKT2_PKiS9_S4_PS5_PiSB_: ; @_ZN9rocsparseL40csr2gebsr_block_per_row_multipass_kernelILj256ELj64ELj16E21rocsparse_complex_numIdEEEv20rocsparse_direction_iiiiii21rocsparse_index_base_PKT2_PKiS9_S4_PS5_PiSB_
; %bb.0:
	s_load_dwordx4 s[20:23], s[0:1], 0x10
	s_load_dwordx2 s[6:7], s[0:1], 0x0
	s_load_dwordx2 s[8:9], s[0:1], 0x28
	v_lshrrev_b32_e32 v1, 2, v0
	v_mov_b32_e32 v22, 0
	s_waitcnt lgkmcnt(0)
	s_mul_i32 s3, s2, s21
	v_add_u32_e32 v2, s3, v1
	v_cmp_gt_i32_e64 s[4:5], s7, v2
	v_cmp_gt_i32_e32 vcc, s21, v1
	s_and_b64 s[4:5], vcc, s[4:5]
	v_mov_b32_e32 v31, 0
	s_and_saveexec_b64 s[10:11], s[4:5]
	s_cbranch_execnz .LBB226_3
; %bb.1:
	s_or_b64 exec, exec, s[10:11]
	s_and_saveexec_b64 s[10:11], s[4:5]
	s_cbranch_execnz .LBB226_4
.LBB226_2:
	s_or_b64 exec, exec, s[10:11]
	s_cmp_lt_i32 s20, 1
	s_cbranch_scc0 .LBB226_5
	s_branch .LBB226_41
.LBB226_3:
	v_ashrrev_i32_e32 v3, 31, v2
	v_lshl_add_u64 v[4:5], v[2:3], 2, s[8:9]
	global_load_dword v3, v[4:5], off
	s_waitcnt vmcnt(0)
	v_subrev_u32_e32 v31, s23, v3
	s_or_b64 exec, exec, s[10:11]
	s_and_saveexec_b64 s[10:11], s[4:5]
	s_cbranch_execz .LBB226_2
.LBB226_4:
	v_ashrrev_i32_e32 v3, 31, v2
	v_lshl_add_u64 v[2:3], v[2:3], 2, s[8:9]
	global_load_dword v2, v[2:3], off offset:4
	s_waitcnt vmcnt(0)
	v_subrev_u32_e32 v22, s23, v2
	s_or_b64 exec, exec, s[10:11]
	s_cmp_lt_i32 s20, 1
	s_cbranch_scc1 .LBB226_41
.LBB226_5:
	s_load_dwordx4 s[8:11], s[0:1], 0x40
	s_load_dwordx2 s[28:29], s[0:1], 0x50
	s_load_dword s33, s[0:1], 0x38
	s_ashr_i32 s3, s2, 31
	s_lshl_b64 s[2:3], s[2:3], 2
	s_waitcnt lgkmcnt(0)
	s_add_u32 s2, s10, s2
	s_addc_u32 s3, s11, s3
	s_load_dword s4, s[2:3], 0x0
	s_load_dwordx2 s[30:31], s[0:1], 0x20
	s_load_dwordx2 s[34:35], s[0:1], 0x30
	v_mbcnt_lo_u32_b32 v2, -1, 0
	v_mbcnt_hi_u32_b32 v2, -1, v2
	s_waitcnt lgkmcnt(0)
	s_sub_i32 s36, s4, s33
	s_cmp_eq_u32 s6, 0
	s_cselect_b64 s[0:1], -1, 0
	s_ashr_i32 s50, s22, 31
	v_lshl_or_b32 v25, v2, 2, 12
	s_mul_hi_u32 s2, s22, s21
	s_mul_i32 s3, s50, s21
	v_mov_b32_e32 v7, 0
	v_mul_lo_u32 v2, v1, s22
	v_and_b32_e32 v23, 3, v0
	v_lshlrev_b32_e32 v4, 4, v1
	s_add_i32 s51, s2, s3
	v_mov_b32_e32 v5, v7
	v_ashrrev_i32_e32 v3, 31, v2
	s_movk_i32 s2, 0x80
	v_lshl_add_u64 v[8:9], s[8:9], 0, v[4:5]
	v_lshl_add_u64 v[2:3], v[2:3], 4, s[8:9]
	v_lshlrev_b32_e32 v5, 2, v0
	v_cmp_gt_u32_e64 s[2:3], s2, v0
	v_cmp_gt_u32_e64 s[4:5], 64, v0
	;; [unrolled: 1-line block ×7, first 2 shown]
	v_cmp_eq_u32_e64 s[16:17], 0, v0
	v_or_b32_e32 v0, v4, v23
	v_lshlrev_b32_e32 v6, 4, v23
	v_lshlrev_b32_e32 v26, 4, v0
	v_cmp_gt_u32_e64 s[18:19], s22, v23
	v_or_b32_e32 v0, 4, v23
	s_mul_i32 s52, s22, s21
	v_lshl_add_u64 v[10:11], v[2:3], 0, v[6:7]
	s_and_b64 s[38:39], vcc, s[18:19]
	v_mul_lo_u32 v6, v23, s21
	v_cmp_gt_u32_e64 s[18:19], s22, v0
	s_lshl_b32 s25, s21, 2
	v_or_b32_e32 v0, 8, v23
	s_abs_i32 s21, s22
	s_and_b64 s[40:41], vcc, s[18:19]
	v_cmp_gt_u32_e64 s[18:19], s22, v0
	v_cvt_f32_u32_e32 v0, s21
	v_or_b32_e32 v1, 12, v23
	s_and_b64 s[42:43], vcc, s[18:19]
	v_cmp_gt_u32_e64 s[18:19], s22, v1
	v_rcp_iflag_f32_e32 v0, v0
	v_add_u32_e32 v12, s25, v6
	s_and_b64 s[44:45], vcc, s[18:19]
	s_sub_i32 s18, 0, s21
	v_mul_f32_e32 v0, 0x4f7ffffe, v0
	v_cvt_u32_f32_e32 v0, v0
	s_mov_b32 s24, 0
	v_add_u32_e32 v14, s25, v12
	v_add_u32_e32 v16, s25, v14
	v_mul_lo_u32 v1, s18, v0
	v_mul_hi_u32 v1, v0, v1
	s_mov_b32 s25, s24
	v_add_u32_e32 v30, v0, v1
	s_mov_b32 s26, s24
	s_mov_b32 s27, s24
	v_mov_b64_e32 v[0:1], s[24:25]
	v_mov_b32_e32 v24, 0
	v_or_b32_e32 v27, 64, v26
	v_or_b32_e32 v28, 0x80, v26
	;; [unrolled: 1-line block ×3, first 2 shown]
	v_mov_b32_e32 v13, v7
	v_mov_b32_e32 v15, v7
	v_mov_b32_e32 v17, v7
	v_mov_b64_e32 v[2:3], s[26:27]
	s_mov_b64 s[24:25], 0x80
	s_mov_b64 s[26:27], 0xc0
	v_mov_b32_e32 v32, 1
	v_mov_b32_e32 v20, 0
	s_branch .LBB226_7
.LBB226_6:                              ;   in Loop: Header=BB226_7 Depth=1
	s_or_b64 exec, exec, s[18:19]
	s_waitcnt lgkmcnt(0)
	s_barrier
	ds_read_b32 v20, v7
	s_add_i32 s36, s37, s36
	s_waitcnt lgkmcnt(0)
	s_barrier
	v_cmp_gt_i32_e32 vcc, s20, v20
	s_cbranch_vccz .LBB226_41
.LBB226_7:                              ; =>This Loop Header: Depth=1
                                        ;     Child Loop BB226_10 Depth 2
	v_add_u32_e32 v18, v31, v23
	v_cmp_lt_i32_e32 vcc, v18, v22
	v_mov_b32_e32 v33, s20
	v_mov_b32_e32 v31, v22
	ds_write_b8 v7, v24 offset:16384
	ds_write_b128 v26, v[0:3]
	ds_write_b128 v26, v[0:3] offset:64
	ds_write_b128 v26, v[0:3] offset:128
	;; [unrolled: 1-line block ×3, first 2 shown]
	s_waitcnt lgkmcnt(0)
	s_barrier
	s_and_saveexec_b64 s[46:47], vcc
	s_cbranch_execz .LBB226_15
; %bb.8:                                ;   in Loop: Header=BB226_7 Depth=1
	v_mul_lo_u32 v21, v20, s22
	s_mov_b64 s[48:49], 0
	v_mov_b32_e32 v33, s20
	v_mov_b32_e32 v31, v22
	s_branch .LBB226_10
.LBB226_9:                              ;   in Loop: Header=BB226_10 Depth=2
	s_or_b64 exec, exec, s[18:19]
	v_add_u32_e32 v18, 4, v18
	v_cmp_ge_i32_e64 s[18:19], v18, v22
	s_xor_b64 s[54:55], vcc, -1
	s_or_b64 s[18:19], s[54:55], s[18:19]
	s_and_b64 s[18:19], exec, s[18:19]
	s_or_b64 s[48:49], s[18:19], s[48:49]
	s_andn2_b64 exec, exec, s[48:49]
	s_cbranch_execz .LBB226_14
.LBB226_10:                             ;   Parent Loop BB226_7 Depth=1
                                        ; =>  This Inner Loop Header: Depth=2
	v_ashrrev_i32_e32 v19, 31, v18
	v_lshl_add_u64 v[34:35], v[18:19], 2, s[34:35]
	global_load_dword v34, v[34:35], off
	s_waitcnt vmcnt(0)
	v_subrev_u32_e32 v34, s23, v34
	v_sub_u32_e32 v36, 0, v34
	v_max_i32_e32 v36, v34, v36
	v_mul_hi_u32 v37, v36, v30
	v_mul_lo_u32 v38, v37, s21
	v_sub_u32_e32 v36, v36, v38
	v_add_u32_e32 v39, 1, v37
	v_cmp_le_u32_e32 vcc, s21, v36
	v_subrev_u32_e32 v38, s21, v36
	v_ashrrev_i32_e32 v35, 31, v34
	v_cndmask_b32_e32 v37, v37, v39, vcc
	v_cndmask_b32_e32 v36, v36, v38, vcc
	v_add_u32_e32 v38, 1, v37
	v_cmp_le_u32_e32 vcc, s21, v36
	v_xor_b32_e32 v35, s50, v35
	s_nop 0
	v_cndmask_b32_e32 v36, v37, v38, vcc
	v_xor_b32_e32 v36, v36, v35
	v_sub_u32_e32 v36, v36, v35
	v_cmp_eq_u32_e32 vcc, v36, v20
	v_cmp_ne_u32_e64 s[18:19], v36, v20
	v_mov_b32_e32 v35, v31
	s_and_saveexec_b64 s[54:55], s[18:19]
	s_xor_b64 s[18:19], exec, s[54:55]
; %bb.11:                               ;   in Loop: Header=BB226_10 Depth=2
	v_min_i32_e32 v33, v36, v33
                                        ; implicit-def: $vgpr34
                                        ; implicit-def: $vgpr35
; %bb.12:                               ;   in Loop: Header=BB226_10 Depth=2
	s_or_saveexec_b64 s[18:19], s[18:19]
	v_mov_b32_e32 v31, v18
	s_xor_b64 exec, exec, s[18:19]
	s_cbranch_execz .LBB226_9
; %bb.13:                               ;   in Loop: Header=BB226_10 Depth=2
	v_lshl_add_u64 v[36:37], v[18:19], 4, s[30:31]
	global_load_dwordx4 v[36:39], v[36:37], off
	v_sub_u32_e32 v19, v34, v21
	v_add_lshl_u32 v19, v19, v4, 4
	v_mov_b32_e32 v31, v35
	ds_write_b8 v7, v32 offset:16384
	s_waitcnt vmcnt(0)
	ds_write2_b64 v19, v[36:37], v[38:39] offset1:1
	s_branch .LBB226_9
.LBB226_14:                             ;   in Loop: Header=BB226_7 Depth=1
	s_or_b64 exec, exec, s[48:49]
.LBB226_15:                             ;   in Loop: Header=BB226_7 Depth=1
	s_or_b64 exec, exec, s[46:47]
	v_mov_b32_dpp v18, v31 row_shr:1 row_mask:0xf bank_mask:0xf
	v_min_i32_e32 v18, v18, v31
	s_waitcnt lgkmcnt(0)
	s_barrier
	ds_read_u8 v19, v7 offset:16384
	v_mov_b32_dpp v21, v18 row_shr:2 row_mask:0xf bank_mask:0xf
	v_min_i32_e32 v18, v21, v18
	ds_bpermute_b32 v31, v25, v18
	s_mov_b32 s37, 0
	s_waitcnt lgkmcnt(1)
	v_cmp_eq_u32_e32 vcc, 0, v19
	s_cbranch_vccnz .LBB226_22
; %bb.16:                               ;   in Loop: Header=BB226_7 Depth=1
	s_ashr_i32 s37, s36, 31
	s_lshl_b64 s[18:19], s[36:37], 2
	s_add_u32 s18, s28, s18
	v_add_u32_e32 v18, s33, v20
	s_addc_u32 s19, s29, s19
	global_store_dword v7, v18, s[18:19]
	s_mul_hi_u32 s18, s52, s36
	s_mul_i32 s19, s52, s37
	s_add_i32 s18, s18, s19
	s_mul_i32 s19, s51, s36
	s_add_i32 s19, s18, s19
	s_mul_i32 s18, s52, s36
	s_lshl_b64 s[18:19], s[18:19], 4
	v_lshl_add_u64 v[18:19], v[8:9], 0, s[18:19]
	v_lshl_add_u64 v[20:21], v[10:11], 0, s[18:19]
	s_and_saveexec_b64 s[18:19], s[38:39]
	s_cbranch_execnz .LBB226_38
; %bb.17:                               ;   in Loop: Header=BB226_7 Depth=1
	s_or_b64 exec, exec, s[18:19]
	s_and_saveexec_b64 s[18:19], s[40:41]
	s_cbranch_execnz .LBB226_39
.LBB226_18:                             ;   in Loop: Header=BB226_7 Depth=1
	s_or_b64 exec, exec, s[18:19]
	s_and_saveexec_b64 s[18:19], s[42:43]
	s_cbranch_execnz .LBB226_40
.LBB226_19:                             ;   in Loop: Header=BB226_7 Depth=1
	s_or_b64 exec, exec, s[18:19]
	s_and_saveexec_b64 s[18:19], s[44:45]
	s_cbranch_execz .LBB226_21
.LBB226_20:                             ;   in Loop: Header=BB226_7 Depth=1
	ds_read2_b64 v[34:37], v29 offset1:1
	v_lshl_add_u64 v[20:21], v[20:21], 0, s[26:27]
	v_lshl_add_u64 v[18:19], v[16:17], 4, v[18:19]
	v_cndmask_b32_e64 v19, v19, v21, s[0:1]
	v_cndmask_b32_e64 v18, v18, v20, s[0:1]
	s_waitcnt lgkmcnt(0)
	global_store_dwordx4 v[18:19], v[34:37], off
.LBB226_21:                             ;   in Loop: Header=BB226_7 Depth=1
	s_or_b64 exec, exec, s[18:19]
	s_mov_b32 s37, 1
.LBB226_22:                             ;   in Loop: Header=BB226_7 Depth=1
	s_waitcnt lgkmcnt(0)
	s_barrier
	ds_write_b32 v5, v33
	s_waitcnt lgkmcnt(0)
	s_barrier
	s_and_saveexec_b64 s[18:19], s[2:3]
	s_cbranch_execz .LBB226_24
; %bb.23:                               ;   in Loop: Header=BB226_7 Depth=1
	ds_read2st64_b32 v[18:19], v5 offset1:2
	s_waitcnt lgkmcnt(0)
	v_min_i32_e32 v18, v19, v18
	ds_write_b32 v5, v18
.LBB226_24:                             ;   in Loop: Header=BB226_7 Depth=1
	s_or_b64 exec, exec, s[18:19]
	s_waitcnt lgkmcnt(0)
	s_barrier
	s_and_saveexec_b64 s[18:19], s[4:5]
	s_cbranch_execz .LBB226_26
; %bb.25:                               ;   in Loop: Header=BB226_7 Depth=1
	ds_read2st64_b32 v[18:19], v5 offset1:1
	s_waitcnt lgkmcnt(0)
	v_min_i32_e32 v18, v19, v18
	ds_write_b32 v5, v18
.LBB226_26:                             ;   in Loop: Header=BB226_7 Depth=1
	s_or_b64 exec, exec, s[18:19]
	s_waitcnt lgkmcnt(0)
	s_barrier
	s_and_saveexec_b64 s[18:19], s[6:7]
	s_cbranch_execz .LBB226_28
; %bb.27:                               ;   in Loop: Header=BB226_7 Depth=1
	ds_read2_b32 v[18:19], v5 offset1:32
	s_waitcnt lgkmcnt(0)
	v_min_i32_e32 v18, v19, v18
	ds_write_b32 v5, v18
.LBB226_28:                             ;   in Loop: Header=BB226_7 Depth=1
	s_or_b64 exec, exec, s[18:19]
	s_waitcnt lgkmcnt(0)
	s_barrier
	s_and_saveexec_b64 s[18:19], s[8:9]
	s_cbranch_execz .LBB226_30
; %bb.29:                               ;   in Loop: Header=BB226_7 Depth=1
	ds_read2_b32 v[18:19], v5 offset1:16
	s_waitcnt lgkmcnt(0)
	v_min_i32_e32 v18, v19, v18
	ds_write_b32 v5, v18
.LBB226_30:                             ;   in Loop: Header=BB226_7 Depth=1
	;; [unrolled: 11-line block ×5, first 2 shown]
	s_or_b64 exec, exec, s[18:19]
	s_waitcnt lgkmcnt(0)
	s_barrier
	s_and_saveexec_b64 s[18:19], s[16:17]
	s_cbranch_execz .LBB226_6
; %bb.37:                               ;   in Loop: Header=BB226_7 Depth=1
	ds_read_b64 v[18:19], v7
	s_waitcnt lgkmcnt(0)
	v_min_i32_e32 v18, v19, v18
	ds_write_b32 v7, v18
	s_branch .LBB226_6
.LBB226_38:                             ;   in Loop: Header=BB226_7 Depth=1
	ds_read2_b64 v[34:37], v26 offset1:1
	v_lshl_add_u64 v[38:39], v[6:7], 4, v[18:19]
	v_cndmask_b32_e64 v39, v39, v21, s[0:1]
	v_cndmask_b32_e64 v38, v38, v20, s[0:1]
	s_waitcnt lgkmcnt(0)
	global_store_dwordx4 v[38:39], v[34:37], off
	s_or_b64 exec, exec, s[18:19]
	s_and_saveexec_b64 s[18:19], s[40:41]
	s_cbranch_execz .LBB226_18
.LBB226_39:                             ;   in Loop: Header=BB226_7 Depth=1
	ds_read2_b64 v[34:37], v27 offset1:1
	v_lshl_add_u64 v[38:39], v[20:21], 0, 64
	v_lshl_add_u64 v[40:41], v[12:13], 4, v[18:19]
	v_cndmask_b32_e64 v39, v41, v39, s[0:1]
	v_cndmask_b32_e64 v38, v40, v38, s[0:1]
	s_waitcnt lgkmcnt(0)
	global_store_dwordx4 v[38:39], v[34:37], off
	s_or_b64 exec, exec, s[18:19]
	s_and_saveexec_b64 s[18:19], s[42:43]
	s_cbranch_execz .LBB226_19
.LBB226_40:                             ;   in Loop: Header=BB226_7 Depth=1
	ds_read2_b64 v[34:37], v28 offset1:1
	v_lshl_add_u64 v[38:39], v[20:21], 0, s[24:25]
	v_lshl_add_u64 v[40:41], v[14:15], 4, v[18:19]
	v_cndmask_b32_e64 v39, v41, v39, s[0:1]
	v_cndmask_b32_e64 v38, v40, v38, s[0:1]
	s_waitcnt lgkmcnt(0)
	global_store_dwordx4 v[38:39], v[34:37], off
	s_or_b64 exec, exec, s[18:19]
	s_and_saveexec_b64 s[18:19], s[44:45]
	s_cbranch_execnz .LBB226_20
	s_branch .LBB226_21
.LBB226_41:
	s_endpgm
	.section	.rodata,"a",@progbits
	.p2align	6, 0x0
	.amdhsa_kernel _ZN9rocsparseL40csr2gebsr_block_per_row_multipass_kernelILj256ELj64ELj16E21rocsparse_complex_numIdEEEv20rocsparse_direction_iiiiii21rocsparse_index_base_PKT2_PKiS9_S4_PS5_PiSB_
		.amdhsa_group_segment_fixed_size 16392
		.amdhsa_private_segment_fixed_size 0
		.amdhsa_kernarg_size 88
		.amdhsa_user_sgpr_count 2
		.amdhsa_user_sgpr_dispatch_ptr 0
		.amdhsa_user_sgpr_queue_ptr 0
		.amdhsa_user_sgpr_kernarg_segment_ptr 1
		.amdhsa_user_sgpr_dispatch_id 0
		.amdhsa_user_sgpr_kernarg_preload_length 0
		.amdhsa_user_sgpr_kernarg_preload_offset 0
		.amdhsa_user_sgpr_private_segment_size 0
		.amdhsa_uses_dynamic_stack 0
		.amdhsa_enable_private_segment 0
		.amdhsa_system_sgpr_workgroup_id_x 1
		.amdhsa_system_sgpr_workgroup_id_y 0
		.amdhsa_system_sgpr_workgroup_id_z 0
		.amdhsa_system_sgpr_workgroup_info 0
		.amdhsa_system_vgpr_workitem_id 0
		.amdhsa_next_free_vgpr 42
		.amdhsa_next_free_sgpr 56
		.amdhsa_accum_offset 44
		.amdhsa_reserve_vcc 1
		.amdhsa_float_round_mode_32 0
		.amdhsa_float_round_mode_16_64 0
		.amdhsa_float_denorm_mode_32 3
		.amdhsa_float_denorm_mode_16_64 3
		.amdhsa_dx10_clamp 1
		.amdhsa_ieee_mode 1
		.amdhsa_fp16_overflow 0
		.amdhsa_tg_split 0
		.amdhsa_exception_fp_ieee_invalid_op 0
		.amdhsa_exception_fp_denorm_src 0
		.amdhsa_exception_fp_ieee_div_zero 0
		.amdhsa_exception_fp_ieee_overflow 0
		.amdhsa_exception_fp_ieee_underflow 0
		.amdhsa_exception_fp_ieee_inexact 0
		.amdhsa_exception_int_div_zero 0
	.end_amdhsa_kernel
	.section	.text._ZN9rocsparseL40csr2gebsr_block_per_row_multipass_kernelILj256ELj64ELj16E21rocsparse_complex_numIdEEEv20rocsparse_direction_iiiiii21rocsparse_index_base_PKT2_PKiS9_S4_PS5_PiSB_,"axG",@progbits,_ZN9rocsparseL40csr2gebsr_block_per_row_multipass_kernelILj256ELj64ELj16E21rocsparse_complex_numIdEEEv20rocsparse_direction_iiiiii21rocsparse_index_base_PKT2_PKiS9_S4_PS5_PiSB_,comdat
.Lfunc_end226:
	.size	_ZN9rocsparseL40csr2gebsr_block_per_row_multipass_kernelILj256ELj64ELj16E21rocsparse_complex_numIdEEEv20rocsparse_direction_iiiiii21rocsparse_index_base_PKT2_PKiS9_S4_PS5_PiSB_, .Lfunc_end226-_ZN9rocsparseL40csr2gebsr_block_per_row_multipass_kernelILj256ELj64ELj16E21rocsparse_complex_numIdEEEv20rocsparse_direction_iiiiii21rocsparse_index_base_PKT2_PKiS9_S4_PS5_PiSB_
                                        ; -- End function
	.section	.AMDGPU.csdata,"",@progbits
; Kernel info:
; codeLenInByte = 1856
; NumSgprs: 62
; NumVgprs: 42
; NumAgprs: 0
; TotalNumVgprs: 42
; ScratchSize: 0
; MemoryBound: 0
; FloatMode: 240
; IeeeMode: 1
; LDSByteSize: 16392 bytes/workgroup (compile time only)
; SGPRBlocks: 7
; VGPRBlocks: 5
; NumSGPRsForWavesPerEU: 62
; NumVGPRsForWavesPerEU: 42
; AccumOffset: 44
; Occupancy: 3
; WaveLimiterHint : 0
; COMPUTE_PGM_RSRC2:SCRATCH_EN: 0
; COMPUTE_PGM_RSRC2:USER_SGPR: 2
; COMPUTE_PGM_RSRC2:TRAP_HANDLER: 0
; COMPUTE_PGM_RSRC2:TGID_X_EN: 1
; COMPUTE_PGM_RSRC2:TGID_Y_EN: 0
; COMPUTE_PGM_RSRC2:TGID_Z_EN: 0
; COMPUTE_PGM_RSRC2:TIDIG_COMP_CNT: 0
; COMPUTE_PGM_RSRC3_GFX90A:ACCUM_OFFSET: 10
; COMPUTE_PGM_RSRC3_GFX90A:TG_SPLIT: 0
	.section	.text._ZN9rocsparseL40csr2gebsr_block_per_row_multipass_kernelILj256ELj64ELj32E21rocsparse_complex_numIdEEEv20rocsparse_direction_iiiiii21rocsparse_index_base_PKT2_PKiS9_S4_PS5_PiSB_,"axG",@progbits,_ZN9rocsparseL40csr2gebsr_block_per_row_multipass_kernelILj256ELj64ELj32E21rocsparse_complex_numIdEEEv20rocsparse_direction_iiiiii21rocsparse_index_base_PKT2_PKiS9_S4_PS5_PiSB_,comdat
	.globl	_ZN9rocsparseL40csr2gebsr_block_per_row_multipass_kernelILj256ELj64ELj32E21rocsparse_complex_numIdEEEv20rocsparse_direction_iiiiii21rocsparse_index_base_PKT2_PKiS9_S4_PS5_PiSB_ ; -- Begin function _ZN9rocsparseL40csr2gebsr_block_per_row_multipass_kernelILj256ELj64ELj32E21rocsparse_complex_numIdEEEv20rocsparse_direction_iiiiii21rocsparse_index_base_PKT2_PKiS9_S4_PS5_PiSB_
	.p2align	8
	.type	_ZN9rocsparseL40csr2gebsr_block_per_row_multipass_kernelILj256ELj64ELj32E21rocsparse_complex_numIdEEEv20rocsparse_direction_iiiiii21rocsparse_index_base_PKT2_PKiS9_S4_PS5_PiSB_,@function
_ZN9rocsparseL40csr2gebsr_block_per_row_multipass_kernelILj256ELj64ELj32E21rocsparse_complex_numIdEEEv20rocsparse_direction_iiiiii21rocsparse_index_base_PKT2_PKiS9_S4_PS5_PiSB_: ; @_ZN9rocsparseL40csr2gebsr_block_per_row_multipass_kernelILj256ELj64ELj32E21rocsparse_complex_numIdEEEv20rocsparse_direction_iiiiii21rocsparse_index_base_PKT2_PKiS9_S4_PS5_PiSB_
; %bb.0:
	s_load_dwordx4 s[20:23], s[0:1], 0x10
	s_load_dwordx2 s[6:7], s[0:1], 0x0
	s_load_dwordx2 s[8:9], s[0:1], 0x28
	v_lshrrev_b32_e32 v1, 2, v0
	v_mov_b32_e32 v28, 0
	s_waitcnt lgkmcnt(0)
	s_mul_i32 s3, s2, s21
	v_add_u32_e32 v2, s3, v1
	v_cmp_gt_i32_e64 s[4:5], s7, v2
	v_cmp_gt_i32_e32 vcc, s21, v1
	s_and_b64 s[4:5], vcc, s[4:5]
	v_mov_b32_e32 v42, 0
	s_and_saveexec_b64 s[10:11], s[4:5]
	s_cbranch_execnz .LBB227_3
; %bb.1:
	s_or_b64 exec, exec, s[10:11]
	s_and_saveexec_b64 s[10:11], s[4:5]
	s_cbranch_execnz .LBB227_4
.LBB227_2:
	s_or_b64 exec, exec, s[10:11]
	s_cmp_lt_i32 s20, 1
	s_cbranch_scc0 .LBB227_5
	s_branch .LBB227_49
.LBB227_3:
	v_ashrrev_i32_e32 v3, 31, v2
	v_lshl_add_u64 v[4:5], v[2:3], 2, s[8:9]
	global_load_dword v3, v[4:5], off
	s_waitcnt vmcnt(0)
	v_subrev_u32_e32 v42, s23, v3
	s_or_b64 exec, exec, s[10:11]
	s_and_saveexec_b64 s[10:11], s[4:5]
	s_cbranch_execz .LBB227_2
.LBB227_4:
	v_ashrrev_i32_e32 v3, 31, v2
	v_lshl_add_u64 v[2:3], v[2:3], 2, s[8:9]
	global_load_dword v2, v[2:3], off offset:4
	s_waitcnt vmcnt(0)
	v_subrev_u32_e32 v28, s23, v2
	s_or_b64 exec, exec, s[10:11]
	s_cmp_lt_i32 s20, 1
	s_cbranch_scc1 .LBB227_49
.LBB227_5:
	s_load_dwordx4 s[8:11], s[0:1], 0x40
	s_load_dwordx2 s[28:29], s[0:1], 0x50
	s_load_dword s33, s[0:1], 0x38
	s_ashr_i32 s3, s2, 31
	s_lshl_b64 s[2:3], s[2:3], 2
	s_waitcnt lgkmcnt(0)
	s_add_u32 s2, s10, s2
	s_addc_u32 s3, s11, s3
	s_load_dword s4, s[2:3], 0x0
	s_load_dwordx2 s[30:31], s[0:1], 0x20
	s_load_dwordx2 s[34:35], s[0:1], 0x30
	v_mbcnt_lo_u32_b32 v2, -1, 0
	v_mbcnt_hi_u32_b32 v2, -1, v2
	s_waitcnt lgkmcnt(0)
	s_sub_i32 s36, s4, s33
	s_cmp_eq_u32 s6, 0
	s_cselect_b64 s[0:1], -1, 0
	s_ashr_i32 s66, s22, 31
	v_lshl_or_b32 v32, v2, 2, 12
	s_mul_hi_u32 s2, s22, s21
	s_mul_i32 s3, s66, s21
	v_mul_lo_u32 v2, v1, s22
	v_and_b32_e32 v29, 3, v0
	v_lshlrev_b32_e32 v30, 5, v1
	s_add_i32 s67, s2, s3
	v_lshlrev_b32_e32 v4, 4, v1
	v_mov_b32_e32 v5, 0
	v_ashrrev_i32_e32 v3, 31, v2
	s_movk_i32 s2, 0x80
	v_lshl_add_u64 v[6:7], s[8:9], 0, v[4:5]
	v_lshl_add_u64 v[2:3], v[2:3], 4, s[8:9]
	v_lshlrev_b32_e32 v33, 2, v0
	v_cmp_gt_u32_e64 s[2:3], s2, v0
	v_cmp_gt_u32_e64 s[4:5], 64, v0
	;; [unrolled: 1-line block ×7, first 2 shown]
	v_cmp_eq_u32_e64 s[16:17], 0, v0
	v_or_b32_e32 v0, v30, v29
	v_lshlrev_b32_e32 v34, 4, v0
	v_cmp_gt_u32_e64 s[18:19], s22, v29
	v_or_b32_e32 v0, 4, v29
	s_and_b64 s[38:39], vcc, s[18:19]
	v_cmp_gt_u32_e64 s[18:19], s22, v0
	v_or_b32_e32 v0, 8, v29
	s_and_b64 s[40:41], vcc, s[18:19]
	;; [unrolled: 3-line block ×3, first 2 shown]
	v_cmp_gt_u32_e64 s[18:19], s22, v0
	v_or_b32_e32 v0, 16, v29
	v_lshlrev_b32_e32 v4, 4, v29
	s_and_b64 s[44:45], vcc, s[18:19]
	v_cmp_gt_u32_e64 s[18:19], s22, v0
	v_or_b32_e32 v0, 20, v29
	s_mul_i32 s68, s22, s21
	v_lshl_add_u64 v[8:9], v[2:3], 0, v[4:5]
	v_mul_lo_u32 v4, v29, s21
	s_lshl_b32 s25, s21, 2
	s_and_b64 s[46:47], vcc, s[18:19]
	v_cmp_gt_u32_e64 s[18:19], s22, v0
	v_or_b32_e32 v0, 24, v29
	s_abs_i32 s21, s22
	s_and_b64 s[48:49], vcc, s[18:19]
	v_cmp_gt_u32_e64 s[18:19], s22, v0
	v_cvt_f32_u32_e32 v0, s21
	v_add_u32_e32 v10, s25, v4
	v_add_u32_e32 v12, s25, v10
	;; [unrolled: 1-line block ×3, first 2 shown]
	v_rcp_iflag_f32_e32 v0, v0
	v_or_b32_e32 v1, 28, v29
	v_add_u32_e32 v16, s25, v14
	s_and_b64 s[50:51], vcc, s[18:19]
	v_mul_f32_e32 v0, 0x4f7ffffe, v0
	v_cvt_u32_f32_e32 v0, v0
	v_cmp_gt_u32_e64 s[18:19], s22, v1
	v_add_u32_e32 v18, s25, v16
	s_and_b64 s[52:53], vcc, s[18:19]
	s_sub_i32 s18, 0, s21
	s_mov_b32 s24, 0
	v_add_u32_e32 v20, s25, v18
	v_mul_lo_u32 v1, s18, v0
	v_add_u32_e32 v22, s25, v20
	v_mul_hi_u32 v1, v0, v1
	s_mov_b32 s25, s24
	v_add_u32_e32 v43, v0, v1
	s_mov_b32 s26, s24
	s_mov_b32 s27, s24
	v_mov_b64_e32 v[0:1], s[24:25]
	v_mov_b32_e32 v31, 0
	v_or_b32_e32 v35, 64, v34
	v_or_b32_e32 v36, 0x80, v34
	;; [unrolled: 1-line block ×7, first 2 shown]
	v_mov_b32_e32 v11, v5
	v_mov_b32_e32 v13, v5
	;; [unrolled: 1-line block ×7, first 2 shown]
	v_mov_b64_e32 v[2:3], s[26:27]
	s_mov_b64 s[24:25], 0x80
	s_mov_b64 s[26:27], 0xc0
	;; [unrolled: 1-line block ×6, first 2 shown]
	v_mov_b32_e32 v44, 1
	v_mov_b32_e32 v26, 0
	s_branch .LBB227_7
.LBB227_6:                              ;   in Loop: Header=BB227_7 Depth=1
	s_or_b64 exec, exec, s[18:19]
	s_waitcnt lgkmcnt(0)
	s_barrier
	ds_read_b32 v26, v5
	s_add_i32 s36, s37, s36
	s_waitcnt lgkmcnt(0)
	s_barrier
	v_cmp_gt_i32_e32 vcc, s20, v26
	s_cbranch_vccz .LBB227_49
.LBB227_7:                              ; =>This Loop Header: Depth=1
                                        ;     Child Loop BB227_10 Depth 2
	v_add_u32_e32 v24, v42, v29
	v_cmp_lt_i32_e32 vcc, v24, v28
	v_mov_b32_e32 v45, s20
	v_mov_b32_e32 v42, v28
	ds_write_b8 v5, v31 offset:32768
	ds_write_b128 v34, v[0:3]
	ds_write_b128 v34, v[0:3] offset:64
	ds_write_b128 v34, v[0:3] offset:128
	;; [unrolled: 1-line block ×7, first 2 shown]
	s_waitcnt lgkmcnt(0)
	s_barrier
	s_and_saveexec_b64 s[62:63], vcc
	s_cbranch_execz .LBB227_15
; %bb.8:                                ;   in Loop: Header=BB227_7 Depth=1
	v_mul_lo_u32 v27, v26, s22
	s_mov_b64 s[64:65], 0
	v_mov_b32_e32 v45, s20
	v_mov_b32_e32 v42, v28
	s_branch .LBB227_10
.LBB227_9:                              ;   in Loop: Header=BB227_10 Depth=2
	s_or_b64 exec, exec, s[18:19]
	v_add_u32_e32 v24, 4, v24
	v_cmp_ge_i32_e64 s[18:19], v24, v28
	s_xor_b64 s[70:71], vcc, -1
	s_or_b64 s[18:19], s[70:71], s[18:19]
	s_and_b64 s[18:19], exec, s[18:19]
	s_or_b64 s[64:65], s[18:19], s[64:65]
	s_andn2_b64 exec, exec, s[64:65]
	s_cbranch_execz .LBB227_14
.LBB227_10:                             ;   Parent Loop BB227_7 Depth=1
                                        ; =>  This Inner Loop Header: Depth=2
	v_ashrrev_i32_e32 v25, 31, v24
	v_lshl_add_u64 v[46:47], v[24:25], 2, s[34:35]
	global_load_dword v46, v[46:47], off
	s_waitcnt vmcnt(0)
	v_subrev_u32_e32 v46, s23, v46
	v_sub_u32_e32 v48, 0, v46
	v_max_i32_e32 v48, v46, v48
	v_mul_hi_u32 v49, v48, v43
	v_mul_lo_u32 v50, v49, s21
	v_sub_u32_e32 v48, v48, v50
	v_add_u32_e32 v51, 1, v49
	v_cmp_le_u32_e32 vcc, s21, v48
	v_subrev_u32_e32 v50, s21, v48
	v_ashrrev_i32_e32 v47, 31, v46
	v_cndmask_b32_e32 v49, v49, v51, vcc
	v_cndmask_b32_e32 v48, v48, v50, vcc
	v_add_u32_e32 v50, 1, v49
	v_cmp_le_u32_e32 vcc, s21, v48
	v_xor_b32_e32 v47, s66, v47
	s_nop 0
	v_cndmask_b32_e32 v48, v49, v50, vcc
	v_xor_b32_e32 v48, v48, v47
	v_sub_u32_e32 v48, v48, v47
	v_cmp_eq_u32_e32 vcc, v48, v26
	v_cmp_ne_u32_e64 s[18:19], v48, v26
	v_mov_b32_e32 v47, v42
	s_and_saveexec_b64 s[70:71], s[18:19]
	s_xor_b64 s[18:19], exec, s[70:71]
; %bb.11:                               ;   in Loop: Header=BB227_10 Depth=2
	v_min_i32_e32 v45, v48, v45
                                        ; implicit-def: $vgpr46
                                        ; implicit-def: $vgpr47
; %bb.12:                               ;   in Loop: Header=BB227_10 Depth=2
	s_or_saveexec_b64 s[18:19], s[18:19]
	v_mov_b32_e32 v42, v24
	s_xor_b64 exec, exec, s[18:19]
	s_cbranch_execz .LBB227_9
; %bb.13:                               ;   in Loop: Header=BB227_10 Depth=2
	v_lshl_add_u64 v[48:49], v[24:25], 4, s[30:31]
	global_load_dwordx4 v[48:51], v[48:49], off
	v_sub_u32_e32 v25, v46, v27
	v_add_lshl_u32 v25, v25, v30, 4
	v_mov_b32_e32 v42, v47
	ds_write_b8 v5, v44 offset:32768
	s_waitcnt vmcnt(0)
	ds_write2_b64 v25, v[48:49], v[50:51] offset1:1
	s_branch .LBB227_9
.LBB227_14:                             ;   in Loop: Header=BB227_7 Depth=1
	s_or_b64 exec, exec, s[64:65]
.LBB227_15:                             ;   in Loop: Header=BB227_7 Depth=1
	s_or_b64 exec, exec, s[62:63]
	v_mov_b32_dpp v24, v42 row_shr:1 row_mask:0xf bank_mask:0xf
	v_min_i32_e32 v24, v24, v42
	s_waitcnt lgkmcnt(0)
	s_barrier
	ds_read_u8 v25, v5 offset:32768
	v_mov_b32_dpp v27, v24 row_shr:2 row_mask:0xf bank_mask:0xf
	v_min_i32_e32 v24, v27, v24
	ds_bpermute_b32 v42, v32, v24
	s_mov_b32 s37, 0
	s_waitcnt lgkmcnt(1)
	v_cmp_eq_u32_e32 vcc, 0, v25
	s_cbranch_vccnz .LBB227_26
; %bb.16:                               ;   in Loop: Header=BB227_7 Depth=1
	s_ashr_i32 s37, s36, 31
	s_lshl_b64 s[18:19], s[36:37], 2
	s_add_u32 s18, s28, s18
	v_add_u32_e32 v24, s33, v26
	s_addc_u32 s19, s29, s19
	global_store_dword v5, v24, s[18:19]
	s_mul_hi_u32 s18, s68, s36
	s_mul_i32 s19, s68, s37
	s_add_i32 s18, s18, s19
	s_mul_i32 s19, s67, s36
	s_add_i32 s19, s18, s19
	s_mul_i32 s18, s68, s36
	s_lshl_b64 s[18:19], s[18:19], 4
	v_lshl_add_u64 v[24:25], v[6:7], 0, s[18:19]
	v_lshl_add_u64 v[26:27], v[8:9], 0, s[18:19]
	s_and_saveexec_b64 s[18:19], s[38:39]
	s_cbranch_execnz .LBB227_42
; %bb.17:                               ;   in Loop: Header=BB227_7 Depth=1
	s_or_b64 exec, exec, s[18:19]
	s_and_saveexec_b64 s[18:19], s[40:41]
	s_cbranch_execnz .LBB227_43
.LBB227_18:                             ;   in Loop: Header=BB227_7 Depth=1
	s_or_b64 exec, exec, s[18:19]
	s_and_saveexec_b64 s[18:19], s[42:43]
	s_cbranch_execnz .LBB227_44
.LBB227_19:                             ;   in Loop: Header=BB227_7 Depth=1
	s_or_b64 exec, exec, s[18:19]
	s_and_saveexec_b64 s[18:19], s[44:45]
	s_cbranch_execnz .LBB227_45
.LBB227_20:                             ;   in Loop: Header=BB227_7 Depth=1
	s_or_b64 exec, exec, s[18:19]
	s_and_saveexec_b64 s[18:19], s[46:47]
	s_cbranch_execnz .LBB227_46
.LBB227_21:                             ;   in Loop: Header=BB227_7 Depth=1
	s_or_b64 exec, exec, s[18:19]
	s_and_saveexec_b64 s[18:19], s[48:49]
	s_cbranch_execnz .LBB227_47
.LBB227_22:                             ;   in Loop: Header=BB227_7 Depth=1
	s_or_b64 exec, exec, s[18:19]
	s_and_saveexec_b64 s[18:19], s[50:51]
	s_cbranch_execnz .LBB227_48
.LBB227_23:                             ;   in Loop: Header=BB227_7 Depth=1
	s_or_b64 exec, exec, s[18:19]
	s_and_saveexec_b64 s[18:19], s[52:53]
	s_cbranch_execz .LBB227_25
.LBB227_24:                             ;   in Loop: Header=BB227_7 Depth=1
	ds_read2_b64 v[46:49], v41 offset1:1
	v_lshl_add_u64 v[26:27], v[26:27], 0, s[60:61]
	v_lshl_add_u64 v[24:25], v[22:23], 4, v[24:25]
	v_cndmask_b32_e64 v25, v25, v27, s[0:1]
	v_cndmask_b32_e64 v24, v24, v26, s[0:1]
	s_waitcnt lgkmcnt(0)
	global_store_dwordx4 v[24:25], v[46:49], off
.LBB227_25:                             ;   in Loop: Header=BB227_7 Depth=1
	s_or_b64 exec, exec, s[18:19]
	s_mov_b32 s37, 1
.LBB227_26:                             ;   in Loop: Header=BB227_7 Depth=1
	s_waitcnt lgkmcnt(0)
	s_barrier
	ds_write_b32 v33, v45
	s_waitcnt lgkmcnt(0)
	s_barrier
	s_and_saveexec_b64 s[18:19], s[2:3]
	s_cbranch_execz .LBB227_28
; %bb.27:                               ;   in Loop: Header=BB227_7 Depth=1
	ds_read2st64_b32 v[24:25], v33 offset1:2
	s_waitcnt lgkmcnt(0)
	v_min_i32_e32 v24, v25, v24
	ds_write_b32 v33, v24
.LBB227_28:                             ;   in Loop: Header=BB227_7 Depth=1
	s_or_b64 exec, exec, s[18:19]
	s_waitcnt lgkmcnt(0)
	s_barrier
	s_and_saveexec_b64 s[18:19], s[4:5]
	s_cbranch_execz .LBB227_30
; %bb.29:                               ;   in Loop: Header=BB227_7 Depth=1
	ds_read2st64_b32 v[24:25], v33 offset1:1
	s_waitcnt lgkmcnt(0)
	v_min_i32_e32 v24, v25, v24
	ds_write_b32 v33, v24
.LBB227_30:                             ;   in Loop: Header=BB227_7 Depth=1
	s_or_b64 exec, exec, s[18:19]
	s_waitcnt lgkmcnt(0)
	s_barrier
	s_and_saveexec_b64 s[18:19], s[6:7]
	s_cbranch_execz .LBB227_32
; %bb.31:                               ;   in Loop: Header=BB227_7 Depth=1
	ds_read2_b32 v[24:25], v33 offset1:32
	s_waitcnt lgkmcnt(0)
	v_min_i32_e32 v24, v25, v24
	ds_write_b32 v33, v24
.LBB227_32:                             ;   in Loop: Header=BB227_7 Depth=1
	s_or_b64 exec, exec, s[18:19]
	s_waitcnt lgkmcnt(0)
	s_barrier
	s_and_saveexec_b64 s[18:19], s[8:9]
	s_cbranch_execz .LBB227_34
; %bb.33:                               ;   in Loop: Header=BB227_7 Depth=1
	ds_read2_b32 v[24:25], v33 offset1:16
	s_waitcnt lgkmcnt(0)
	v_min_i32_e32 v24, v25, v24
	ds_write_b32 v33, v24
.LBB227_34:                             ;   in Loop: Header=BB227_7 Depth=1
	;; [unrolled: 11-line block ×5, first 2 shown]
	s_or_b64 exec, exec, s[18:19]
	s_waitcnt lgkmcnt(0)
	s_barrier
	s_and_saveexec_b64 s[18:19], s[16:17]
	s_cbranch_execz .LBB227_6
; %bb.41:                               ;   in Loop: Header=BB227_7 Depth=1
	ds_read_b64 v[24:25], v5
	s_waitcnt lgkmcnt(0)
	v_min_i32_e32 v24, v25, v24
	ds_write_b32 v5, v24
	s_branch .LBB227_6
.LBB227_42:                             ;   in Loop: Header=BB227_7 Depth=1
	ds_read2_b64 v[46:49], v34 offset1:1
	v_lshl_add_u64 v[50:51], v[4:5], 4, v[24:25]
	v_cndmask_b32_e64 v51, v51, v27, s[0:1]
	v_cndmask_b32_e64 v50, v50, v26, s[0:1]
	s_waitcnt lgkmcnt(0)
	global_store_dwordx4 v[50:51], v[46:49], off
	s_or_b64 exec, exec, s[18:19]
	s_and_saveexec_b64 s[18:19], s[40:41]
	s_cbranch_execz .LBB227_18
.LBB227_43:                             ;   in Loop: Header=BB227_7 Depth=1
	ds_read2_b64 v[46:49], v35 offset1:1
	v_lshl_add_u64 v[50:51], v[26:27], 0, 64
	v_lshl_add_u64 v[52:53], v[10:11], 4, v[24:25]
	v_cndmask_b32_e64 v51, v53, v51, s[0:1]
	v_cndmask_b32_e64 v50, v52, v50, s[0:1]
	s_waitcnt lgkmcnt(0)
	global_store_dwordx4 v[50:51], v[46:49], off
	s_or_b64 exec, exec, s[18:19]
	s_and_saveexec_b64 s[18:19], s[42:43]
	s_cbranch_execz .LBB227_19
.LBB227_44:                             ;   in Loop: Header=BB227_7 Depth=1
	ds_read2_b64 v[46:49], v36 offset1:1
	v_lshl_add_u64 v[50:51], v[26:27], 0, s[24:25]
	v_lshl_add_u64 v[52:53], v[12:13], 4, v[24:25]
	v_cndmask_b32_e64 v51, v53, v51, s[0:1]
	v_cndmask_b32_e64 v50, v52, v50, s[0:1]
	s_waitcnt lgkmcnt(0)
	global_store_dwordx4 v[50:51], v[46:49], off
	s_or_b64 exec, exec, s[18:19]
	s_and_saveexec_b64 s[18:19], s[44:45]
	s_cbranch_execz .LBB227_20
.LBB227_45:                             ;   in Loop: Header=BB227_7 Depth=1
	ds_read2_b64 v[46:49], v37 offset1:1
	v_lshl_add_u64 v[50:51], v[26:27], 0, s[26:27]
	v_lshl_add_u64 v[52:53], v[14:15], 4, v[24:25]
	v_cndmask_b32_e64 v51, v53, v51, s[0:1]
	v_cndmask_b32_e64 v50, v52, v50, s[0:1]
	s_waitcnt lgkmcnt(0)
	global_store_dwordx4 v[50:51], v[46:49], off
	s_or_b64 exec, exec, s[18:19]
	s_and_saveexec_b64 s[18:19], s[46:47]
	s_cbranch_execz .LBB227_21
.LBB227_46:                             ;   in Loop: Header=BB227_7 Depth=1
	ds_read2_b64 v[46:49], v38 offset1:1
	v_lshl_add_u64 v[50:51], v[26:27], 0, s[54:55]
	v_lshl_add_u64 v[52:53], v[16:17], 4, v[24:25]
	v_cndmask_b32_e64 v51, v53, v51, s[0:1]
	v_cndmask_b32_e64 v50, v52, v50, s[0:1]
	s_waitcnt lgkmcnt(0)
	global_store_dwordx4 v[50:51], v[46:49], off
	s_or_b64 exec, exec, s[18:19]
	s_and_saveexec_b64 s[18:19], s[48:49]
	s_cbranch_execz .LBB227_22
.LBB227_47:                             ;   in Loop: Header=BB227_7 Depth=1
	ds_read2_b64 v[46:49], v39 offset1:1
	v_lshl_add_u64 v[50:51], v[26:27], 0, s[56:57]
	v_lshl_add_u64 v[52:53], v[18:19], 4, v[24:25]
	v_cndmask_b32_e64 v51, v53, v51, s[0:1]
	v_cndmask_b32_e64 v50, v52, v50, s[0:1]
	s_waitcnt lgkmcnt(0)
	global_store_dwordx4 v[50:51], v[46:49], off
	s_or_b64 exec, exec, s[18:19]
	s_and_saveexec_b64 s[18:19], s[50:51]
	s_cbranch_execz .LBB227_23
.LBB227_48:                             ;   in Loop: Header=BB227_7 Depth=1
	ds_read2_b64 v[46:49], v40 offset1:1
	v_lshl_add_u64 v[50:51], v[26:27], 0, s[58:59]
	v_lshl_add_u64 v[52:53], v[20:21], 4, v[24:25]
	v_cndmask_b32_e64 v51, v53, v51, s[0:1]
	v_cndmask_b32_e64 v50, v52, v50, s[0:1]
	s_waitcnt lgkmcnt(0)
	global_store_dwordx4 v[50:51], v[46:49], off
	s_or_b64 exec, exec, s[18:19]
	s_and_saveexec_b64 s[18:19], s[52:53]
	s_cbranch_execnz .LBB227_24
	s_branch .LBB227_25
.LBB227_49:
	s_endpgm
	.section	.rodata,"a",@progbits
	.p2align	6, 0x0
	.amdhsa_kernel _ZN9rocsparseL40csr2gebsr_block_per_row_multipass_kernelILj256ELj64ELj32E21rocsparse_complex_numIdEEEv20rocsparse_direction_iiiiii21rocsparse_index_base_PKT2_PKiS9_S4_PS5_PiSB_
		.amdhsa_group_segment_fixed_size 32776
		.amdhsa_private_segment_fixed_size 0
		.amdhsa_kernarg_size 88
		.amdhsa_user_sgpr_count 2
		.amdhsa_user_sgpr_dispatch_ptr 0
		.amdhsa_user_sgpr_queue_ptr 0
		.amdhsa_user_sgpr_kernarg_segment_ptr 1
		.amdhsa_user_sgpr_dispatch_id 0
		.amdhsa_user_sgpr_kernarg_preload_length 0
		.amdhsa_user_sgpr_kernarg_preload_offset 0
		.amdhsa_user_sgpr_private_segment_size 0
		.amdhsa_uses_dynamic_stack 0
		.amdhsa_enable_private_segment 0
		.amdhsa_system_sgpr_workgroup_id_x 1
		.amdhsa_system_sgpr_workgroup_id_y 0
		.amdhsa_system_sgpr_workgroup_id_z 0
		.amdhsa_system_sgpr_workgroup_info 0
		.amdhsa_system_vgpr_workitem_id 0
		.amdhsa_next_free_vgpr 54
		.amdhsa_next_free_sgpr 72
		.amdhsa_accum_offset 56
		.amdhsa_reserve_vcc 1
		.amdhsa_float_round_mode_32 0
		.amdhsa_float_round_mode_16_64 0
		.amdhsa_float_denorm_mode_32 3
		.amdhsa_float_denorm_mode_16_64 3
		.amdhsa_dx10_clamp 1
		.amdhsa_ieee_mode 1
		.amdhsa_fp16_overflow 0
		.amdhsa_tg_split 0
		.amdhsa_exception_fp_ieee_invalid_op 0
		.amdhsa_exception_fp_denorm_src 0
		.amdhsa_exception_fp_ieee_div_zero 0
		.amdhsa_exception_fp_ieee_overflow 0
		.amdhsa_exception_fp_ieee_underflow 0
		.amdhsa_exception_fp_ieee_inexact 0
		.amdhsa_exception_int_div_zero 0
	.end_amdhsa_kernel
	.section	.text._ZN9rocsparseL40csr2gebsr_block_per_row_multipass_kernelILj256ELj64ELj32E21rocsparse_complex_numIdEEEv20rocsparse_direction_iiiiii21rocsparse_index_base_PKT2_PKiS9_S4_PS5_PiSB_,"axG",@progbits,_ZN9rocsparseL40csr2gebsr_block_per_row_multipass_kernelILj256ELj64ELj32E21rocsparse_complex_numIdEEEv20rocsparse_direction_iiiiii21rocsparse_index_base_PKT2_PKiS9_S4_PS5_PiSB_,comdat
.Lfunc_end227:
	.size	_ZN9rocsparseL40csr2gebsr_block_per_row_multipass_kernelILj256ELj64ELj32E21rocsparse_complex_numIdEEEv20rocsparse_direction_iiiiii21rocsparse_index_base_PKT2_PKiS9_S4_PS5_PiSB_, .Lfunc_end227-_ZN9rocsparseL40csr2gebsr_block_per_row_multipass_kernelILj256ELj64ELj32E21rocsparse_complex_numIdEEEv20rocsparse_direction_iiiiii21rocsparse_index_base_PKT2_PKiS9_S4_PS5_PiSB_
                                        ; -- End function
	.section	.AMDGPU.csdata,"",@progbits
; Kernel info:
; codeLenInByte = 2352
; NumSgprs: 78
; NumVgprs: 54
; NumAgprs: 0
; TotalNumVgprs: 54
; ScratchSize: 0
; MemoryBound: 0
; FloatMode: 240
; IeeeMode: 1
; LDSByteSize: 32776 bytes/workgroup (compile time only)
; SGPRBlocks: 9
; VGPRBlocks: 6
; NumSGPRsForWavesPerEU: 78
; NumVGPRsForWavesPerEU: 54
; AccumOffset: 56
; Occupancy: 1
; WaveLimiterHint : 0
; COMPUTE_PGM_RSRC2:SCRATCH_EN: 0
; COMPUTE_PGM_RSRC2:USER_SGPR: 2
; COMPUTE_PGM_RSRC2:TRAP_HANDLER: 0
; COMPUTE_PGM_RSRC2:TGID_X_EN: 1
; COMPUTE_PGM_RSRC2:TGID_Y_EN: 0
; COMPUTE_PGM_RSRC2:TGID_Z_EN: 0
; COMPUTE_PGM_RSRC2:TIDIG_COMP_CNT: 0
; COMPUTE_PGM_RSRC3_GFX90A:ACCUM_OFFSET: 13
; COMPUTE_PGM_RSRC3_GFX90A:TG_SPLIT: 0
	.section	.text._ZN9rocsparseL23csr2gebsr_65_inf_kernelILi32E21rocsparse_complex_numIdEEEv20rocsparse_direction_iiiiiii21rocsparse_index_base_PKT0_PKiS9_S4_PS5_PiSB_SB_SA_,"axG",@progbits,_ZN9rocsparseL23csr2gebsr_65_inf_kernelILi32E21rocsparse_complex_numIdEEEv20rocsparse_direction_iiiiiii21rocsparse_index_base_PKT0_PKiS9_S4_PS5_PiSB_SB_SA_,comdat
	.globl	_ZN9rocsparseL23csr2gebsr_65_inf_kernelILi32E21rocsparse_complex_numIdEEEv20rocsparse_direction_iiiiiii21rocsparse_index_base_PKT0_PKiS9_S4_PS5_PiSB_SB_SA_ ; -- Begin function _ZN9rocsparseL23csr2gebsr_65_inf_kernelILi32E21rocsparse_complex_numIdEEEv20rocsparse_direction_iiiiiii21rocsparse_index_base_PKT0_PKiS9_S4_PS5_PiSB_SB_SA_
	.p2align	8
	.type	_ZN9rocsparseL23csr2gebsr_65_inf_kernelILi32E21rocsparse_complex_numIdEEEv20rocsparse_direction_iiiiiii21rocsparse_index_base_PKT0_PKiS9_S4_PS5_PiSB_SB_SA_,@function
_ZN9rocsparseL23csr2gebsr_65_inf_kernelILi32E21rocsparse_complex_numIdEEEv20rocsparse_direction_iiiiiii21rocsparse_index_base_PKT0_PKiS9_S4_PS5_PiSB_SB_SA_: ; @_ZN9rocsparseL23csr2gebsr_65_inf_kernelILi32E21rocsparse_complex_numIdEEEv20rocsparse_direction_iiiiiii21rocsparse_index_base_PKT0_PKiS9_S4_PS5_PiSB_SB_SA_
; %bb.0:
	s_load_dwordx4 s[8:11], s[0:1], 0x0
	s_load_dwordx2 s[4:5], s[0:1], 0x60
	s_load_dword s33, s[0:1], 0x40
	s_waitcnt lgkmcnt(0)
	s_cmp_ge_i32 s2, s11
	s_mov_b32 s11, 0
	s_cbranch_scc1 .LBB228_2
; %bb.1:
	s_load_dwordx2 s[6:7], s[0:1], 0x50
	s_ashr_i32 s3, s2, 31
	s_lshl_b64 s[12:13], s[2:3], 2
	s_waitcnt lgkmcnt(0)
	s_add_u32 s6, s6, s12
	s_addc_u32 s7, s7, s13
	s_load_dword s3, s[6:7], 0x0
	s_waitcnt lgkmcnt(0)
	s_sub_i32 s11, s3, s33
.LBB228_2:
	s_load_dwordx4 s[12:15], s[0:1], 0x14
	s_waitcnt lgkmcnt(0)
	s_mul_i32 s3, s2, s14
	s_mul_i32 s6, s3, 0x60
	s_ashr_i32 s7, s6, 31
	s_lshl_b64 s[6:7], s[6:7], 2
	s_add_u32 s22, s4, s6
	s_addc_u32 s23, s5, s7
	s_lshl_b32 s20, s14, 5
	v_mul_lo_u32 v2, v0, s14
	s_ashr_i32 s21, s20, 31
	v_ashrrev_i32_e32 v3, 31, v2
	s_cmp_gt_i32 s14, 0
	s_cselect_b64 s[24:25], -1, 0
	s_cmp_lt_i32 s14, 1
	v_lshl_add_u64 v[6:7], v[2:3], 2, s[22:23]
	s_cbranch_scc1 .LBB228_7
; %bb.3:
	s_load_dwordx2 s[6:7], s[0:1], 0x30
	s_mul_i32 s3, s2, s12
	s_lshl_b64 s[16:17], s[20:21], 2
	v_mov_b32_e32 v1, 0
	v_mov_b32_e32 v12, v0
	v_mov_b64_e32 v[4:5], v[6:7]
	s_mov_b32 s18, s14
	s_branch .LBB228_5
.LBB228_4:                              ;   in Loop: Header=BB228_5 Depth=1
	s_or_b64 exec, exec, s[4:5]
	s_add_i32 s18, s18, -1
	v_lshl_add_u64 v[4:5], v[4:5], 0, 4
	s_cmp_eq_u32 s18, 0
	v_add_u32_e32 v12, 32, v12
	s_cbranch_scc1 .LBB228_7
.LBB228_5:                              ; =>This Inner Loop Header: Depth=1
	v_add_u32_e32 v10, s3, v12
	v_cmp_gt_i32_e32 vcc, s9, v10
	v_cmp_gt_i32_e64 s[4:5], s12, v12
	v_lshl_add_u64 v[8:9], v[4:5], 0, s[16:17]
	s_and_b64 s[26:27], vcc, s[4:5]
	global_store_dword v[4:5], v1, off
	global_store_dword v[8:9], v1, off
	s_and_saveexec_b64 s[4:5], s[26:27]
	s_cbranch_execz .LBB228_4
; %bb.6:                                ;   in Loop: Header=BB228_5 Depth=1
	v_ashrrev_i32_e32 v11, 31, v10
	s_waitcnt lgkmcnt(0)
	v_lshl_add_u64 v[10:11], v[10:11], 2, s[6:7]
	global_load_dwordx2 v[10:11], v[10:11], off
	s_waitcnt vmcnt(0)
	v_subrev_u32_e32 v10, s15, v10
	v_subrev_u32_e32 v11, s15, v11
	global_store_dword v[4:5], v10, off
	global_store_dword v[8:9], v11, off
	s_branch .LBB228_4
.LBB228_7:
	s_cmp_lt_i32 s10, 1
	s_cbranch_scc1 .LBB228_37
; %bb.8:
	s_load_dwordx2 s[26:27], s[0:1], 0x68
	s_load_dwordx2 s[4:5], s[0:1], 0x28
	s_waitcnt lgkmcnt(0)
	s_load_dwordx2 s[6:7], s[0:1], 0x58
	s_load_dwordx2 s[16:17], s[0:1], 0x48
	;; [unrolled: 1-line block ×3, first 2 shown]
	s_lshl_b64 s[0:1], s[20:21], 2
	s_add_u32 s0, s22, s0
	s_addc_u32 s1, s23, s1
	s_ashr_i32 s23, s14, 31
	s_mov_b32 s22, s14
	v_lshlrev_b64 v[4:5], 2, v[2:3]
	s_lshl_b64 s[22:23], s[22:23], 7
	v_lshl_add_u64 v[8:9], s[0:1], 0, v[4:5]
	s_add_u32 s0, s0, s22
	s_addc_u32 s1, s1, s23
	v_lshl_add_u64 v[10:11], s[0:1], 0, v[4:5]
	s_mul_i32 s0, s20, s2
	s_ashr_i32 s1, s0, 31
	s_lshl_b64 s[0:1], s[0:1], 4
	s_add_u32 s0, s26, s0
	s_addc_u32 s1, s27, s1
	s_cmp_lg_u32 s8, 0
	s_cselect_b64 s[20:21], -1, 0
	s_abs_i32 s38, s13
	v_cvt_f32_u32_e32 v1, s38
	v_lshl_add_u64 v[12:13], v[2:3], 4, s[0:1]
	v_mbcnt_lo_u32_b32 v3, -1, 0
	v_mbcnt_hi_u32_b32 v3, -1, v3
	v_rcp_iflag_f32_e32 v5, v1
	v_mov_b32_e32 v4, 0x7c
	v_lshl_or_b32 v1, v3, 2, v4
	s_sub_i32 s2, 0, s38
	v_mul_f32_e32 v3, 0x4f7ffffe, v5
	v_cvt_u32_f32_e32 v3, v3
	v_cmp_eq_u32_e64 s[0:1], 31, v0
	s_mov_b32 s9, 0
	v_mov_b32_e32 v2, 0
	v_mul_lo_u32 v4, s2, v3
	v_mul_hi_u32 v4, v3, v4
	v_add_u32_e32 v26, v3, v4
	v_cndmask_b32_e64 v3, 0, 1, s[24:25]
	s_add_i32 s39, s11, -1
	s_mul_hi_i32 s40, s13, s12
	s_mul_i32 s41, s13, s12
	s_ashr_i32 s42, s13, 31
	v_mov_b32_e32 v15, 0
	v_mul_lo_u32 v27, v0, s13
	s_lshl_b32 s43, s13, 5
	s_mov_b64 s[22:23], 0
	v_cmp_ne_u32_e64 s[2:3], 1, v3
	v_mov_b32_e32 v14, 0
	v_mov_b32_e32 v28, 0
	v_mov_b32_e32 v29, 0
	s_branch .LBB228_10
.LBB228_9:                              ;   in Loop: Header=BB228_10 Depth=1
	s_waitcnt lgkmcnt(0)
	v_add_u32_e32 v14, 1, v3
	v_cmp_le_i32_e32 vcc, s10, v14
	s_or_b64 s[22:23], vcc, s[22:23]
	s_andn2_b64 exec, exec, s[22:23]
	s_cbranch_execz .LBB228_37
.LBB228_10:                             ; =>This Loop Header: Depth=1
                                        ;     Child Loop BB228_14 Depth 2
                                        ;       Child Loop BB228_17 Depth 3
                                        ;     Child Loop BB228_31 Depth 2
	s_and_b64 vcc, exec, s[2:3]
	v_mov_b32_e32 v30, s10
	s_cbranch_vccnz .LBB228_23
; %bb.11:                               ;   in Loop: Header=BB228_10 Depth=1
	s_mov_b32 s8, 0
	v_mov_b32_e32 v30, s10
	s_branch .LBB228_14
.LBB228_12:                             ;   in Loop: Header=BB228_14 Depth=2
	s_or_b64 exec, exec, s[26:27]
.LBB228_13:                             ;   in Loop: Header=BB228_14 Depth=2
	s_or_b64 exec, exec, s[24:25]
	s_add_i32 s8, s8, 1
	s_cmp_eq_u32 s8, s14
	s_cbranch_scc1 .LBB228_23
.LBB228_14:                             ;   Parent Loop BB228_10 Depth=1
                                        ; =>  This Loop Header: Depth=2
                                        ;       Child Loop BB228_17 Depth 3
	s_lshl_b64 s[24:25], s[8:9], 2
	v_lshl_add_u64 v[16:17], v[10:11], 0, s[24:25]
	v_mov_b32_e32 v3, s10
	global_store_dword v[16:17], v3, off
	v_lshl_add_u64 v[18:19], v[6:7], 0, s[24:25]
	v_lshl_add_u64 v[4:5], v[8:9], 0, s[24:25]
	global_load_dword v22, v[18:19], off
	global_load_dword v31, v[4:5], off
	v_lshl_add_u64 v[20:21], s[8:9], 4, v[12:13]
	v_mov_b32_e32 v3, v2
	v_mov_b32_e32 v4, v2
	;; [unrolled: 1-line block ×3, first 2 shown]
	global_store_dwordx4 v[20:21], v[2:5], off
	s_waitcnt vmcnt(1)
	v_cmp_lt_i32_e32 vcc, v22, v31
	s_and_saveexec_b64 s[24:25], vcc
	s_cbranch_execz .LBB228_13
; %bb.15:                               ;   in Loop: Header=BB228_14 Depth=2
	v_ashrrev_i32_e32 v23, 31, v22
	v_lshl_add_u64 v[4:5], v[22:23], 4, s[4:5]
	s_waitcnt lgkmcnt(0)
	v_lshl_add_u64 v[24:25], v[22:23], 2, s[18:19]
	s_mov_b64 s[26:27], 0
                                        ; implicit-def: $sgpr28_sgpr29
                                        ; implicit-def: $sgpr34_sgpr35
                                        ; implicit-def: $sgpr30_sgpr31
	s_branch .LBB228_17
.LBB228_16:                             ;   in Loop: Header=BB228_17 Depth=3
	s_or_b64 exec, exec, s[36:37]
	s_and_b64 s[36:37], exec, s[34:35]
	s_or_b64 s[26:27], s[36:37], s[26:27]
	s_andn2_b64 s[28:29], s[28:29], exec
	s_and_b64 s[36:37], s[30:31], exec
	s_or_b64 s[28:29], s[28:29], s[36:37]
	s_andn2_b64 exec, exec, s[26:27]
	s_cbranch_execz .LBB228_19
.LBB228_17:                             ;   Parent Loop BB228_10 Depth=1
                                        ;     Parent Loop BB228_14 Depth=2
                                        ; =>    This Inner Loop Header: Depth=3
	global_load_dwordx4 v[32:35], v[4:5], off
	v_mov_b32_e32 v3, v22
	s_or_b64 s[30:31], s[30:31], exec
	s_or_b64 s[34:35], s[34:35], exec
                                        ; implicit-def: $vgpr22
	s_waitcnt vmcnt(0)
	global_store_dwordx4 v[20:21], v[32:35], off
	global_load_dword v23, v[24:25], off
	s_waitcnt vmcnt(0)
	v_subrev_u32_e32 v23, s15, v23
	v_cmp_lt_i32_e32 vcc, v23, v14
	s_and_saveexec_b64 s[36:37], vcc
	s_cbranch_execz .LBB228_16
; %bb.18:                               ;   in Loop: Header=BB228_17 Depth=3
	v_add_u32_e32 v22, 1, v3
	v_cmp_ge_i32_e32 vcc, v22, v31
	s_andn2_b64 s[34:35], s[34:35], exec
	s_and_b64 s[44:45], vcc, exec
	v_lshl_add_u64 v[4:5], v[4:5], 0, 16
	v_lshl_add_u64 v[24:25], v[24:25], 0, 4
	s_andn2_b64 s[30:31], s[30:31], exec
	s_or_b64 s[34:35], s[34:35], s[44:45]
	s_branch .LBB228_16
.LBB228_19:                             ;   in Loop: Header=BB228_14 Depth=2
	s_or_b64 exec, exec, s[26:27]
	s_xor_b64 s[26:27], s[28:29], -1
	s_and_saveexec_b64 s[28:29], s[26:27]
	s_xor_b64 s[26:27], exec, s[28:29]
	s_cbranch_execz .LBB228_21
; %bb.20:                               ;   in Loop: Header=BB228_14 Depth=2
	global_store_dword v[16:17], v23, off
                                        ; implicit-def: $vgpr16_vgpr17
                                        ; implicit-def: $vgpr18_vgpr19
.LBB228_21:                             ;   in Loop: Header=BB228_14 Depth=2
	s_andn2_saveexec_b64 s[26:27], s[26:27]
	s_cbranch_execz .LBB228_12
; %bb.22:                               ;   in Loop: Header=BB228_14 Depth=2
	v_min_i32_e32 v30, v23, v30
	global_store_dword v[16:17], v23, off
	global_store_dword v[18:19], v3, off
	s_branch .LBB228_12
.LBB228_23:                             ;   in Loop: Header=BB228_10 Depth=1
	s_nop 0
	v_mov_b32_dpp v3, v30 row_shr:1 row_mask:0xf bank_mask:0xf
	v_min_i32_e32 v3, v3, v30
	s_nop 1
	v_mov_b32_dpp v4, v3 row_shr:2 row_mask:0xf bank_mask:0xf
	v_min_i32_e32 v3, v4, v3
	;; [unrolled: 3-line block ×4, first 2 shown]
	s_nop 1
	v_mov_b32_dpp v4, v3 row_bcast:15 row_mask:0xa bank_mask:0xf
	v_min_i32_e32 v3, v4, v3
	v_cmp_gt_i32_e32 vcc, s10, v3
	s_and_b64 s[26:27], s[0:1], vcc
	s_and_saveexec_b64 s[24:25], s[26:27]
	s_cbranch_execz .LBB228_27
; %bb.24:                               ;   in Loop: Header=BB228_10 Depth=1
	v_sub_u32_e32 v5, 0, v3
	v_max_i32_e32 v5, v3, v5
	v_mul_hi_u32 v14, v5, v26
	v_mul_lo_u32 v16, v14, s38
	v_sub_u32_e32 v5, v5, v16
	v_add_u32_e32 v16, 1, v14
	v_cmp_le_u32_e32 vcc, s38, v5
	v_ashrrev_i32_e32 v4, 31, v3
	v_xor_b32_e32 v4, s42, v4
	v_cndmask_b32_e32 v14, v14, v16, vcc
	v_subrev_u32_e32 v16, s38, v5
	v_cndmask_b32_e32 v5, v5, v16, vcc
	v_add_u32_e32 v16, 1, v14
	v_cmp_le_u32_e32 vcc, s38, v5
	s_nop 1
	v_cndmask_b32_e32 v5, v14, v16, vcc
	v_xor_b32_e32 v5, v5, v4
	v_sub_u32_e32 v4, v5, v4
	v_cmp_ge_i32_e32 vcc, v4, v28
	s_and_saveexec_b64 s[26:27], vcc
	s_cbranch_execz .LBB228_26
; %bb.25:                               ;   in Loop: Header=BB228_10 Depth=1
	v_add_u32_e32 v16, s11, v29
	v_add_u32_e32 v5, 1, v29
	v_ashrrev_i32_e32 v17, 31, v16
	v_add_u32_e32 v28, 1, v4
	s_waitcnt lgkmcnt(0)
	v_lshl_add_u64 v[16:17], v[16:17], 2, s[6:7]
	v_add_u32_e32 v4, s33, v4
	v_mov_b32_e32 v29, v5
	global_store_dword v[16:17], v4, off
.LBB228_26:                             ;   in Loop: Header=BB228_10 Depth=1
	s_or_b64 exec, exec, s[26:27]
.LBB228_27:                             ;   in Loop: Header=BB228_10 Depth=1
	s_or_b64 exec, exec, s[24:25]
	ds_bpermute_b32 v3, v1, v3
	ds_bpermute_b32 v29, v1, v29
	s_and_b64 vcc, exec, s[2:3]
	s_cbranch_vccnz .LBB228_9
; %bb.28:                               ;   in Loop: Header=BB228_10 Depth=1
	s_waitcnt lgkmcnt(0)
	v_add_u32_e32 v4, s39, v29
	v_ashrrev_i32_e32 v5, 31, v4
	v_mul_lo_u32 v14, s41, v5
	v_mul_lo_u32 v16, s40, v4
	v_mad_u64_u32 v[4:5], s[24:25], s41, v4, 0
	v_add3_u32 v5, v5, v14, v16
	v_sub_u32_e32 v16, 0, v3
	v_max_i32_e32 v16, v3, v16
	v_mul_hi_u32 v17, v16, v26
	v_mul_lo_u32 v18, v17, s38
	v_sub_u32_e32 v16, v16, v18
	v_add_u32_e32 v18, 1, v17
	v_cmp_le_u32_e32 vcc, s38, v16
	v_ashrrev_i32_e32 v14, 31, v3
	v_xor_b32_e32 v14, s42, v14
	v_cndmask_b32_e32 v17, v17, v18, vcc
	v_subrev_u32_e32 v18, s38, v16
	v_cndmask_b32_e32 v16, v16, v18, vcc
	v_add_u32_e32 v18, 1, v17
	v_cmp_le_u32_e32 vcc, s38, v16
	v_lshl_add_u64 v[4:5], v[4:5], 4, s[16:17]
	s_mov_b32 s8, s14
	v_cndmask_b32_e32 v16, v17, v18, vcc
	v_xor_b32_e32 v16, v16, v14
	v_sub_u32_e32 v24, v16, v14
	v_mov_b64_e32 v[16:17], v[12:13]
	v_mov_b64_e32 v[18:19], v[10:11]
	v_mov_b32_e32 v14, v0
	v_mov_b32_e32 v25, v27
	s_branch .LBB228_31
.LBB228_29:                             ;   in Loop: Header=BB228_31 Depth=2
	global_load_dwordx4 v[30:33], v[16:17], off
	v_ashrrev_i32_e32 v23, 31, v22
	v_lshl_add_u64 v[22:23], v[22:23], 4, v[4:5]
	v_lshl_add_u64 v[20:21], v[20:21], 4, v[22:23]
	s_waitcnt vmcnt(0)
	global_store_dwordx4 v[20:21], v[30:33], off
.LBB228_30:                             ;   in Loop: Header=BB228_31 Depth=2
	s_or_b64 exec, exec, s[24:25]
	s_add_i32 s8, s8, -1
	v_add_u32_e32 v25, s43, v25
	v_add_u32_e32 v14, 32, v14
	v_lshl_add_u64 v[18:19], v[18:19], 0, 4
	s_cmp_eq_u32 s8, 0
	v_lshl_add_u64 v[16:17], v[16:17], 0, 16
	s_cbranch_scc1 .LBB228_9
.LBB228_31:                             ;   Parent Loop BB228_10 Depth=1
                                        ; =>  This Inner Loop Header: Depth=2
	global_load_dword v20, v[18:19], off
	s_waitcnt vmcnt(0)
	v_cmp_gt_i32_e32 vcc, s10, v20
	s_and_saveexec_b64 s[24:25], vcc
	s_cbranch_execz .LBB228_30
; %bb.32:                               ;   in Loop: Header=BB228_31 Depth=2
	v_sub_u32_e32 v22, 0, v20
	v_max_i32_e32 v22, v20, v22
	v_mul_hi_u32 v31, v22, v26
	v_mul_lo_u32 v30, v31, s38
	v_sub_u32_e32 v30, v22, v30
	v_add_u32_e32 v22, 1, v31
	v_cmp_le_u32_e32 vcc, s38, v30
	v_ashrrev_i32_e32 v23, 31, v20
	v_xor_b32_e32 v21, s42, v23
	v_cndmask_b32_e32 v22, v31, v22, vcc
	v_subrev_u32_e32 v31, s38, v30
	v_cndmask_b32_e32 v32, v30, v31, vcc
	v_add_u32_e32 v33, 1, v22
	v_cmp_le_u32_e32 vcc, s38, v32
	s_nop 1
	v_cndmask_b32_e32 v22, v22, v33, vcc
	v_xor_b32_e32 v22, v22, v21
	v_sub_u32_e32 v21, v22, v21
	v_cmp_eq_u32_e32 vcc, v21, v24
	s_and_b64 exec, exec, vcc
	s_cbranch_execz .LBB228_30
; %bb.33:                               ;   in Loop: Header=BB228_31 Depth=2
	s_and_b64 vcc, exec, s[20:21]
	s_cbranch_vccz .LBB228_35
; %bb.34:                               ;   in Loop: Header=BB228_31 Depth=2
	v_mul_lo_u32 v21, v24, s13
	v_sub_u32_e32 v20, v20, v21
	v_mul_lo_u32 v22, v20, s12
	v_mov_b64_e32 v[20:21], v[14:15]
	s_cbranch_execnz .LBB228_29
	s_branch .LBB228_36
.LBB228_35:                             ;   in Loop: Header=BB228_31 Depth=2
                                        ; implicit-def: $vgpr20_vgpr21
                                        ; implicit-def: $vgpr22
.LBB228_36:                             ;   in Loop: Header=BB228_31 Depth=2
	v_cmp_le_u32_e32 vcc, s38, v30
	v_mov_b32_e32 v22, v25
	s_nop 0
	v_cndmask_b32_e32 v20, v30, v31, vcc
	v_subrev_u32_e32 v21, s38, v20
	v_cmp_le_u32_e32 vcc, s38, v20
	s_nop 1
	v_cndmask_b32_e32 v20, v20, v21, vcc
	v_xor_b32_e32 v20, v20, v23
	v_sub_u32_e32 v20, v20, v23
	v_ashrrev_i32_e32 v21, 31, v20
	s_branch .LBB228_29
.LBB228_37:
	s_endpgm
	.section	.rodata,"a",@progbits
	.p2align	6, 0x0
	.amdhsa_kernel _ZN9rocsparseL23csr2gebsr_65_inf_kernelILi32E21rocsparse_complex_numIdEEEv20rocsparse_direction_iiiiiii21rocsparse_index_base_PKT0_PKiS9_S4_PS5_PiSB_SB_SA_
		.amdhsa_group_segment_fixed_size 0
		.amdhsa_private_segment_fixed_size 0
		.amdhsa_kernarg_size 112
		.amdhsa_user_sgpr_count 2
		.amdhsa_user_sgpr_dispatch_ptr 0
		.amdhsa_user_sgpr_queue_ptr 0
		.amdhsa_user_sgpr_kernarg_segment_ptr 1
		.amdhsa_user_sgpr_dispatch_id 0
		.amdhsa_user_sgpr_kernarg_preload_length 0
		.amdhsa_user_sgpr_kernarg_preload_offset 0
		.amdhsa_user_sgpr_private_segment_size 0
		.amdhsa_uses_dynamic_stack 0
		.amdhsa_enable_private_segment 0
		.amdhsa_system_sgpr_workgroup_id_x 1
		.amdhsa_system_sgpr_workgroup_id_y 0
		.amdhsa_system_sgpr_workgroup_id_z 0
		.amdhsa_system_sgpr_workgroup_info 0
		.amdhsa_system_vgpr_workitem_id 0
		.amdhsa_next_free_vgpr 36
		.amdhsa_next_free_sgpr 46
		.amdhsa_accum_offset 36
		.amdhsa_reserve_vcc 1
		.amdhsa_float_round_mode_32 0
		.amdhsa_float_round_mode_16_64 0
		.amdhsa_float_denorm_mode_32 3
		.amdhsa_float_denorm_mode_16_64 3
		.amdhsa_dx10_clamp 1
		.amdhsa_ieee_mode 1
		.amdhsa_fp16_overflow 0
		.amdhsa_tg_split 0
		.amdhsa_exception_fp_ieee_invalid_op 0
		.amdhsa_exception_fp_denorm_src 0
		.amdhsa_exception_fp_ieee_div_zero 0
		.amdhsa_exception_fp_ieee_overflow 0
		.amdhsa_exception_fp_ieee_underflow 0
		.amdhsa_exception_fp_ieee_inexact 0
		.amdhsa_exception_int_div_zero 0
	.end_amdhsa_kernel
	.section	.text._ZN9rocsparseL23csr2gebsr_65_inf_kernelILi32E21rocsparse_complex_numIdEEEv20rocsparse_direction_iiiiiii21rocsparse_index_base_PKT0_PKiS9_S4_PS5_PiSB_SB_SA_,"axG",@progbits,_ZN9rocsparseL23csr2gebsr_65_inf_kernelILi32E21rocsparse_complex_numIdEEEv20rocsparse_direction_iiiiiii21rocsparse_index_base_PKT0_PKiS9_S4_PS5_PiSB_SB_SA_,comdat
.Lfunc_end228:
	.size	_ZN9rocsparseL23csr2gebsr_65_inf_kernelILi32E21rocsparse_complex_numIdEEEv20rocsparse_direction_iiiiiii21rocsparse_index_base_PKT0_PKiS9_S4_PS5_PiSB_SB_SA_, .Lfunc_end228-_ZN9rocsparseL23csr2gebsr_65_inf_kernelILi32E21rocsparse_complex_numIdEEEv20rocsparse_direction_iiiiiii21rocsparse_index_base_PKT0_PKiS9_S4_PS5_PiSB_SB_SA_
                                        ; -- End function
	.section	.AMDGPU.csdata,"",@progbits
; Kernel info:
; codeLenInByte = 1748
; NumSgprs: 52
; NumVgprs: 36
; NumAgprs: 0
; TotalNumVgprs: 36
; ScratchSize: 0
; MemoryBound: 0
; FloatMode: 240
; IeeeMode: 1
; LDSByteSize: 0 bytes/workgroup (compile time only)
; SGPRBlocks: 6
; VGPRBlocks: 4
; NumSGPRsForWavesPerEU: 52
; NumVGPRsForWavesPerEU: 36
; AccumOffset: 36
; Occupancy: 8
; WaveLimiterHint : 0
; COMPUTE_PGM_RSRC2:SCRATCH_EN: 0
; COMPUTE_PGM_RSRC2:USER_SGPR: 2
; COMPUTE_PGM_RSRC2:TRAP_HANDLER: 0
; COMPUTE_PGM_RSRC2:TGID_X_EN: 1
; COMPUTE_PGM_RSRC2:TGID_Y_EN: 0
; COMPUTE_PGM_RSRC2:TGID_Z_EN: 0
; COMPUTE_PGM_RSRC2:TIDIG_COMP_CNT: 0
; COMPUTE_PGM_RSRC3_GFX90A:ACCUM_OFFSET: 8
; COMPUTE_PGM_RSRC3_GFX90A:TG_SPLIT: 0
	.text
	.p2alignl 6, 3212836864
	.fill 256, 4, 3212836864
	.type	__hip_cuid_18bec8ee7b310c0a,@object ; @__hip_cuid_18bec8ee7b310c0a
	.section	.bss,"aw",@nobits
	.globl	__hip_cuid_18bec8ee7b310c0a
__hip_cuid_18bec8ee7b310c0a:
	.byte	0                               ; 0x0
	.size	__hip_cuid_18bec8ee7b310c0a, 1

	.ident	"AMD clang version 19.0.0git (https://github.com/RadeonOpenCompute/llvm-project roc-6.4.0 25133 c7fe45cf4b819c5991fe208aaa96edf142730f1d)"
	.section	".note.GNU-stack","",@progbits
	.addrsig
	.addrsig_sym __hip_cuid_18bec8ee7b310c0a
	.amdgpu_metadata
---
amdhsa.kernels:
  - .agpr_count:     0
    .args:
      - .offset:         0
        .size:           4
        .value_kind:     by_value
      - .offset:         4
        .size:           4
        .value_kind:     by_value
      - .actual_access:  read_only
        .address_space:  global
        .offset:         8
        .size:           8
        .value_kind:     global_buffer
      - .actual_access:  read_only
        .address_space:  global
        .offset:         16
        .size:           8
        .value_kind:     global_buffer
      - .offset:         24
        .size:           4
        .value_kind:     by_value
      - .actual_access:  write_only
        .address_space:  global
        .offset:         32
        .size:           8
        .value_kind:     global_buffer
      - .offset:         40
        .size:           4
        .value_kind:     by_value
    .group_segment_fixed_size: 0
    .kernarg_segment_align: 8
    .kernarg_segment_size: 44
    .language:       OpenCL C
    .language_version:
      - 2
      - 0
    .max_flat_workgroup_size: 256
    .name:           _ZN9rocsparseL24csr2gebsr_nnz_kernel_bm1ILj256EEEvi21rocsparse_index_base_PKiS3_S1_Pii
    .private_segment_fixed_size: 0
    .sgpr_count:     25
    .sgpr_spill_count: 0
    .symbol:         _ZN9rocsparseL24csr2gebsr_nnz_kernel_bm1ILj256EEEvi21rocsparse_index_base_PKiS3_S1_Pii.kd
    .uniform_work_group_size: 1
    .uses_dynamic_stack: false
    .vgpr_count:     24
    .vgpr_spill_count: 0
    .wavefront_size: 64
  - .agpr_count:     0
    .args:
      - .offset:         0
        .size:           4
        .value_kind:     by_value
      - .actual_access:  read_only
        .address_space:  global
        .offset:         8
        .size:           8
        .value_kind:     global_buffer
      - .actual_access:  write_only
        .address_space:  global
        .offset:         16
        .size:           8
        .value_kind:     global_buffer
    .group_segment_fixed_size: 0
    .kernarg_segment_align: 8
    .kernarg_segment_size: 24
    .language:       OpenCL C
    .language_version:
      - 2
      - 0
    .max_flat_workgroup_size: 1
    .name:           _ZN9rocsparseL38csr2gebsr_nnz_compute_nnz_total_kernelILj1EEEviPKiPi
    .private_segment_fixed_size: 0
    .sgpr_count:     14
    .sgpr_spill_count: 0
    .symbol:         _ZN9rocsparseL38csr2gebsr_nnz_compute_nnz_total_kernelILj1EEEviPKiPi.kd
    .uniform_work_group_size: 1
    .uses_dynamic_stack: false
    .vgpr_count:     2
    .vgpr_spill_count: 0
    .wavefront_size: 64
  - .agpr_count:     0
    .args:
      - .offset:         0
        .size:           4
        .value_kind:     by_value
      - .offset:         4
        .size:           4
        .value_kind:     by_value
      - .offset:         8
        .size:           4
        .value_kind:     by_value
      - .offset:         12
        .size:           4
        .value_kind:     by_value
      - .offset:         16
        .size:           4
        .value_kind:     by_value
      - .offset:         20
        .size:           4
        .value_kind:     by_value
      - .offset:         24
        .size:           4
        .value_kind:     by_value
      - .actual_access:  read_only
        .address_space:  global
        .offset:         32
        .size:           8
        .value_kind:     global_buffer
      - .actual_access:  read_only
        .address_space:  global
        .offset:         40
        .size:           8
        .value_kind:     global_buffer
      - .offset:         48
        .size:           4
        .value_kind:     by_value
      - .actual_access:  write_only
        .address_space:  global
        .offset:         56
        .size:           8
        .value_kind:     global_buffer
    .group_segment_fixed_size: 320
    .kernarg_segment_align: 8
    .kernarg_segment_size: 64
    .language:       OpenCL C
    .language_version:
      - 2
      - 0
    .max_flat_workgroup_size: 256
    .name:           _ZN9rocsparseL48csr2gebsr_nnz_wavefront_per_row_multipass_kernelILj256ELj2ELi4EEEviiiiii21rocsparse_index_base_PKiS3_S1_Pi
    .private_segment_fixed_size: 0
    .sgpr_count:     28
    .sgpr_spill_count: 0
    .symbol:         _ZN9rocsparseL48csr2gebsr_nnz_wavefront_per_row_multipass_kernelILj256ELj2ELi4EEEviiiiii21rocsparse_index_base_PKiS3_S1_Pi.kd
    .uniform_work_group_size: 1
    .uses_dynamic_stack: false
    .vgpr_count:     20
    .vgpr_spill_count: 0
    .wavefront_size: 64
  - .agpr_count:     0
    .args:
      - .offset:         0
        .size:           4
        .value_kind:     by_value
      - .offset:         4
        .size:           4
        .value_kind:     by_value
      - .offset:         8
        .size:           4
        .value_kind:     by_value
      - .offset:         12
        .size:           4
        .value_kind:     by_value
      - .offset:         16
        .size:           4
        .value_kind:     by_value
      - .offset:         20
        .size:           4
        .value_kind:     by_value
      - .offset:         24
        .size:           4
        .value_kind:     by_value
      - .actual_access:  read_only
        .address_space:  global
        .offset:         32
        .size:           8
        .value_kind:     global_buffer
      - .actual_access:  read_only
        .address_space:  global
        .offset:         40
        .size:           8
        .value_kind:     global_buffer
      - .offset:         48
        .size:           4
        .value_kind:     by_value
      - .actual_access:  write_only
        .address_space:  global
        .offset:         56
        .size:           8
        .value_kind:     global_buffer
    .group_segment_fixed_size: 160
    .kernarg_segment_align: 8
    .kernarg_segment_size: 64
    .language:       OpenCL C
    .language_version:
      - 2
      - 0
    .max_flat_workgroup_size: 256
    .name:           _ZN9rocsparseL48csr2gebsr_nnz_wavefront_per_row_multipass_kernelILj256ELj2ELi8EEEviiiiii21rocsparse_index_base_PKiS3_S1_Pi
    .private_segment_fixed_size: 0
    .sgpr_count:     28
    .sgpr_spill_count: 0
    .symbol:         _ZN9rocsparseL48csr2gebsr_nnz_wavefront_per_row_multipass_kernelILj256ELj2ELi8EEEviiiiii21rocsparse_index_base_PKiS3_S1_Pi.kd
    .uniform_work_group_size: 1
    .uses_dynamic_stack: false
    .vgpr_count:     20
    .vgpr_spill_count: 0
    .wavefront_size: 64
  - .agpr_count:     0
    .args:
      - .offset:         0
        .size:           4
        .value_kind:     by_value
      - .offset:         4
        .size:           4
        .value_kind:     by_value
      - .offset:         8
        .size:           4
        .value_kind:     by_value
      - .offset:         12
        .size:           4
        .value_kind:     by_value
      - .offset:         16
        .size:           4
        .value_kind:     by_value
      - .offset:         20
        .size:           4
        .value_kind:     by_value
      - .offset:         24
        .size:           4
        .value_kind:     by_value
      - .actual_access:  read_only
        .address_space:  global
        .offset:         32
        .size:           8
        .value_kind:     global_buffer
      - .actual_access:  read_only
        .address_space:  global
        .offset:         40
        .size:           8
        .value_kind:     global_buffer
      - .offset:         48
        .size:           4
        .value_kind:     by_value
      - .actual_access:  write_only
        .address_space:  global
        .offset:         56
        .size:           8
        .value_kind:     global_buffer
    .group_segment_fixed_size: 80
    .kernarg_segment_align: 8
    .kernarg_segment_size: 64
    .language:       OpenCL C
    .language_version:
      - 2
      - 0
    .max_flat_workgroup_size: 256
    .name:           _ZN9rocsparseL48csr2gebsr_nnz_wavefront_per_row_multipass_kernelILj256ELj2ELi16EEEviiiiii21rocsparse_index_base_PKiS3_S1_Pi
    .private_segment_fixed_size: 0
    .sgpr_count:     28
    .sgpr_spill_count: 0
    .symbol:         _ZN9rocsparseL48csr2gebsr_nnz_wavefront_per_row_multipass_kernelILj256ELj2ELi16EEEviiiiii21rocsparse_index_base_PKiS3_S1_Pi.kd
    .uniform_work_group_size: 1
    .uses_dynamic_stack: false
    .vgpr_count:     20
    .vgpr_spill_count: 0
    .wavefront_size: 64
  - .agpr_count:     0
    .args:
      - .offset:         0
        .size:           4
        .value_kind:     by_value
      - .offset:         4
        .size:           4
        .value_kind:     by_value
      - .offset:         8
        .size:           4
        .value_kind:     by_value
      - .offset:         12
        .size:           4
        .value_kind:     by_value
      - .offset:         16
        .size:           4
        .value_kind:     by_value
      - .offset:         20
        .size:           4
        .value_kind:     by_value
      - .offset:         24
        .size:           4
        .value_kind:     by_value
      - .actual_access:  read_only
        .address_space:  global
        .offset:         32
        .size:           8
        .value_kind:     global_buffer
      - .actual_access:  read_only
        .address_space:  global
        .offset:         40
        .size:           8
        .value_kind:     global_buffer
      - .offset:         48
        .size:           4
        .value_kind:     by_value
      - .actual_access:  write_only
        .address_space:  global
        .offset:         56
        .size:           8
        .value_kind:     global_buffer
    .group_segment_fixed_size: 40
    .kernarg_segment_align: 8
    .kernarg_segment_size: 64
    .language:       OpenCL C
    .language_version:
      - 2
      - 0
    .max_flat_workgroup_size: 256
    .name:           _ZN9rocsparseL48csr2gebsr_nnz_wavefront_per_row_multipass_kernelILj256ELj2ELi32EEEviiiiii21rocsparse_index_base_PKiS3_S1_Pi
    .private_segment_fixed_size: 0
    .sgpr_count:     28
    .sgpr_spill_count: 0
    .symbol:         _ZN9rocsparseL48csr2gebsr_nnz_wavefront_per_row_multipass_kernelILj256ELj2ELi32EEEviiiiii21rocsparse_index_base_PKiS3_S1_Pi.kd
    .uniform_work_group_size: 1
    .uses_dynamic_stack: false
    .vgpr_count:     20
    .vgpr_spill_count: 0
    .wavefront_size: 64
  - .agpr_count:     0
    .args:
      - .offset:         0
        .size:           4
        .value_kind:     by_value
      - .offset:         4
        .size:           4
        .value_kind:     by_value
      - .offset:         8
        .size:           4
        .value_kind:     by_value
      - .offset:         12
        .size:           4
        .value_kind:     by_value
      - .offset:         16
        .size:           4
        .value_kind:     by_value
      - .offset:         20
        .size:           4
        .value_kind:     by_value
      - .offset:         24
        .size:           4
        .value_kind:     by_value
      - .actual_access:  read_only
        .address_space:  global
        .offset:         32
        .size:           8
        .value_kind:     global_buffer
      - .actual_access:  read_only
        .address_space:  global
        .offset:         40
        .size:           8
        .value_kind:     global_buffer
      - .offset:         48
        .size:           4
        .value_kind:     by_value
      - .actual_access:  write_only
        .address_space:  global
        .offset:         56
        .size:           8
        .value_kind:     global_buffer
    .group_segment_fixed_size: 20
    .kernarg_segment_align: 8
    .kernarg_segment_size: 64
    .language:       OpenCL C
    .language_version:
      - 2
      - 0
    .max_flat_workgroup_size: 256
    .name:           _ZN9rocsparseL48csr2gebsr_nnz_wavefront_per_row_multipass_kernelILj256ELj2ELi64EEEviiiiii21rocsparse_index_base_PKiS3_S1_Pi
    .private_segment_fixed_size: 0
    .sgpr_count:     28
    .sgpr_spill_count: 0
    .symbol:         _ZN9rocsparseL48csr2gebsr_nnz_wavefront_per_row_multipass_kernelILj256ELj2ELi64EEEviiiiii21rocsparse_index_base_PKiS3_S1_Pi.kd
    .uniform_work_group_size: 1
    .uses_dynamic_stack: false
    .vgpr_count:     20
    .vgpr_spill_count: 0
    .wavefront_size: 64
  - .agpr_count:     0
    .args:
      - .offset:         0
        .size:           4
        .value_kind:     by_value
      - .offset:         4
        .size:           4
        .value_kind:     by_value
      - .offset:         8
        .size:           4
        .value_kind:     by_value
      - .offset:         12
        .size:           4
        .value_kind:     by_value
      - .offset:         16
        .size:           4
        .value_kind:     by_value
      - .offset:         20
        .size:           4
        .value_kind:     by_value
      - .offset:         24
        .size:           4
        .value_kind:     by_value
      - .actual_access:  read_only
        .address_space:  global
        .offset:         32
        .size:           8
        .value_kind:     global_buffer
      - .actual_access:  read_only
        .address_space:  global
        .offset:         40
        .size:           8
        .value_kind:     global_buffer
      - .offset:         48
        .size:           4
        .value_kind:     by_value
      - .actual_access:  write_only
        .address_space:  global
        .offset:         56
        .size:           8
        .value_kind:     global_buffer
    .group_segment_fixed_size: 160
    .kernarg_segment_align: 8
    .kernarg_segment_size: 64
    .language:       OpenCL C
    .language_version:
      - 2
      - 0
    .max_flat_workgroup_size: 256
    .name:           _ZN9rocsparseL48csr2gebsr_nnz_wavefront_per_row_multipass_kernelILj256ELj4ELi8EEEviiiiii21rocsparse_index_base_PKiS3_S1_Pi
    .private_segment_fixed_size: 0
    .sgpr_count:     28
    .sgpr_spill_count: 0
    .symbol:         _ZN9rocsparseL48csr2gebsr_nnz_wavefront_per_row_multipass_kernelILj256ELj4ELi8EEEviiiiii21rocsparse_index_base_PKiS3_S1_Pi.kd
    .uniform_work_group_size: 1
    .uses_dynamic_stack: false
    .vgpr_count:     20
    .vgpr_spill_count: 0
    .wavefront_size: 64
  - .agpr_count:     0
    .args:
      - .offset:         0
        .size:           4
        .value_kind:     by_value
      - .offset:         4
        .size:           4
        .value_kind:     by_value
      - .offset:         8
        .size:           4
        .value_kind:     by_value
      - .offset:         12
        .size:           4
        .value_kind:     by_value
      - .offset:         16
        .size:           4
        .value_kind:     by_value
      - .offset:         20
        .size:           4
        .value_kind:     by_value
      - .offset:         24
        .size:           4
        .value_kind:     by_value
      - .actual_access:  read_only
        .address_space:  global
        .offset:         32
        .size:           8
        .value_kind:     global_buffer
      - .actual_access:  read_only
        .address_space:  global
        .offset:         40
        .size:           8
        .value_kind:     global_buffer
      - .offset:         48
        .size:           4
        .value_kind:     by_value
      - .actual_access:  write_only
        .address_space:  global
        .offset:         56
        .size:           8
        .value_kind:     global_buffer
    .group_segment_fixed_size: 80
    .kernarg_segment_align: 8
    .kernarg_segment_size: 64
    .language:       OpenCL C
    .language_version:
      - 2
      - 0
    .max_flat_workgroup_size: 256
    .name:           _ZN9rocsparseL48csr2gebsr_nnz_wavefront_per_row_multipass_kernelILj256ELj4ELi16EEEviiiiii21rocsparse_index_base_PKiS3_S1_Pi
    .private_segment_fixed_size: 0
    .sgpr_count:     28
    .sgpr_spill_count: 0
    .symbol:         _ZN9rocsparseL48csr2gebsr_nnz_wavefront_per_row_multipass_kernelILj256ELj4ELi16EEEviiiiii21rocsparse_index_base_PKiS3_S1_Pi.kd
    .uniform_work_group_size: 1
    .uses_dynamic_stack: false
    .vgpr_count:     20
    .vgpr_spill_count: 0
    .wavefront_size: 64
  - .agpr_count:     0
    .args:
      - .offset:         0
        .size:           4
        .value_kind:     by_value
      - .offset:         4
        .size:           4
        .value_kind:     by_value
      - .offset:         8
        .size:           4
        .value_kind:     by_value
      - .offset:         12
        .size:           4
        .value_kind:     by_value
      - .offset:         16
        .size:           4
        .value_kind:     by_value
      - .offset:         20
        .size:           4
        .value_kind:     by_value
      - .offset:         24
        .size:           4
        .value_kind:     by_value
      - .actual_access:  read_only
        .address_space:  global
        .offset:         32
        .size:           8
        .value_kind:     global_buffer
      - .actual_access:  read_only
        .address_space:  global
        .offset:         40
        .size:           8
        .value_kind:     global_buffer
      - .offset:         48
        .size:           4
        .value_kind:     by_value
      - .actual_access:  write_only
        .address_space:  global
        .offset:         56
        .size:           8
        .value_kind:     global_buffer
    .group_segment_fixed_size: 40
    .kernarg_segment_align: 8
    .kernarg_segment_size: 64
    .language:       OpenCL C
    .language_version:
      - 2
      - 0
    .max_flat_workgroup_size: 256
    .name:           _ZN9rocsparseL48csr2gebsr_nnz_wavefront_per_row_multipass_kernelILj256ELj4ELi32EEEviiiiii21rocsparse_index_base_PKiS3_S1_Pi
    .private_segment_fixed_size: 0
    .sgpr_count:     28
    .sgpr_spill_count: 0
    .symbol:         _ZN9rocsparseL48csr2gebsr_nnz_wavefront_per_row_multipass_kernelILj256ELj4ELi32EEEviiiiii21rocsparse_index_base_PKiS3_S1_Pi.kd
    .uniform_work_group_size: 1
    .uses_dynamic_stack: false
    .vgpr_count:     20
    .vgpr_spill_count: 0
    .wavefront_size: 64
  - .agpr_count:     0
    .args:
      - .offset:         0
        .size:           4
        .value_kind:     by_value
      - .offset:         4
        .size:           4
        .value_kind:     by_value
      - .offset:         8
        .size:           4
        .value_kind:     by_value
      - .offset:         12
        .size:           4
        .value_kind:     by_value
      - .offset:         16
        .size:           4
        .value_kind:     by_value
      - .offset:         20
        .size:           4
        .value_kind:     by_value
      - .offset:         24
        .size:           4
        .value_kind:     by_value
      - .actual_access:  read_only
        .address_space:  global
        .offset:         32
        .size:           8
        .value_kind:     global_buffer
      - .actual_access:  read_only
        .address_space:  global
        .offset:         40
        .size:           8
        .value_kind:     global_buffer
      - .offset:         48
        .size:           4
        .value_kind:     by_value
      - .actual_access:  write_only
        .address_space:  global
        .offset:         56
        .size:           8
        .value_kind:     global_buffer
    .group_segment_fixed_size: 20
    .kernarg_segment_align: 8
    .kernarg_segment_size: 64
    .language:       OpenCL C
    .language_version:
      - 2
      - 0
    .max_flat_workgroup_size: 256
    .name:           _ZN9rocsparseL48csr2gebsr_nnz_wavefront_per_row_multipass_kernelILj256ELj4ELi64EEEviiiiii21rocsparse_index_base_PKiS3_S1_Pi
    .private_segment_fixed_size: 0
    .sgpr_count:     28
    .sgpr_spill_count: 0
    .symbol:         _ZN9rocsparseL48csr2gebsr_nnz_wavefront_per_row_multipass_kernelILj256ELj4ELi64EEEviiiiii21rocsparse_index_base_PKiS3_S1_Pi.kd
    .uniform_work_group_size: 1
    .uses_dynamic_stack: false
    .vgpr_count:     20
    .vgpr_spill_count: 0
    .wavefront_size: 64
  - .agpr_count:     0
    .args:
      - .offset:         0
        .size:           4
        .value_kind:     by_value
      - .offset:         4
        .size:           4
        .value_kind:     by_value
      - .offset:         8
        .size:           4
        .value_kind:     by_value
      - .offset:         12
        .size:           4
        .value_kind:     by_value
      - .offset:         16
        .size:           4
        .value_kind:     by_value
      - .offset:         20
        .size:           4
        .value_kind:     by_value
      - .offset:         24
        .size:           4
        .value_kind:     by_value
      - .actual_access:  read_only
        .address_space:  global
        .offset:         32
        .size:           8
        .value_kind:     global_buffer
      - .actual_access:  read_only
        .address_space:  global
        .offset:         40
        .size:           8
        .value_kind:     global_buffer
      - .offset:         48
        .size:           4
        .value_kind:     by_value
      - .actual_access:  write_only
        .address_space:  global
        .offset:         56
        .size:           8
        .value_kind:     global_buffer
    .group_segment_fixed_size: 80
    .kernarg_segment_align: 8
    .kernarg_segment_size: 64
    .language:       OpenCL C
    .language_version:
      - 2
      - 0
    .max_flat_workgroup_size: 256
    .name:           _ZN9rocsparseL48csr2gebsr_nnz_wavefront_per_row_multipass_kernelILj256ELj8ELi16EEEviiiiii21rocsparse_index_base_PKiS3_S1_Pi
    .private_segment_fixed_size: 0
    .sgpr_count:     28
    .sgpr_spill_count: 0
    .symbol:         _ZN9rocsparseL48csr2gebsr_nnz_wavefront_per_row_multipass_kernelILj256ELj8ELi16EEEviiiiii21rocsparse_index_base_PKiS3_S1_Pi.kd
    .uniform_work_group_size: 1
    .uses_dynamic_stack: false
    .vgpr_count:     20
    .vgpr_spill_count: 0
    .wavefront_size: 64
  - .agpr_count:     0
    .args:
      - .offset:         0
        .size:           4
        .value_kind:     by_value
      - .offset:         4
        .size:           4
        .value_kind:     by_value
      - .offset:         8
        .size:           4
        .value_kind:     by_value
      - .offset:         12
        .size:           4
        .value_kind:     by_value
      - .offset:         16
        .size:           4
        .value_kind:     by_value
      - .offset:         20
        .size:           4
        .value_kind:     by_value
      - .offset:         24
        .size:           4
        .value_kind:     by_value
      - .actual_access:  read_only
        .address_space:  global
        .offset:         32
        .size:           8
        .value_kind:     global_buffer
      - .actual_access:  read_only
        .address_space:  global
        .offset:         40
        .size:           8
        .value_kind:     global_buffer
      - .offset:         48
        .size:           4
        .value_kind:     by_value
      - .actual_access:  write_only
        .address_space:  global
        .offset:         56
        .size:           8
        .value_kind:     global_buffer
    .group_segment_fixed_size: 40
    .kernarg_segment_align: 8
    .kernarg_segment_size: 64
    .language:       OpenCL C
    .language_version:
      - 2
      - 0
    .max_flat_workgroup_size: 256
    .name:           _ZN9rocsparseL48csr2gebsr_nnz_wavefront_per_row_multipass_kernelILj256ELj8ELi32EEEviiiiii21rocsparse_index_base_PKiS3_S1_Pi
    .private_segment_fixed_size: 0
    .sgpr_count:     28
    .sgpr_spill_count: 0
    .symbol:         _ZN9rocsparseL48csr2gebsr_nnz_wavefront_per_row_multipass_kernelILj256ELj8ELi32EEEviiiiii21rocsparse_index_base_PKiS3_S1_Pi.kd
    .uniform_work_group_size: 1
    .uses_dynamic_stack: false
    .vgpr_count:     20
    .vgpr_spill_count: 0
    .wavefront_size: 64
  - .agpr_count:     0
    .args:
      - .offset:         0
        .size:           4
        .value_kind:     by_value
      - .offset:         4
        .size:           4
        .value_kind:     by_value
      - .offset:         8
        .size:           4
        .value_kind:     by_value
      - .offset:         12
        .size:           4
        .value_kind:     by_value
      - .offset:         16
        .size:           4
        .value_kind:     by_value
      - .offset:         20
        .size:           4
        .value_kind:     by_value
      - .offset:         24
        .size:           4
        .value_kind:     by_value
      - .actual_access:  read_only
        .address_space:  global
        .offset:         32
        .size:           8
        .value_kind:     global_buffer
      - .actual_access:  read_only
        .address_space:  global
        .offset:         40
        .size:           8
        .value_kind:     global_buffer
      - .offset:         48
        .size:           4
        .value_kind:     by_value
      - .actual_access:  write_only
        .address_space:  global
        .offset:         56
        .size:           8
        .value_kind:     global_buffer
    .group_segment_fixed_size: 20
    .kernarg_segment_align: 8
    .kernarg_segment_size: 64
    .language:       OpenCL C
    .language_version:
      - 2
      - 0
    .max_flat_workgroup_size: 256
    .name:           _ZN9rocsparseL48csr2gebsr_nnz_wavefront_per_row_multipass_kernelILj256ELj8ELi64EEEviiiiii21rocsparse_index_base_PKiS3_S1_Pi
    .private_segment_fixed_size: 0
    .sgpr_count:     28
    .sgpr_spill_count: 0
    .symbol:         _ZN9rocsparseL48csr2gebsr_nnz_wavefront_per_row_multipass_kernelILj256ELj8ELi64EEEviiiiii21rocsparse_index_base_PKiS3_S1_Pi.kd
    .uniform_work_group_size: 1
    .uses_dynamic_stack: false
    .vgpr_count:     20
    .vgpr_spill_count: 0
    .wavefront_size: 64
  - .agpr_count:     0
    .args:
      - .offset:         0
        .size:           4
        .value_kind:     by_value
      - .offset:         4
        .size:           4
        .value_kind:     by_value
      - .offset:         8
        .size:           4
        .value_kind:     by_value
      - .offset:         12
        .size:           4
        .value_kind:     by_value
      - .offset:         16
        .size:           4
        .value_kind:     by_value
      - .offset:         20
        .size:           4
        .value_kind:     by_value
      - .offset:         24
        .size:           4
        .value_kind:     by_value
      - .actual_access:  read_only
        .address_space:  global
        .offset:         32
        .size:           8
        .value_kind:     global_buffer
      - .actual_access:  read_only
        .address_space:  global
        .offset:         40
        .size:           8
        .value_kind:     global_buffer
      - .offset:         48
        .size:           4
        .value_kind:     by_value
      - .actual_access:  write_only
        .address_space:  global
        .offset:         56
        .size:           8
        .value_kind:     global_buffer
    .group_segment_fixed_size: 1032
    .kernarg_segment_align: 8
    .kernarg_segment_size: 64
    .language:       OpenCL C
    .language_version:
      - 2
      - 0
    .max_flat_workgroup_size: 256
    .name:           _ZN9rocsparseL44csr2gebsr_nnz_block_per_row_multipass_kernelILj256ELj16EEEviiiiii21rocsparse_index_base_PKiS3_S1_Pi
    .private_segment_fixed_size: 0
    .sgpr_count:     42
    .sgpr_spill_count: 0
    .symbol:         _ZN9rocsparseL44csr2gebsr_nnz_block_per_row_multipass_kernelILj256ELj16EEEviiiiii21rocsparse_index_base_PKiS3_S1_Pi.kd
    .uniform_work_group_size: 1
    .uses_dynamic_stack: false
    .vgpr_count:     18
    .vgpr_spill_count: 0
    .wavefront_size: 64
  - .agpr_count:     0
    .args:
      - .offset:         0
        .size:           4
        .value_kind:     by_value
      - .offset:         4
        .size:           4
        .value_kind:     by_value
      - .offset:         8
        .size:           4
        .value_kind:     by_value
      - .offset:         12
        .size:           4
        .value_kind:     by_value
      - .offset:         16
        .size:           4
        .value_kind:     by_value
      - .offset:         20
        .size:           4
        .value_kind:     by_value
      - .offset:         24
        .size:           4
        .value_kind:     by_value
      - .actual_access:  read_only
        .address_space:  global
        .offset:         32
        .size:           8
        .value_kind:     global_buffer
      - .actual_access:  read_only
        .address_space:  global
        .offset:         40
        .size:           8
        .value_kind:     global_buffer
      - .offset:         48
        .size:           4
        .value_kind:     by_value
      - .actual_access:  write_only
        .address_space:  global
        .offset:         56
        .size:           8
        .value_kind:     global_buffer
    .group_segment_fixed_size: 1032
    .kernarg_segment_align: 8
    .kernarg_segment_size: 64
    .language:       OpenCL C
    .language_version:
      - 2
      - 0
    .max_flat_workgroup_size: 256
    .name:           _ZN9rocsparseL44csr2gebsr_nnz_block_per_row_multipass_kernelILj256ELj32EEEviiiiii21rocsparse_index_base_PKiS3_S1_Pi
    .private_segment_fixed_size: 0
    .sgpr_count:     42
    .sgpr_spill_count: 0
    .symbol:         _ZN9rocsparseL44csr2gebsr_nnz_block_per_row_multipass_kernelILj256ELj32EEEviiiiii21rocsparse_index_base_PKiS3_S1_Pi.kd
    .uniform_work_group_size: 1
    .uses_dynamic_stack: false
    .vgpr_count:     18
    .vgpr_spill_count: 0
    .wavefront_size: 64
  - .agpr_count:     0
    .args:
      - .offset:         0
        .size:           4
        .value_kind:     by_value
      - .offset:         4
        .size:           4
        .value_kind:     by_value
      - .offset:         8
        .size:           4
        .value_kind:     by_value
      - .offset:         12
        .size:           4
        .value_kind:     by_value
      - .offset:         16
        .size:           4
        .value_kind:     by_value
      - .offset:         20
        .size:           4
        .value_kind:     by_value
      - .offset:         24
        .size:           4
        .value_kind:     by_value
      - .actual_access:  read_only
        .address_space:  global
        .offset:         32
        .size:           8
        .value_kind:     global_buffer
      - .actual_access:  read_only
        .address_space:  global
        .offset:         40
        .size:           8
        .value_kind:     global_buffer
      - .offset:         48
        .size:           4
        .value_kind:     by_value
      - .actual_access:  write_only
        .address_space:  global
        .offset:         56
        .size:           8
        .value_kind:     global_buffer
    .group_segment_fixed_size: 1032
    .kernarg_segment_align: 8
    .kernarg_segment_size: 64
    .language:       OpenCL C
    .language_version:
      - 2
      - 0
    .max_flat_workgroup_size: 256
    .name:           _ZN9rocsparseL44csr2gebsr_nnz_block_per_row_multipass_kernelILj256ELj64EEEviiiiii21rocsparse_index_base_PKiS3_S1_Pi
    .private_segment_fixed_size: 0
    .sgpr_count:     42
    .sgpr_spill_count: 0
    .symbol:         _ZN9rocsparseL44csr2gebsr_nnz_block_per_row_multipass_kernelILj256ELj64EEEviiiiii21rocsparse_index_base_PKiS3_S1_Pi.kd
    .uniform_work_group_size: 1
    .uses_dynamic_stack: false
    .vgpr_count:     18
    .vgpr_spill_count: 0
    .wavefront_size: 64
  - .agpr_count:     0
    .args:
      - .offset:         0
        .size:           4
        .value_kind:     by_value
      - .offset:         4
        .size:           4
        .value_kind:     by_value
      - .offset:         8
        .size:           4
        .value_kind:     by_value
      - .offset:         12
        .size:           4
        .value_kind:     by_value
      - .offset:         16
        .size:           4
        .value_kind:     by_value
      - .offset:         20
        .size:           4
        .value_kind:     by_value
      - .offset:         24
        .size:           4
        .value_kind:     by_value
      - .offset:         28
        .size:           4
        .value_kind:     by_value
      - .actual_access:  read_only
        .address_space:  global
        .offset:         32
        .size:           8
        .value_kind:     global_buffer
      - .actual_access:  read_only
        .address_space:  global
        .offset:         40
        .size:           8
        .value_kind:     global_buffer
      - .offset:         48
        .size:           4
        .value_kind:     by_value
      - .actual_access:  write_only
        .address_space:  global
        .offset:         56
        .size:           8
        .value_kind:     global_buffer
      - .address_space:  global
        .offset:         64
        .size:           8
        .value_kind:     global_buffer
    .group_segment_fixed_size: 0
    .kernarg_segment_align: 8
    .kernarg_segment_size: 72
    .language:       OpenCL C
    .language_version:
      - 2
      - 0
    .max_flat_workgroup_size: 32
    .name:           _ZN9rocsparseL27csr2gebsr_nnz_65_inf_kernelILi32EEEviiiiiii21rocsparse_index_base_PKiS3_S1_PiS4_
    .private_segment_fixed_size: 0
    .sgpr_count:     42
    .sgpr_spill_count: 0
    .symbol:         _ZN9rocsparseL27csr2gebsr_nnz_65_inf_kernelILi32EEEviiiiiii21rocsparse_index_base_PKiS3_S1_PiS4_.kd
    .uniform_work_group_size: 1
    .uses_dynamic_stack: false
    .vgpr_count:     21
    .vgpr_spill_count: 0
    .wavefront_size: 64
  - .agpr_count:     0
    .args:
      - .offset:         0
        .size:           4
        .value_kind:     by_value
      - .offset:         4
        .size:           4
        .value_kind:     by_value
      - .offset:         8
        .size:           4
        .value_kind:     by_value
      - .offset:         12
        .size:           4
        .value_kind:     by_value
      - .offset:         16
        .size:           4
        .value_kind:     by_value
      - .address_space:  global
        .offset:         24
        .size:           8
        .value_kind:     global_buffer
      - .address_space:  global
        .offset:         32
        .size:           8
        .value_kind:     global_buffer
      - .address_space:  global
        .offset:         40
        .size:           8
        .value_kind:     global_buffer
      - .offset:         48
        .size:           4
        .value_kind:     by_value
      - .offset:         52
        .size:           4
        .value_kind:     by_value
      - .address_space:  global
        .offset:         56
        .size:           8
        .value_kind:     global_buffer
      - .address_space:  global
        .offset:         64
        .size:           8
        .value_kind:     global_buffer
      - .address_space:  global
        .offset:         72
        .size:           8
        .value_kind:     global_buffer
      - .offset:         80
        .size:           4
        .value_kind:     by_value
      - .offset:         84
        .size:           4
        .value_kind:     by_value
    .group_segment_fixed_size: 0
    .kernarg_segment_align: 8
    .kernarg_segment_size: 88
    .language:       OpenCL C
    .language_version:
      - 2
      - 0
    .max_flat_workgroup_size: 256
    .name:           _ZN9rocsparseL20csr2gebsr_kernel_bm1ILi256EfEEviiii21rocsparse_index_base_PKT0_PKiS6_20rocsparse_direction_S1_PS2_S6_Piii
    .private_segment_fixed_size: 0
    .sgpr_count:     26
    .sgpr_spill_count: 0
    .symbol:         _ZN9rocsparseL20csr2gebsr_kernel_bm1ILi256EfEEviiii21rocsparse_index_base_PKT0_PKiS6_20rocsparse_direction_S1_PS2_S6_Piii.kd
    .uniform_work_group_size: 1
    .uses_dynamic_stack: false
    .vgpr_count:     20
    .vgpr_spill_count: 0
    .wavefront_size: 64
  - .agpr_count:     0
    .args:
      - .offset:         0
        .size:           4
        .value_kind:     by_value
      - .offset:         4
        .size:           4
        .value_kind:     by_value
      - .offset:         8
        .size:           4
        .value_kind:     by_value
      - .offset:         12
        .size:           4
        .value_kind:     by_value
      - .offset:         16
        .size:           4
        .value_kind:     by_value
      - .offset:         20
        .size:           4
        .value_kind:     by_value
      - .offset:         24
        .size:           4
        .value_kind:     by_value
      - .offset:         28
        .size:           4
        .value_kind:     by_value
      - .actual_access:  read_only
        .address_space:  global
        .offset:         32
        .size:           8
        .value_kind:     global_buffer
      - .actual_access:  read_only
        .address_space:  global
        .offset:         40
        .size:           8
        .value_kind:     global_buffer
      - .actual_access:  read_only
        .address_space:  global
        .offset:         48
        .size:           8
        .value_kind:     global_buffer
      - .offset:         56
        .size:           4
        .value_kind:     by_value
      - .actual_access:  write_only
        .address_space:  global
        .offset:         64
        .size:           8
        .value_kind:     global_buffer
      - .actual_access:  read_only
        .address_space:  global
        .offset:         72
        .size:           8
        .value_kind:     global_buffer
      - .actual_access:  write_only
        .address_space:  global
        .offset:         80
        .size:           8
        .value_kind:     global_buffer
    .group_segment_fixed_size: 1088
    .kernarg_segment_align: 8
    .kernarg_segment_size: 88
    .language:       OpenCL C
    .language_version:
      - 2
      - 0
    .max_flat_workgroup_size: 256
    .name:           _ZN9rocsparseL44csr2gebsr_wavefront_per_row_multipass_kernelILi256ELi2ELi2ELi4EfEEv20rocsparse_direction_iiiiii21rocsparse_index_base_PKT3_PKiS7_S2_PS3_PiS9_
    .private_segment_fixed_size: 0
    .sgpr_count:     32
    .sgpr_spill_count: 0
    .symbol:         _ZN9rocsparseL44csr2gebsr_wavefront_per_row_multipass_kernelILi256ELi2ELi2ELi4EfEEv20rocsparse_direction_iiiiii21rocsparse_index_base_PKT3_PKiS7_S2_PS3_PiS9_.kd
    .uniform_work_group_size: 1
    .uses_dynamic_stack: false
    .vgpr_count:     29
    .vgpr_spill_count: 0
    .wavefront_size: 64
  - .agpr_count:     0
    .args:
      - .offset:         0
        .size:           4
        .value_kind:     by_value
      - .offset:         4
        .size:           4
        .value_kind:     by_value
      - .offset:         8
        .size:           4
        .value_kind:     by_value
      - .offset:         12
        .size:           4
        .value_kind:     by_value
      - .offset:         16
        .size:           4
        .value_kind:     by_value
      - .offset:         20
        .size:           4
        .value_kind:     by_value
      - .offset:         24
        .size:           4
        .value_kind:     by_value
      - .offset:         28
        .size:           4
        .value_kind:     by_value
      - .actual_access:  read_only
        .address_space:  global
        .offset:         32
        .size:           8
        .value_kind:     global_buffer
      - .actual_access:  read_only
        .address_space:  global
        .offset:         40
        .size:           8
        .value_kind:     global_buffer
      - .actual_access:  read_only
        .address_space:  global
        .offset:         48
        .size:           8
        .value_kind:     global_buffer
      - .offset:         56
        .size:           4
        .value_kind:     by_value
      - .actual_access:  write_only
        .address_space:  global
        .offset:         64
        .size:           8
        .value_kind:     global_buffer
      - .actual_access:  read_only
        .address_space:  global
        .offset:         72
        .size:           8
        .value_kind:     global_buffer
      - .actual_access:  write_only
        .address_space:  global
        .offset:         80
        .size:           8
        .value_kind:     global_buffer
    .group_segment_fixed_size: 1056
    .kernarg_segment_align: 8
    .kernarg_segment_size: 88
    .language:       OpenCL C
    .language_version:
      - 2
      - 0
    .max_flat_workgroup_size: 256
    .name:           _ZN9rocsparseL44csr2gebsr_wavefront_per_row_multipass_kernelILi256ELi2ELi4ELi8EfEEv20rocsparse_direction_iiiiii21rocsparse_index_base_PKT3_PKiS7_S2_PS3_PiS9_
    .private_segment_fixed_size: 0
    .sgpr_count:     32
    .sgpr_spill_count: 0
    .symbol:         _ZN9rocsparseL44csr2gebsr_wavefront_per_row_multipass_kernelILi256ELi2ELi4ELi8EfEEv20rocsparse_direction_iiiiii21rocsparse_index_base_PKT3_PKiS7_S2_PS3_PiS9_.kd
    .uniform_work_group_size: 1
    .uses_dynamic_stack: false
    .vgpr_count:     29
    .vgpr_spill_count: 0
    .wavefront_size: 64
  - .agpr_count:     0
    .args:
      - .offset:         0
        .size:           4
        .value_kind:     by_value
      - .offset:         4
        .size:           4
        .value_kind:     by_value
      - .offset:         8
        .size:           4
        .value_kind:     by_value
      - .offset:         12
        .size:           4
        .value_kind:     by_value
      - .offset:         16
        .size:           4
        .value_kind:     by_value
      - .offset:         20
        .size:           4
        .value_kind:     by_value
      - .offset:         24
        .size:           4
        .value_kind:     by_value
      - .offset:         28
        .size:           4
        .value_kind:     by_value
      - .actual_access:  read_only
        .address_space:  global
        .offset:         32
        .size:           8
        .value_kind:     global_buffer
      - .actual_access:  read_only
        .address_space:  global
        .offset:         40
        .size:           8
        .value_kind:     global_buffer
      - .actual_access:  read_only
        .address_space:  global
        .offset:         48
        .size:           8
        .value_kind:     global_buffer
      - .offset:         56
        .size:           4
        .value_kind:     by_value
      - .actual_access:  write_only
        .address_space:  global
        .offset:         64
        .size:           8
        .value_kind:     global_buffer
      - .actual_access:  read_only
        .address_space:  global
        .offset:         72
        .size:           8
        .value_kind:     global_buffer
      - .actual_access:  write_only
        .address_space:  global
        .offset:         80
        .size:           8
        .value_kind:     global_buffer
    .group_segment_fixed_size: 1040
    .kernarg_segment_align: 8
    .kernarg_segment_size: 88
    .language:       OpenCL C
    .language_version:
      - 2
      - 0
    .max_flat_workgroup_size: 256
    .name:           _ZN9rocsparseL44csr2gebsr_wavefront_per_row_multipass_kernelILi256ELi2ELi8ELi16EfEEv20rocsparse_direction_iiiiii21rocsparse_index_base_PKT3_PKiS7_S2_PS3_PiS9_
    .private_segment_fixed_size: 0
    .sgpr_count:     32
    .sgpr_spill_count: 0
    .symbol:         _ZN9rocsparseL44csr2gebsr_wavefront_per_row_multipass_kernelILi256ELi2ELi8ELi16EfEEv20rocsparse_direction_iiiiii21rocsparse_index_base_PKT3_PKiS7_S2_PS3_PiS9_.kd
    .uniform_work_group_size: 1
    .uses_dynamic_stack: false
    .vgpr_count:     29
    .vgpr_spill_count: 0
    .wavefront_size: 64
  - .agpr_count:     0
    .args:
      - .offset:         0
        .size:           4
        .value_kind:     by_value
      - .offset:         4
        .size:           4
        .value_kind:     by_value
      - .offset:         8
        .size:           4
        .value_kind:     by_value
      - .offset:         12
        .size:           4
        .value_kind:     by_value
      - .offset:         16
        .size:           4
        .value_kind:     by_value
      - .offset:         20
        .size:           4
        .value_kind:     by_value
      - .offset:         24
        .size:           4
        .value_kind:     by_value
      - .offset:         28
        .size:           4
        .value_kind:     by_value
      - .actual_access:  read_only
        .address_space:  global
        .offset:         32
        .size:           8
        .value_kind:     global_buffer
      - .actual_access:  read_only
        .address_space:  global
        .offset:         40
        .size:           8
        .value_kind:     global_buffer
      - .actual_access:  read_only
        .address_space:  global
        .offset:         48
        .size:           8
        .value_kind:     global_buffer
      - .offset:         56
        .size:           4
        .value_kind:     by_value
      - .actual_access:  write_only
        .address_space:  global
        .offset:         64
        .size:           8
        .value_kind:     global_buffer
      - .actual_access:  read_only
        .address_space:  global
        .offset:         72
        .size:           8
        .value_kind:     global_buffer
      - .actual_access:  write_only
        .address_space:  global
        .offset:         80
        .size:           8
        .value_kind:     global_buffer
    .group_segment_fixed_size: 1032
    .kernarg_segment_align: 8
    .kernarg_segment_size: 88
    .language:       OpenCL C
    .language_version:
      - 2
      - 0
    .max_flat_workgroup_size: 256
    .name:           _ZN9rocsparseL44csr2gebsr_wavefront_per_row_multipass_kernelILi256ELi2ELi16ELi32EfEEv20rocsparse_direction_iiiiii21rocsparse_index_base_PKT3_PKiS7_S2_PS3_PiS9_
    .private_segment_fixed_size: 0
    .sgpr_count:     32
    .sgpr_spill_count: 0
    .symbol:         _ZN9rocsparseL44csr2gebsr_wavefront_per_row_multipass_kernelILi256ELi2ELi16ELi32EfEEv20rocsparse_direction_iiiiii21rocsparse_index_base_PKT3_PKiS7_S2_PS3_PiS9_.kd
    .uniform_work_group_size: 1
    .uses_dynamic_stack: false
    .vgpr_count:     29
    .vgpr_spill_count: 0
    .wavefront_size: 64
  - .agpr_count:     0
    .args:
      - .offset:         0
        .size:           4
        .value_kind:     by_value
      - .offset:         4
        .size:           4
        .value_kind:     by_value
      - .offset:         8
        .size:           4
        .value_kind:     by_value
      - .offset:         12
        .size:           4
        .value_kind:     by_value
      - .offset:         16
        .size:           4
        .value_kind:     by_value
      - .offset:         20
        .size:           4
        .value_kind:     by_value
      - .offset:         24
        .size:           4
        .value_kind:     by_value
      - .offset:         28
        .size:           4
        .value_kind:     by_value
      - .actual_access:  read_only
        .address_space:  global
        .offset:         32
        .size:           8
        .value_kind:     global_buffer
      - .actual_access:  read_only
        .address_space:  global
        .offset:         40
        .size:           8
        .value_kind:     global_buffer
      - .actual_access:  read_only
        .address_space:  global
        .offset:         48
        .size:           8
        .value_kind:     global_buffer
      - .offset:         56
        .size:           4
        .value_kind:     by_value
      - .actual_access:  write_only
        .address_space:  global
        .offset:         64
        .size:           8
        .value_kind:     global_buffer
      - .actual_access:  read_only
        .address_space:  global
        .offset:         72
        .size:           8
        .value_kind:     global_buffer
      - .actual_access:  write_only
        .address_space:  global
        .offset:         80
        .size:           8
        .value_kind:     global_buffer
    .group_segment_fixed_size: 1028
    .kernarg_segment_align: 8
    .kernarg_segment_size: 88
    .language:       OpenCL C
    .language_version:
      - 2
      - 0
    .max_flat_workgroup_size: 256
    .name:           _ZN9rocsparseL44csr2gebsr_wavefront_per_row_multipass_kernelILi256ELi2ELi32ELi64EfEEv20rocsparse_direction_iiiiii21rocsparse_index_base_PKT3_PKiS7_S2_PS3_PiS9_
    .private_segment_fixed_size: 0
    .sgpr_count:     34
    .sgpr_spill_count: 0
    .symbol:         _ZN9rocsparseL44csr2gebsr_wavefront_per_row_multipass_kernelILi256ELi2ELi32ELi64EfEEv20rocsparse_direction_iiiiii21rocsparse_index_base_PKT3_PKiS7_S2_PS3_PiS9_.kd
    .uniform_work_group_size: 1
    .uses_dynamic_stack: false
    .vgpr_count:     29
    .vgpr_spill_count: 0
    .wavefront_size: 64
  - .agpr_count:     0
    .args:
      - .offset:         0
        .size:           4
        .value_kind:     by_value
      - .offset:         4
        .size:           4
        .value_kind:     by_value
      - .offset:         8
        .size:           4
        .value_kind:     by_value
      - .offset:         12
        .size:           4
        .value_kind:     by_value
      - .offset:         16
        .size:           4
        .value_kind:     by_value
      - .offset:         20
        .size:           4
        .value_kind:     by_value
      - .offset:         24
        .size:           4
        .value_kind:     by_value
      - .offset:         28
        .size:           4
        .value_kind:     by_value
      - .actual_access:  read_only
        .address_space:  global
        .offset:         32
        .size:           8
        .value_kind:     global_buffer
      - .actual_access:  read_only
        .address_space:  global
        .offset:         40
        .size:           8
        .value_kind:     global_buffer
      - .actual_access:  read_only
        .address_space:  global
        .offset:         48
        .size:           8
        .value_kind:     global_buffer
      - .offset:         56
        .size:           4
        .value_kind:     by_value
      - .actual_access:  write_only
        .address_space:  global
        .offset:         64
        .size:           8
        .value_kind:     global_buffer
      - .actual_access:  read_only
        .address_space:  global
        .offset:         72
        .size:           8
        .value_kind:     global_buffer
      - .actual_access:  write_only
        .address_space:  global
        .offset:         80
        .size:           8
        .value_kind:     global_buffer
    .group_segment_fixed_size: 2056
    .kernarg_segment_align: 8
    .kernarg_segment_size: 88
    .language:       OpenCL C
    .language_version:
      - 2
      - 0
    .max_flat_workgroup_size: 256
    .name:           _ZN9rocsparseL44csr2gebsr_wavefront_per_row_multipass_kernelILi256ELi2ELi32ELi32EfEEv20rocsparse_direction_iiiiii21rocsparse_index_base_PKT3_PKiS7_S2_PS3_PiS9_
    .private_segment_fixed_size: 0
    .sgpr_count:     38
    .sgpr_spill_count: 0
    .symbol:         _ZN9rocsparseL44csr2gebsr_wavefront_per_row_multipass_kernelILi256ELi2ELi32ELi32EfEEv20rocsparse_direction_iiiiii21rocsparse_index_base_PKT3_PKiS7_S2_PS3_PiS9_.kd
    .uniform_work_group_size: 1
    .uses_dynamic_stack: false
    .vgpr_count:     36
    .vgpr_spill_count: 0
    .wavefront_size: 64
  - .agpr_count:     0
    .args:
      - .offset:         0
        .size:           4
        .value_kind:     by_value
      - .offset:         4
        .size:           4
        .value_kind:     by_value
      - .offset:         8
        .size:           4
        .value_kind:     by_value
      - .offset:         12
        .size:           4
        .value_kind:     by_value
      - .offset:         16
        .size:           4
        .value_kind:     by_value
      - .offset:         20
        .size:           4
        .value_kind:     by_value
      - .offset:         24
        .size:           4
        .value_kind:     by_value
      - .offset:         28
        .size:           4
        .value_kind:     by_value
      - .actual_access:  read_only
        .address_space:  global
        .offset:         32
        .size:           8
        .value_kind:     global_buffer
      - .actual_access:  read_only
        .address_space:  global
        .offset:         40
        .size:           8
        .value_kind:     global_buffer
      - .actual_access:  read_only
        .address_space:  global
        .offset:         48
        .size:           8
        .value_kind:     global_buffer
      - .offset:         56
        .size:           4
        .value_kind:     by_value
      - .actual_access:  write_only
        .address_space:  global
        .offset:         64
        .size:           8
        .value_kind:     global_buffer
      - .actual_access:  read_only
        .address_space:  global
        .offset:         72
        .size:           8
        .value_kind:     global_buffer
      - .actual_access:  write_only
        .address_space:  global
        .offset:         80
        .size:           8
        .value_kind:     global_buffer
    .group_segment_fixed_size: 2052
    .kernarg_segment_align: 8
    .kernarg_segment_size: 88
    .language:       OpenCL C
    .language_version:
      - 2
      - 0
    .max_flat_workgroup_size: 256
    .name:           _ZN9rocsparseL44csr2gebsr_wavefront_per_row_multipass_kernelILi256ELi2ELi64ELi64EfEEv20rocsparse_direction_iiiiii21rocsparse_index_base_PKT3_PKiS7_S2_PS3_PiS9_
    .private_segment_fixed_size: 0
    .sgpr_count:     42
    .sgpr_spill_count: 0
    .symbol:         _ZN9rocsparseL44csr2gebsr_wavefront_per_row_multipass_kernelILi256ELi2ELi64ELi64EfEEv20rocsparse_direction_iiiiii21rocsparse_index_base_PKT3_PKiS7_S2_PS3_PiS9_.kd
    .uniform_work_group_size: 1
    .uses_dynamic_stack: false
    .vgpr_count:     36
    .vgpr_spill_count: 0
    .wavefront_size: 64
  - .agpr_count:     0
    .args:
      - .offset:         0
        .size:           4
        .value_kind:     by_value
      - .offset:         4
        .size:           4
        .value_kind:     by_value
      - .offset:         8
        .size:           4
        .value_kind:     by_value
      - .offset:         12
        .size:           4
        .value_kind:     by_value
      - .offset:         16
        .size:           4
        .value_kind:     by_value
      - .offset:         20
        .size:           4
        .value_kind:     by_value
      - .offset:         24
        .size:           4
        .value_kind:     by_value
      - .offset:         28
        .size:           4
        .value_kind:     by_value
      - .actual_access:  read_only
        .address_space:  global
        .offset:         32
        .size:           8
        .value_kind:     global_buffer
      - .actual_access:  read_only
        .address_space:  global
        .offset:         40
        .size:           8
        .value_kind:     global_buffer
      - .actual_access:  read_only
        .address_space:  global
        .offset:         48
        .size:           8
        .value_kind:     global_buffer
      - .offset:         56
        .size:           4
        .value_kind:     by_value
      - .actual_access:  write_only
        .address_space:  global
        .offset:         64
        .size:           8
        .value_kind:     global_buffer
      - .actual_access:  read_only
        .address_space:  global
        .offset:         72
        .size:           8
        .value_kind:     global_buffer
      - .actual_access:  write_only
        .address_space:  global
        .offset:         80
        .size:           8
        .value_kind:     global_buffer
    .group_segment_fixed_size: 4104
    .kernarg_segment_align: 8
    .kernarg_segment_size: 88
    .language:       OpenCL C
    .language_version:
      - 2
      - 0
    .max_flat_workgroup_size: 256
    .name:           _ZN9rocsparseL44csr2gebsr_wavefront_per_row_multipass_kernelILi256ELi2ELi64ELi32EfEEv20rocsparse_direction_iiiiii21rocsparse_index_base_PKT3_PKiS7_S2_PS3_PiS9_
    .private_segment_fixed_size: 0
    .sgpr_count:     41
    .sgpr_spill_count: 0
    .symbol:         _ZN9rocsparseL44csr2gebsr_wavefront_per_row_multipass_kernelILi256ELi2ELi64ELi32EfEEv20rocsparse_direction_iiiiii21rocsparse_index_base_PKT3_PKiS7_S2_PS3_PiS9_.kd
    .uniform_work_group_size: 1
    .uses_dynamic_stack: false
    .vgpr_count:     42
    .vgpr_spill_count: 0
    .wavefront_size: 64
  - .agpr_count:     0
    .args:
      - .offset:         0
        .size:           4
        .value_kind:     by_value
      - .offset:         4
        .size:           4
        .value_kind:     by_value
      - .offset:         8
        .size:           4
        .value_kind:     by_value
      - .offset:         12
        .size:           4
        .value_kind:     by_value
      - .offset:         16
        .size:           4
        .value_kind:     by_value
      - .offset:         20
        .size:           4
        .value_kind:     by_value
      - .offset:         24
        .size:           4
        .value_kind:     by_value
      - .offset:         28
        .size:           4
        .value_kind:     by_value
      - .actual_access:  read_only
        .address_space:  global
        .offset:         32
        .size:           8
        .value_kind:     global_buffer
      - .actual_access:  read_only
        .address_space:  global
        .offset:         40
        .size:           8
        .value_kind:     global_buffer
      - .actual_access:  read_only
        .address_space:  global
        .offset:         48
        .size:           8
        .value_kind:     global_buffer
      - .offset:         56
        .size:           4
        .value_kind:     by_value
      - .actual_access:  write_only
        .address_space:  global
        .offset:         64
        .size:           8
        .value_kind:     global_buffer
      - .actual_access:  read_only
        .address_space:  global
        .offset:         72
        .size:           8
        .value_kind:     global_buffer
      - .actual_access:  write_only
        .address_space:  global
        .offset:         80
        .size:           8
        .value_kind:     global_buffer
    .group_segment_fixed_size: 1056
    .kernarg_segment_align: 8
    .kernarg_segment_size: 88
    .language:       OpenCL C
    .language_version:
      - 2
      - 0
    .max_flat_workgroup_size: 256
    .name:           _ZN9rocsparseL44csr2gebsr_wavefront_per_row_multipass_kernelILi256ELi4ELi2ELi8EfEEv20rocsparse_direction_iiiiii21rocsparse_index_base_PKT3_PKiS7_S2_PS3_PiS9_
    .private_segment_fixed_size: 0
    .sgpr_count:     32
    .sgpr_spill_count: 0
    .symbol:         _ZN9rocsparseL44csr2gebsr_wavefront_per_row_multipass_kernelILi256ELi4ELi2ELi8EfEEv20rocsparse_direction_iiiiii21rocsparse_index_base_PKT3_PKiS7_S2_PS3_PiS9_.kd
    .uniform_work_group_size: 1
    .uses_dynamic_stack: false
    .vgpr_count:     29
    .vgpr_spill_count: 0
    .wavefront_size: 64
  - .agpr_count:     0
    .args:
      - .offset:         0
        .size:           4
        .value_kind:     by_value
      - .offset:         4
        .size:           4
        .value_kind:     by_value
      - .offset:         8
        .size:           4
        .value_kind:     by_value
      - .offset:         12
        .size:           4
        .value_kind:     by_value
      - .offset:         16
        .size:           4
        .value_kind:     by_value
      - .offset:         20
        .size:           4
        .value_kind:     by_value
      - .offset:         24
        .size:           4
        .value_kind:     by_value
      - .offset:         28
        .size:           4
        .value_kind:     by_value
      - .actual_access:  read_only
        .address_space:  global
        .offset:         32
        .size:           8
        .value_kind:     global_buffer
      - .actual_access:  read_only
        .address_space:  global
        .offset:         40
        .size:           8
        .value_kind:     global_buffer
      - .actual_access:  read_only
        .address_space:  global
        .offset:         48
        .size:           8
        .value_kind:     global_buffer
      - .offset:         56
        .size:           4
        .value_kind:     by_value
      - .actual_access:  write_only
        .address_space:  global
        .offset:         64
        .size:           8
        .value_kind:     global_buffer
      - .actual_access:  read_only
        .address_space:  global
        .offset:         72
        .size:           8
        .value_kind:     global_buffer
      - .actual_access:  write_only
        .address_space:  global
        .offset:         80
        .size:           8
        .value_kind:     global_buffer
    .group_segment_fixed_size: 1040
    .kernarg_segment_align: 8
    .kernarg_segment_size: 88
    .language:       OpenCL C
    .language_version:
      - 2
      - 0
    .max_flat_workgroup_size: 256
    .name:           _ZN9rocsparseL44csr2gebsr_wavefront_per_row_multipass_kernelILi256ELi4ELi4ELi16EfEEv20rocsparse_direction_iiiiii21rocsparse_index_base_PKT3_PKiS7_S2_PS3_PiS9_
    .private_segment_fixed_size: 0
    .sgpr_count:     32
    .sgpr_spill_count: 0
    .symbol:         _ZN9rocsparseL44csr2gebsr_wavefront_per_row_multipass_kernelILi256ELi4ELi4ELi16EfEEv20rocsparse_direction_iiiiii21rocsparse_index_base_PKT3_PKiS7_S2_PS3_PiS9_.kd
    .uniform_work_group_size: 1
    .uses_dynamic_stack: false
    .vgpr_count:     29
    .vgpr_spill_count: 0
    .wavefront_size: 64
  - .agpr_count:     0
    .args:
      - .offset:         0
        .size:           4
        .value_kind:     by_value
      - .offset:         4
        .size:           4
        .value_kind:     by_value
      - .offset:         8
        .size:           4
        .value_kind:     by_value
      - .offset:         12
        .size:           4
        .value_kind:     by_value
      - .offset:         16
        .size:           4
        .value_kind:     by_value
      - .offset:         20
        .size:           4
        .value_kind:     by_value
      - .offset:         24
        .size:           4
        .value_kind:     by_value
      - .offset:         28
        .size:           4
        .value_kind:     by_value
      - .actual_access:  read_only
        .address_space:  global
        .offset:         32
        .size:           8
        .value_kind:     global_buffer
      - .actual_access:  read_only
        .address_space:  global
        .offset:         40
        .size:           8
        .value_kind:     global_buffer
      - .actual_access:  read_only
        .address_space:  global
        .offset:         48
        .size:           8
        .value_kind:     global_buffer
      - .offset:         56
        .size:           4
        .value_kind:     by_value
      - .actual_access:  write_only
        .address_space:  global
        .offset:         64
        .size:           8
        .value_kind:     global_buffer
      - .actual_access:  read_only
        .address_space:  global
        .offset:         72
        .size:           8
        .value_kind:     global_buffer
      - .actual_access:  write_only
        .address_space:  global
        .offset:         80
        .size:           8
        .value_kind:     global_buffer
    .group_segment_fixed_size: 1032
    .kernarg_segment_align: 8
    .kernarg_segment_size: 88
    .language:       OpenCL C
    .language_version:
      - 2
      - 0
    .max_flat_workgroup_size: 256
    .name:           _ZN9rocsparseL44csr2gebsr_wavefront_per_row_multipass_kernelILi256ELi4ELi8ELi32EfEEv20rocsparse_direction_iiiiii21rocsparse_index_base_PKT3_PKiS7_S2_PS3_PiS9_
    .private_segment_fixed_size: 0
    .sgpr_count:     32
    .sgpr_spill_count: 0
    .symbol:         _ZN9rocsparseL44csr2gebsr_wavefront_per_row_multipass_kernelILi256ELi4ELi8ELi32EfEEv20rocsparse_direction_iiiiii21rocsparse_index_base_PKT3_PKiS7_S2_PS3_PiS9_.kd
    .uniform_work_group_size: 1
    .uses_dynamic_stack: false
    .vgpr_count:     29
    .vgpr_spill_count: 0
    .wavefront_size: 64
  - .agpr_count:     0
    .args:
      - .offset:         0
        .size:           4
        .value_kind:     by_value
      - .offset:         4
        .size:           4
        .value_kind:     by_value
      - .offset:         8
        .size:           4
        .value_kind:     by_value
      - .offset:         12
        .size:           4
        .value_kind:     by_value
      - .offset:         16
        .size:           4
        .value_kind:     by_value
      - .offset:         20
        .size:           4
        .value_kind:     by_value
      - .offset:         24
        .size:           4
        .value_kind:     by_value
      - .offset:         28
        .size:           4
        .value_kind:     by_value
      - .actual_access:  read_only
        .address_space:  global
        .offset:         32
        .size:           8
        .value_kind:     global_buffer
      - .actual_access:  read_only
        .address_space:  global
        .offset:         40
        .size:           8
        .value_kind:     global_buffer
      - .actual_access:  read_only
        .address_space:  global
        .offset:         48
        .size:           8
        .value_kind:     global_buffer
      - .offset:         56
        .size:           4
        .value_kind:     by_value
      - .actual_access:  write_only
        .address_space:  global
        .offset:         64
        .size:           8
        .value_kind:     global_buffer
      - .actual_access:  read_only
        .address_space:  global
        .offset:         72
        .size:           8
        .value_kind:     global_buffer
      - .actual_access:  write_only
        .address_space:  global
        .offset:         80
        .size:           8
        .value_kind:     global_buffer
    .group_segment_fixed_size: 1028
    .kernarg_segment_align: 8
    .kernarg_segment_size: 88
    .language:       OpenCL C
    .language_version:
      - 2
      - 0
    .max_flat_workgroup_size: 256
    .name:           _ZN9rocsparseL44csr2gebsr_wavefront_per_row_multipass_kernelILi256ELi4ELi16ELi64EfEEv20rocsparse_direction_iiiiii21rocsparse_index_base_PKT3_PKiS7_S2_PS3_PiS9_
    .private_segment_fixed_size: 0
    .sgpr_count:     32
    .sgpr_spill_count: 0
    .symbol:         _ZN9rocsparseL44csr2gebsr_wavefront_per_row_multipass_kernelILi256ELi4ELi16ELi64EfEEv20rocsparse_direction_iiiiii21rocsparse_index_base_PKT3_PKiS7_S2_PS3_PiS9_.kd
    .uniform_work_group_size: 1
    .uses_dynamic_stack: false
    .vgpr_count:     29
    .vgpr_spill_count: 0
    .wavefront_size: 64
  - .agpr_count:     0
    .args:
      - .offset:         0
        .size:           4
        .value_kind:     by_value
      - .offset:         4
        .size:           4
        .value_kind:     by_value
      - .offset:         8
        .size:           4
        .value_kind:     by_value
      - .offset:         12
        .size:           4
        .value_kind:     by_value
      - .offset:         16
        .size:           4
        .value_kind:     by_value
      - .offset:         20
        .size:           4
        .value_kind:     by_value
      - .offset:         24
        .size:           4
        .value_kind:     by_value
      - .offset:         28
        .size:           4
        .value_kind:     by_value
      - .actual_access:  read_only
        .address_space:  global
        .offset:         32
        .size:           8
        .value_kind:     global_buffer
      - .actual_access:  read_only
        .address_space:  global
        .offset:         40
        .size:           8
        .value_kind:     global_buffer
      - .actual_access:  read_only
        .address_space:  global
        .offset:         48
        .size:           8
        .value_kind:     global_buffer
      - .offset:         56
        .size:           4
        .value_kind:     by_value
      - .actual_access:  write_only
        .address_space:  global
        .offset:         64
        .size:           8
        .value_kind:     global_buffer
      - .actual_access:  read_only
        .address_space:  global
        .offset:         72
        .size:           8
        .value_kind:     global_buffer
      - .actual_access:  write_only
        .address_space:  global
        .offset:         80
        .size:           8
        .value_kind:     global_buffer
    .group_segment_fixed_size: 2056
    .kernarg_segment_align: 8
    .kernarg_segment_size: 88
    .language:       OpenCL C
    .language_version:
      - 2
      - 0
    .max_flat_workgroup_size: 256
    .name:           _ZN9rocsparseL44csr2gebsr_wavefront_per_row_multipass_kernelILi256ELi4ELi16ELi32EfEEv20rocsparse_direction_iiiiii21rocsparse_index_base_PKT3_PKiS7_S2_PS3_PiS9_
    .private_segment_fixed_size: 0
    .sgpr_count:     38
    .sgpr_spill_count: 0
    .symbol:         _ZN9rocsparseL44csr2gebsr_wavefront_per_row_multipass_kernelILi256ELi4ELi16ELi32EfEEv20rocsparse_direction_iiiiii21rocsparse_index_base_PKT3_PKiS7_S2_PS3_PiS9_.kd
    .uniform_work_group_size: 1
    .uses_dynamic_stack: false
    .vgpr_count:     36
    .vgpr_spill_count: 0
    .wavefront_size: 64
  - .agpr_count:     0
    .args:
      - .offset:         0
        .size:           4
        .value_kind:     by_value
      - .offset:         4
        .size:           4
        .value_kind:     by_value
      - .offset:         8
        .size:           4
        .value_kind:     by_value
      - .offset:         12
        .size:           4
        .value_kind:     by_value
      - .offset:         16
        .size:           4
        .value_kind:     by_value
      - .offset:         20
        .size:           4
        .value_kind:     by_value
      - .offset:         24
        .size:           4
        .value_kind:     by_value
      - .offset:         28
        .size:           4
        .value_kind:     by_value
      - .actual_access:  read_only
        .address_space:  global
        .offset:         32
        .size:           8
        .value_kind:     global_buffer
      - .actual_access:  read_only
        .address_space:  global
        .offset:         40
        .size:           8
        .value_kind:     global_buffer
      - .actual_access:  read_only
        .address_space:  global
        .offset:         48
        .size:           8
        .value_kind:     global_buffer
      - .offset:         56
        .size:           4
        .value_kind:     by_value
      - .actual_access:  write_only
        .address_space:  global
        .offset:         64
        .size:           8
        .value_kind:     global_buffer
      - .actual_access:  read_only
        .address_space:  global
        .offset:         72
        .size:           8
        .value_kind:     global_buffer
      - .actual_access:  write_only
        .address_space:  global
        .offset:         80
        .size:           8
        .value_kind:     global_buffer
    .group_segment_fixed_size: 2052
    .kernarg_segment_align: 8
    .kernarg_segment_size: 88
    .language:       OpenCL C
    .language_version:
      - 2
      - 0
    .max_flat_workgroup_size: 256
    .name:           _ZN9rocsparseL44csr2gebsr_wavefront_per_row_multipass_kernelILi256ELi4ELi32ELi64EfEEv20rocsparse_direction_iiiiii21rocsparse_index_base_PKT3_PKiS7_S2_PS3_PiS9_
    .private_segment_fixed_size: 0
    .sgpr_count:     38
    .sgpr_spill_count: 0
    .symbol:         _ZN9rocsparseL44csr2gebsr_wavefront_per_row_multipass_kernelILi256ELi4ELi32ELi64EfEEv20rocsparse_direction_iiiiii21rocsparse_index_base_PKT3_PKiS7_S2_PS3_PiS9_.kd
    .uniform_work_group_size: 1
    .uses_dynamic_stack: false
    .vgpr_count:     36
    .vgpr_spill_count: 0
    .wavefront_size: 64
  - .agpr_count:     0
    .args:
      - .offset:         0
        .size:           4
        .value_kind:     by_value
      - .offset:         4
        .size:           4
        .value_kind:     by_value
      - .offset:         8
        .size:           4
        .value_kind:     by_value
      - .offset:         12
        .size:           4
        .value_kind:     by_value
      - .offset:         16
        .size:           4
        .value_kind:     by_value
      - .offset:         20
        .size:           4
        .value_kind:     by_value
      - .offset:         24
        .size:           4
        .value_kind:     by_value
      - .offset:         28
        .size:           4
        .value_kind:     by_value
      - .actual_access:  read_only
        .address_space:  global
        .offset:         32
        .size:           8
        .value_kind:     global_buffer
      - .actual_access:  read_only
        .address_space:  global
        .offset:         40
        .size:           8
        .value_kind:     global_buffer
      - .actual_access:  read_only
        .address_space:  global
        .offset:         48
        .size:           8
        .value_kind:     global_buffer
      - .offset:         56
        .size:           4
        .value_kind:     by_value
      - .actual_access:  write_only
        .address_space:  global
        .offset:         64
        .size:           8
        .value_kind:     global_buffer
      - .actual_access:  read_only
        .address_space:  global
        .offset:         72
        .size:           8
        .value_kind:     global_buffer
      - .actual_access:  write_only
        .address_space:  global
        .offset:         80
        .size:           8
        .value_kind:     global_buffer
    .group_segment_fixed_size: 4104
    .kernarg_segment_align: 8
    .kernarg_segment_size: 88
    .language:       OpenCL C
    .language_version:
      - 2
      - 0
    .max_flat_workgroup_size: 256
    .name:           _ZN9rocsparseL44csr2gebsr_wavefront_per_row_multipass_kernelILi256ELi4ELi32ELi32EfEEv20rocsparse_direction_iiiiii21rocsparse_index_base_PKT3_PKiS7_S2_PS3_PiS9_
    .private_segment_fixed_size: 0
    .sgpr_count:     41
    .sgpr_spill_count: 0
    .symbol:         _ZN9rocsparseL44csr2gebsr_wavefront_per_row_multipass_kernelILi256ELi4ELi32ELi32EfEEv20rocsparse_direction_iiiiii21rocsparse_index_base_PKT3_PKiS7_S2_PS3_PiS9_.kd
    .uniform_work_group_size: 1
    .uses_dynamic_stack: false
    .vgpr_count:     42
    .vgpr_spill_count: 0
    .wavefront_size: 64
  - .agpr_count:     0
    .args:
      - .offset:         0
        .size:           4
        .value_kind:     by_value
      - .offset:         4
        .size:           4
        .value_kind:     by_value
      - .offset:         8
        .size:           4
        .value_kind:     by_value
      - .offset:         12
        .size:           4
        .value_kind:     by_value
      - .offset:         16
        .size:           4
        .value_kind:     by_value
      - .offset:         20
        .size:           4
        .value_kind:     by_value
      - .offset:         24
        .size:           4
        .value_kind:     by_value
      - .offset:         28
        .size:           4
        .value_kind:     by_value
      - .actual_access:  read_only
        .address_space:  global
        .offset:         32
        .size:           8
        .value_kind:     global_buffer
      - .actual_access:  read_only
        .address_space:  global
        .offset:         40
        .size:           8
        .value_kind:     global_buffer
      - .actual_access:  read_only
        .address_space:  global
        .offset:         48
        .size:           8
        .value_kind:     global_buffer
      - .offset:         56
        .size:           4
        .value_kind:     by_value
      - .actual_access:  write_only
        .address_space:  global
        .offset:         64
        .size:           8
        .value_kind:     global_buffer
      - .actual_access:  read_only
        .address_space:  global
        .offset:         72
        .size:           8
        .value_kind:     global_buffer
      - .actual_access:  write_only
        .address_space:  global
        .offset:         80
        .size:           8
        .value_kind:     global_buffer
    .group_segment_fixed_size: 4100
    .kernarg_segment_align: 8
    .kernarg_segment_size: 88
    .language:       OpenCL C
    .language_version:
      - 2
      - 0
    .max_flat_workgroup_size: 256
    .name:           _ZN9rocsparseL44csr2gebsr_wavefront_per_row_multipass_kernelILi256ELi4ELi64ELi64EfEEv20rocsparse_direction_iiiiii21rocsparse_index_base_PKT3_PKiS7_S2_PS3_PiS9_
    .private_segment_fixed_size: 0
    .sgpr_count:     41
    .sgpr_spill_count: 0
    .symbol:         _ZN9rocsparseL44csr2gebsr_wavefront_per_row_multipass_kernelILi256ELi4ELi64ELi64EfEEv20rocsparse_direction_iiiiii21rocsparse_index_base_PKT3_PKiS7_S2_PS3_PiS9_.kd
    .uniform_work_group_size: 1
    .uses_dynamic_stack: false
    .vgpr_count:     42
    .vgpr_spill_count: 0
    .wavefront_size: 64
  - .agpr_count:     0
    .args:
      - .offset:         0
        .size:           4
        .value_kind:     by_value
      - .offset:         4
        .size:           4
        .value_kind:     by_value
      - .offset:         8
        .size:           4
        .value_kind:     by_value
      - .offset:         12
        .size:           4
        .value_kind:     by_value
      - .offset:         16
        .size:           4
        .value_kind:     by_value
      - .offset:         20
        .size:           4
        .value_kind:     by_value
      - .offset:         24
        .size:           4
        .value_kind:     by_value
      - .offset:         28
        .size:           4
        .value_kind:     by_value
      - .actual_access:  read_only
        .address_space:  global
        .offset:         32
        .size:           8
        .value_kind:     global_buffer
      - .actual_access:  read_only
        .address_space:  global
        .offset:         40
        .size:           8
        .value_kind:     global_buffer
      - .actual_access:  read_only
        .address_space:  global
        .offset:         48
        .size:           8
        .value_kind:     global_buffer
      - .offset:         56
        .size:           4
        .value_kind:     by_value
      - .actual_access:  write_only
        .address_space:  global
        .offset:         64
        .size:           8
        .value_kind:     global_buffer
      - .actual_access:  read_only
        .address_space:  global
        .offset:         72
        .size:           8
        .value_kind:     global_buffer
      - .actual_access:  write_only
        .address_space:  global
        .offset:         80
        .size:           8
        .value_kind:     global_buffer
    .group_segment_fixed_size: 8200
    .kernarg_segment_align: 8
    .kernarg_segment_size: 88
    .language:       OpenCL C
    .language_version:
      - 2
      - 0
    .max_flat_workgroup_size: 256
    .name:           _ZN9rocsparseL44csr2gebsr_wavefront_per_row_multipass_kernelILi256ELi4ELi64ELi32EfEEv20rocsparse_direction_iiiiii21rocsparse_index_base_PKT3_PKiS7_S2_PS3_PiS9_
    .private_segment_fixed_size: 0
    .sgpr_count:     49
    .sgpr_spill_count: 0
    .symbol:         _ZN9rocsparseL44csr2gebsr_wavefront_per_row_multipass_kernelILi256ELi4ELi64ELi32EfEEv20rocsparse_direction_iiiiii21rocsparse_index_base_PKT3_PKiS7_S2_PS3_PiS9_.kd
    .uniform_work_group_size: 1
    .uses_dynamic_stack: false
    .vgpr_count:     54
    .vgpr_spill_count: 0
    .wavefront_size: 64
  - .agpr_count:     0
    .args:
      - .offset:         0
        .size:           4
        .value_kind:     by_value
      - .offset:         4
        .size:           4
        .value_kind:     by_value
      - .offset:         8
        .size:           4
        .value_kind:     by_value
      - .offset:         12
        .size:           4
        .value_kind:     by_value
      - .offset:         16
        .size:           4
        .value_kind:     by_value
      - .offset:         20
        .size:           4
        .value_kind:     by_value
      - .offset:         24
        .size:           4
        .value_kind:     by_value
      - .offset:         28
        .size:           4
        .value_kind:     by_value
      - .actual_access:  read_only
        .address_space:  global
        .offset:         32
        .size:           8
        .value_kind:     global_buffer
      - .actual_access:  read_only
        .address_space:  global
        .offset:         40
        .size:           8
        .value_kind:     global_buffer
      - .actual_access:  read_only
        .address_space:  global
        .offset:         48
        .size:           8
        .value_kind:     global_buffer
      - .offset:         56
        .size:           4
        .value_kind:     by_value
      - .actual_access:  write_only
        .address_space:  global
        .offset:         64
        .size:           8
        .value_kind:     global_buffer
      - .actual_access:  read_only
        .address_space:  global
        .offset:         72
        .size:           8
        .value_kind:     global_buffer
      - .actual_access:  write_only
        .address_space:  global
        .offset:         80
        .size:           8
        .value_kind:     global_buffer
    .group_segment_fixed_size: 1040
    .kernarg_segment_align: 8
    .kernarg_segment_size: 88
    .language:       OpenCL C
    .language_version:
      - 2
      - 0
    .max_flat_workgroup_size: 256
    .name:           _ZN9rocsparseL44csr2gebsr_wavefront_per_row_multipass_kernelILi256ELi8ELi2ELi16EfEEv20rocsparse_direction_iiiiii21rocsparse_index_base_PKT3_PKiS7_S2_PS3_PiS9_
    .private_segment_fixed_size: 0
    .sgpr_count:     32
    .sgpr_spill_count: 0
    .symbol:         _ZN9rocsparseL44csr2gebsr_wavefront_per_row_multipass_kernelILi256ELi8ELi2ELi16EfEEv20rocsparse_direction_iiiiii21rocsparse_index_base_PKT3_PKiS7_S2_PS3_PiS9_.kd
    .uniform_work_group_size: 1
    .uses_dynamic_stack: false
    .vgpr_count:     29
    .vgpr_spill_count: 0
    .wavefront_size: 64
  - .agpr_count:     0
    .args:
      - .offset:         0
        .size:           4
        .value_kind:     by_value
      - .offset:         4
        .size:           4
        .value_kind:     by_value
      - .offset:         8
        .size:           4
        .value_kind:     by_value
      - .offset:         12
        .size:           4
        .value_kind:     by_value
      - .offset:         16
        .size:           4
        .value_kind:     by_value
      - .offset:         20
        .size:           4
        .value_kind:     by_value
      - .offset:         24
        .size:           4
        .value_kind:     by_value
      - .offset:         28
        .size:           4
        .value_kind:     by_value
      - .actual_access:  read_only
        .address_space:  global
        .offset:         32
        .size:           8
        .value_kind:     global_buffer
      - .actual_access:  read_only
        .address_space:  global
        .offset:         40
        .size:           8
        .value_kind:     global_buffer
      - .actual_access:  read_only
        .address_space:  global
        .offset:         48
        .size:           8
        .value_kind:     global_buffer
      - .offset:         56
        .size:           4
        .value_kind:     by_value
      - .actual_access:  write_only
        .address_space:  global
        .offset:         64
        .size:           8
        .value_kind:     global_buffer
      - .actual_access:  read_only
        .address_space:  global
        .offset:         72
        .size:           8
        .value_kind:     global_buffer
      - .actual_access:  write_only
        .address_space:  global
        .offset:         80
        .size:           8
        .value_kind:     global_buffer
    .group_segment_fixed_size: 1032
    .kernarg_segment_align: 8
    .kernarg_segment_size: 88
    .language:       OpenCL C
    .language_version:
      - 2
      - 0
    .max_flat_workgroup_size: 256
    .name:           _ZN9rocsparseL44csr2gebsr_wavefront_per_row_multipass_kernelILi256ELi8ELi4ELi32EfEEv20rocsparse_direction_iiiiii21rocsparse_index_base_PKT3_PKiS7_S2_PS3_PiS9_
    .private_segment_fixed_size: 0
    .sgpr_count:     32
    .sgpr_spill_count: 0
    .symbol:         _ZN9rocsparseL44csr2gebsr_wavefront_per_row_multipass_kernelILi256ELi8ELi4ELi32EfEEv20rocsparse_direction_iiiiii21rocsparse_index_base_PKT3_PKiS7_S2_PS3_PiS9_.kd
    .uniform_work_group_size: 1
    .uses_dynamic_stack: false
    .vgpr_count:     29
    .vgpr_spill_count: 0
    .wavefront_size: 64
  - .agpr_count:     0
    .args:
      - .offset:         0
        .size:           4
        .value_kind:     by_value
      - .offset:         4
        .size:           4
        .value_kind:     by_value
      - .offset:         8
        .size:           4
        .value_kind:     by_value
      - .offset:         12
        .size:           4
        .value_kind:     by_value
      - .offset:         16
        .size:           4
        .value_kind:     by_value
      - .offset:         20
        .size:           4
        .value_kind:     by_value
      - .offset:         24
        .size:           4
        .value_kind:     by_value
      - .offset:         28
        .size:           4
        .value_kind:     by_value
      - .actual_access:  read_only
        .address_space:  global
        .offset:         32
        .size:           8
        .value_kind:     global_buffer
      - .actual_access:  read_only
        .address_space:  global
        .offset:         40
        .size:           8
        .value_kind:     global_buffer
      - .actual_access:  read_only
        .address_space:  global
        .offset:         48
        .size:           8
        .value_kind:     global_buffer
      - .offset:         56
        .size:           4
        .value_kind:     by_value
      - .actual_access:  write_only
        .address_space:  global
        .offset:         64
        .size:           8
        .value_kind:     global_buffer
      - .actual_access:  read_only
        .address_space:  global
        .offset:         72
        .size:           8
        .value_kind:     global_buffer
      - .actual_access:  write_only
        .address_space:  global
        .offset:         80
        .size:           8
        .value_kind:     global_buffer
    .group_segment_fixed_size: 1028
    .kernarg_segment_align: 8
    .kernarg_segment_size: 88
    .language:       OpenCL C
    .language_version:
      - 2
      - 0
    .max_flat_workgroup_size: 256
    .name:           _ZN9rocsparseL44csr2gebsr_wavefront_per_row_multipass_kernelILi256ELi8ELi8ELi64EfEEv20rocsparse_direction_iiiiii21rocsparse_index_base_PKT3_PKiS7_S2_PS3_PiS9_
    .private_segment_fixed_size: 0
    .sgpr_count:     32
    .sgpr_spill_count: 0
    .symbol:         _ZN9rocsparseL44csr2gebsr_wavefront_per_row_multipass_kernelILi256ELi8ELi8ELi64EfEEv20rocsparse_direction_iiiiii21rocsparse_index_base_PKT3_PKiS7_S2_PS3_PiS9_.kd
    .uniform_work_group_size: 1
    .uses_dynamic_stack: false
    .vgpr_count:     29
    .vgpr_spill_count: 0
    .wavefront_size: 64
  - .agpr_count:     0
    .args:
      - .offset:         0
        .size:           4
        .value_kind:     by_value
      - .offset:         4
        .size:           4
        .value_kind:     by_value
      - .offset:         8
        .size:           4
        .value_kind:     by_value
      - .offset:         12
        .size:           4
        .value_kind:     by_value
      - .offset:         16
        .size:           4
        .value_kind:     by_value
      - .offset:         20
        .size:           4
        .value_kind:     by_value
      - .offset:         24
        .size:           4
        .value_kind:     by_value
      - .offset:         28
        .size:           4
        .value_kind:     by_value
      - .actual_access:  read_only
        .address_space:  global
        .offset:         32
        .size:           8
        .value_kind:     global_buffer
      - .actual_access:  read_only
        .address_space:  global
        .offset:         40
        .size:           8
        .value_kind:     global_buffer
      - .actual_access:  read_only
        .address_space:  global
        .offset:         48
        .size:           8
        .value_kind:     global_buffer
      - .offset:         56
        .size:           4
        .value_kind:     by_value
      - .actual_access:  write_only
        .address_space:  global
        .offset:         64
        .size:           8
        .value_kind:     global_buffer
      - .actual_access:  read_only
        .address_space:  global
        .offset:         72
        .size:           8
        .value_kind:     global_buffer
      - .actual_access:  write_only
        .address_space:  global
        .offset:         80
        .size:           8
        .value_kind:     global_buffer
    .group_segment_fixed_size: 2056
    .kernarg_segment_align: 8
    .kernarg_segment_size: 88
    .language:       OpenCL C
    .language_version:
      - 2
      - 0
    .max_flat_workgroup_size: 256
    .name:           _ZN9rocsparseL44csr2gebsr_wavefront_per_row_multipass_kernelILi256ELi8ELi8ELi32EfEEv20rocsparse_direction_iiiiii21rocsparse_index_base_PKT3_PKiS7_S2_PS3_PiS9_
    .private_segment_fixed_size: 0
    .sgpr_count:     38
    .sgpr_spill_count: 0
    .symbol:         _ZN9rocsparseL44csr2gebsr_wavefront_per_row_multipass_kernelILi256ELi8ELi8ELi32EfEEv20rocsparse_direction_iiiiii21rocsparse_index_base_PKT3_PKiS7_S2_PS3_PiS9_.kd
    .uniform_work_group_size: 1
    .uses_dynamic_stack: false
    .vgpr_count:     36
    .vgpr_spill_count: 0
    .wavefront_size: 64
  - .agpr_count:     0
    .args:
      - .offset:         0
        .size:           4
        .value_kind:     by_value
      - .offset:         4
        .size:           4
        .value_kind:     by_value
      - .offset:         8
        .size:           4
        .value_kind:     by_value
      - .offset:         12
        .size:           4
        .value_kind:     by_value
      - .offset:         16
        .size:           4
        .value_kind:     by_value
      - .offset:         20
        .size:           4
        .value_kind:     by_value
      - .offset:         24
        .size:           4
        .value_kind:     by_value
      - .offset:         28
        .size:           4
        .value_kind:     by_value
      - .actual_access:  read_only
        .address_space:  global
        .offset:         32
        .size:           8
        .value_kind:     global_buffer
      - .actual_access:  read_only
        .address_space:  global
        .offset:         40
        .size:           8
        .value_kind:     global_buffer
      - .actual_access:  read_only
        .address_space:  global
        .offset:         48
        .size:           8
        .value_kind:     global_buffer
      - .offset:         56
        .size:           4
        .value_kind:     by_value
      - .actual_access:  write_only
        .address_space:  global
        .offset:         64
        .size:           8
        .value_kind:     global_buffer
      - .actual_access:  read_only
        .address_space:  global
        .offset:         72
        .size:           8
        .value_kind:     global_buffer
      - .actual_access:  write_only
        .address_space:  global
        .offset:         80
        .size:           8
        .value_kind:     global_buffer
    .group_segment_fixed_size: 2052
    .kernarg_segment_align: 8
    .kernarg_segment_size: 88
    .language:       OpenCL C
    .language_version:
      - 2
      - 0
    .max_flat_workgroup_size: 256
    .name:           _ZN9rocsparseL44csr2gebsr_wavefront_per_row_multipass_kernelILi256ELi8ELi16ELi64EfEEv20rocsparse_direction_iiiiii21rocsparse_index_base_PKT3_PKiS7_S2_PS3_PiS9_
    .private_segment_fixed_size: 0
    .sgpr_count:     38
    .sgpr_spill_count: 0
    .symbol:         _ZN9rocsparseL44csr2gebsr_wavefront_per_row_multipass_kernelILi256ELi8ELi16ELi64EfEEv20rocsparse_direction_iiiiii21rocsparse_index_base_PKT3_PKiS7_S2_PS3_PiS9_.kd
    .uniform_work_group_size: 1
    .uses_dynamic_stack: false
    .vgpr_count:     36
    .vgpr_spill_count: 0
    .wavefront_size: 64
  - .agpr_count:     0
    .args:
      - .offset:         0
        .size:           4
        .value_kind:     by_value
      - .offset:         4
        .size:           4
        .value_kind:     by_value
      - .offset:         8
        .size:           4
        .value_kind:     by_value
      - .offset:         12
        .size:           4
        .value_kind:     by_value
      - .offset:         16
        .size:           4
        .value_kind:     by_value
      - .offset:         20
        .size:           4
        .value_kind:     by_value
      - .offset:         24
        .size:           4
        .value_kind:     by_value
      - .offset:         28
        .size:           4
        .value_kind:     by_value
      - .actual_access:  read_only
        .address_space:  global
        .offset:         32
        .size:           8
        .value_kind:     global_buffer
      - .actual_access:  read_only
        .address_space:  global
        .offset:         40
        .size:           8
        .value_kind:     global_buffer
      - .actual_access:  read_only
        .address_space:  global
        .offset:         48
        .size:           8
        .value_kind:     global_buffer
      - .offset:         56
        .size:           4
        .value_kind:     by_value
      - .actual_access:  write_only
        .address_space:  global
        .offset:         64
        .size:           8
        .value_kind:     global_buffer
      - .actual_access:  read_only
        .address_space:  global
        .offset:         72
        .size:           8
        .value_kind:     global_buffer
      - .actual_access:  write_only
        .address_space:  global
        .offset:         80
        .size:           8
        .value_kind:     global_buffer
    .group_segment_fixed_size: 4104
    .kernarg_segment_align: 8
    .kernarg_segment_size: 88
    .language:       OpenCL C
    .language_version:
      - 2
      - 0
    .max_flat_workgroup_size: 256
    .name:           _ZN9rocsparseL44csr2gebsr_wavefront_per_row_multipass_kernelILi256ELi8ELi16ELi32EfEEv20rocsparse_direction_iiiiii21rocsparse_index_base_PKT3_PKiS7_S2_PS3_PiS9_
    .private_segment_fixed_size: 0
    .sgpr_count:     41
    .sgpr_spill_count: 0
    .symbol:         _ZN9rocsparseL44csr2gebsr_wavefront_per_row_multipass_kernelILi256ELi8ELi16ELi32EfEEv20rocsparse_direction_iiiiii21rocsparse_index_base_PKT3_PKiS7_S2_PS3_PiS9_.kd
    .uniform_work_group_size: 1
    .uses_dynamic_stack: false
    .vgpr_count:     42
    .vgpr_spill_count: 0
    .wavefront_size: 64
  - .agpr_count:     0
    .args:
      - .offset:         0
        .size:           4
        .value_kind:     by_value
      - .offset:         4
        .size:           4
        .value_kind:     by_value
      - .offset:         8
        .size:           4
        .value_kind:     by_value
      - .offset:         12
        .size:           4
        .value_kind:     by_value
      - .offset:         16
        .size:           4
        .value_kind:     by_value
      - .offset:         20
        .size:           4
        .value_kind:     by_value
      - .offset:         24
        .size:           4
        .value_kind:     by_value
      - .offset:         28
        .size:           4
        .value_kind:     by_value
      - .actual_access:  read_only
        .address_space:  global
        .offset:         32
        .size:           8
        .value_kind:     global_buffer
      - .actual_access:  read_only
        .address_space:  global
        .offset:         40
        .size:           8
        .value_kind:     global_buffer
      - .actual_access:  read_only
        .address_space:  global
        .offset:         48
        .size:           8
        .value_kind:     global_buffer
      - .offset:         56
        .size:           4
        .value_kind:     by_value
      - .actual_access:  write_only
        .address_space:  global
        .offset:         64
        .size:           8
        .value_kind:     global_buffer
      - .actual_access:  read_only
        .address_space:  global
        .offset:         72
        .size:           8
        .value_kind:     global_buffer
      - .actual_access:  write_only
        .address_space:  global
        .offset:         80
        .size:           8
        .value_kind:     global_buffer
    .group_segment_fixed_size: 4100
    .kernarg_segment_align: 8
    .kernarg_segment_size: 88
    .language:       OpenCL C
    .language_version:
      - 2
      - 0
    .max_flat_workgroup_size: 256
    .name:           _ZN9rocsparseL44csr2gebsr_wavefront_per_row_multipass_kernelILi256ELi8ELi32ELi64EfEEv20rocsparse_direction_iiiiii21rocsparse_index_base_PKT3_PKiS7_S2_PS3_PiS9_
    .private_segment_fixed_size: 0
    .sgpr_count:     41
    .sgpr_spill_count: 0
    .symbol:         _ZN9rocsparseL44csr2gebsr_wavefront_per_row_multipass_kernelILi256ELi8ELi32ELi64EfEEv20rocsparse_direction_iiiiii21rocsparse_index_base_PKT3_PKiS7_S2_PS3_PiS9_.kd
    .uniform_work_group_size: 1
    .uses_dynamic_stack: false
    .vgpr_count:     42
    .vgpr_spill_count: 0
    .wavefront_size: 64
  - .agpr_count:     0
    .args:
      - .offset:         0
        .size:           4
        .value_kind:     by_value
      - .offset:         4
        .size:           4
        .value_kind:     by_value
      - .offset:         8
        .size:           4
        .value_kind:     by_value
      - .offset:         12
        .size:           4
        .value_kind:     by_value
      - .offset:         16
        .size:           4
        .value_kind:     by_value
      - .offset:         20
        .size:           4
        .value_kind:     by_value
      - .offset:         24
        .size:           4
        .value_kind:     by_value
      - .offset:         28
        .size:           4
        .value_kind:     by_value
      - .actual_access:  read_only
        .address_space:  global
        .offset:         32
        .size:           8
        .value_kind:     global_buffer
      - .actual_access:  read_only
        .address_space:  global
        .offset:         40
        .size:           8
        .value_kind:     global_buffer
      - .actual_access:  read_only
        .address_space:  global
        .offset:         48
        .size:           8
        .value_kind:     global_buffer
      - .offset:         56
        .size:           4
        .value_kind:     by_value
      - .actual_access:  write_only
        .address_space:  global
        .offset:         64
        .size:           8
        .value_kind:     global_buffer
      - .actual_access:  read_only
        .address_space:  global
        .offset:         72
        .size:           8
        .value_kind:     global_buffer
      - .actual_access:  write_only
        .address_space:  global
        .offset:         80
        .size:           8
        .value_kind:     global_buffer
    .group_segment_fixed_size: 8200
    .kernarg_segment_align: 8
    .kernarg_segment_size: 88
    .language:       OpenCL C
    .language_version:
      - 2
      - 0
    .max_flat_workgroup_size: 256
    .name:           _ZN9rocsparseL44csr2gebsr_wavefront_per_row_multipass_kernelILi256ELi8ELi32ELi32EfEEv20rocsparse_direction_iiiiii21rocsparse_index_base_PKT3_PKiS7_S2_PS3_PiS9_
    .private_segment_fixed_size: 0
    .sgpr_count:     49
    .sgpr_spill_count: 0
    .symbol:         _ZN9rocsparseL44csr2gebsr_wavefront_per_row_multipass_kernelILi256ELi8ELi32ELi32EfEEv20rocsparse_direction_iiiiii21rocsparse_index_base_PKT3_PKiS7_S2_PS3_PiS9_.kd
    .uniform_work_group_size: 1
    .uses_dynamic_stack: false
    .vgpr_count:     54
    .vgpr_spill_count: 0
    .wavefront_size: 64
  - .agpr_count:     0
    .args:
      - .offset:         0
        .size:           4
        .value_kind:     by_value
      - .offset:         4
        .size:           4
        .value_kind:     by_value
      - .offset:         8
        .size:           4
        .value_kind:     by_value
      - .offset:         12
        .size:           4
        .value_kind:     by_value
      - .offset:         16
        .size:           4
        .value_kind:     by_value
      - .offset:         20
        .size:           4
        .value_kind:     by_value
      - .offset:         24
        .size:           4
        .value_kind:     by_value
      - .offset:         28
        .size:           4
        .value_kind:     by_value
      - .actual_access:  read_only
        .address_space:  global
        .offset:         32
        .size:           8
        .value_kind:     global_buffer
      - .actual_access:  read_only
        .address_space:  global
        .offset:         40
        .size:           8
        .value_kind:     global_buffer
      - .actual_access:  read_only
        .address_space:  global
        .offset:         48
        .size:           8
        .value_kind:     global_buffer
      - .offset:         56
        .size:           4
        .value_kind:     by_value
      - .actual_access:  write_only
        .address_space:  global
        .offset:         64
        .size:           8
        .value_kind:     global_buffer
      - .actual_access:  read_only
        .address_space:  global
        .offset:         72
        .size:           8
        .value_kind:     global_buffer
      - .actual_access:  write_only
        .address_space:  global
        .offset:         80
        .size:           8
        .value_kind:     global_buffer
    .group_segment_fixed_size: 8196
    .kernarg_segment_align: 8
    .kernarg_segment_size: 88
    .language:       OpenCL C
    .language_version:
      - 2
      - 0
    .max_flat_workgroup_size: 256
    .name:           _ZN9rocsparseL44csr2gebsr_wavefront_per_row_multipass_kernelILi256ELi8ELi64ELi64EfEEv20rocsparse_direction_iiiiii21rocsparse_index_base_PKT3_PKiS7_S2_PS3_PiS9_
    .private_segment_fixed_size: 0
    .sgpr_count:     49
    .sgpr_spill_count: 0
    .symbol:         _ZN9rocsparseL44csr2gebsr_wavefront_per_row_multipass_kernelILi256ELi8ELi64ELi64EfEEv20rocsparse_direction_iiiiii21rocsparse_index_base_PKT3_PKiS7_S2_PS3_PiS9_.kd
    .uniform_work_group_size: 1
    .uses_dynamic_stack: false
    .vgpr_count:     54
    .vgpr_spill_count: 0
    .wavefront_size: 64
  - .agpr_count:     0
    .args:
      - .offset:         0
        .size:           4
        .value_kind:     by_value
      - .offset:         4
        .size:           4
        .value_kind:     by_value
      - .offset:         8
        .size:           4
        .value_kind:     by_value
      - .offset:         12
        .size:           4
        .value_kind:     by_value
      - .offset:         16
        .size:           4
        .value_kind:     by_value
      - .offset:         20
        .size:           4
        .value_kind:     by_value
      - .offset:         24
        .size:           4
        .value_kind:     by_value
      - .offset:         28
        .size:           4
        .value_kind:     by_value
      - .actual_access:  read_only
        .address_space:  global
        .offset:         32
        .size:           8
        .value_kind:     global_buffer
      - .actual_access:  read_only
        .address_space:  global
        .offset:         40
        .size:           8
        .value_kind:     global_buffer
      - .actual_access:  read_only
        .address_space:  global
        .offset:         48
        .size:           8
        .value_kind:     global_buffer
      - .offset:         56
        .size:           4
        .value_kind:     by_value
      - .actual_access:  write_only
        .address_space:  global
        .offset:         64
        .size:           8
        .value_kind:     global_buffer
      - .actual_access:  read_only
        .address_space:  global
        .offset:         72
        .size:           8
        .value_kind:     global_buffer
      - .actual_access:  write_only
        .address_space:  global
        .offset:         80
        .size:           8
        .value_kind:     global_buffer
    .group_segment_fixed_size: 8196
    .kernarg_segment_align: 8
    .kernarg_segment_size: 88
    .language:       OpenCL C
    .language_version:
      - 2
      - 0
    .max_flat_workgroup_size: 128
    .name:           _ZN9rocsparseL44csr2gebsr_wavefront_per_row_multipass_kernelILi128ELi8ELi64ELi32EfEEv20rocsparse_direction_iiiiii21rocsparse_index_base_PKT3_PKiS7_S2_PS3_PiS9_
    .private_segment_fixed_size: 0
    .sgpr_count:     68
    .sgpr_spill_count: 0
    .symbol:         _ZN9rocsparseL44csr2gebsr_wavefront_per_row_multipass_kernelILi128ELi8ELi64ELi32EfEEv20rocsparse_direction_iiiiii21rocsparse_index_base_PKT3_PKiS7_S2_PS3_PiS9_.kd
    .uniform_work_group_size: 1
    .uses_dynamic_stack: false
    .vgpr_count:     78
    .vgpr_spill_count: 0
    .wavefront_size: 64
  - .agpr_count:     0
    .args:
      - .offset:         0
        .size:           4
        .value_kind:     by_value
      - .offset:         4
        .size:           4
        .value_kind:     by_value
      - .offset:         8
        .size:           4
        .value_kind:     by_value
      - .offset:         12
        .size:           4
        .value_kind:     by_value
      - .offset:         16
        .size:           4
        .value_kind:     by_value
      - .offset:         20
        .size:           4
        .value_kind:     by_value
      - .offset:         24
        .size:           4
        .value_kind:     by_value
      - .offset:         28
        .size:           4
        .value_kind:     by_value
      - .actual_access:  read_only
        .address_space:  global
        .offset:         32
        .size:           8
        .value_kind:     global_buffer
      - .actual_access:  read_only
        .address_space:  global
        .offset:         40
        .size:           8
        .value_kind:     global_buffer
      - .actual_access:  read_only
        .address_space:  global
        .offset:         48
        .size:           8
        .value_kind:     global_buffer
      - .offset:         56
        .size:           4
        .value_kind:     by_value
      - .actual_access:  write_only
        .address_space:  global
        .offset:         64
        .size:           8
        .value_kind:     global_buffer
      - .actual_access:  read_only
        .address_space:  global
        .offset:         72
        .size:           8
        .value_kind:     global_buffer
      - .actual_access:  write_only
        .address_space:  global
        .offset:         80
        .size:           8
        .value_kind:     global_buffer
    .group_segment_fixed_size: 1032
    .kernarg_segment_align: 8
    .kernarg_segment_size: 88
    .language:       OpenCL C
    .language_version:
      - 2
      - 0
    .max_flat_workgroup_size: 256
    .name:           _ZN9rocsparseL44csr2gebsr_wavefront_per_row_multipass_kernelILi256ELi16ELi2ELi32EfEEv20rocsparse_direction_iiiiii21rocsparse_index_base_PKT3_PKiS7_S2_PS3_PiS9_
    .private_segment_fixed_size: 0
    .sgpr_count:     32
    .sgpr_spill_count: 0
    .symbol:         _ZN9rocsparseL44csr2gebsr_wavefront_per_row_multipass_kernelILi256ELi16ELi2ELi32EfEEv20rocsparse_direction_iiiiii21rocsparse_index_base_PKT3_PKiS7_S2_PS3_PiS9_.kd
    .uniform_work_group_size: 1
    .uses_dynamic_stack: false
    .vgpr_count:     29
    .vgpr_spill_count: 0
    .wavefront_size: 64
  - .agpr_count:     0
    .args:
      - .offset:         0
        .size:           4
        .value_kind:     by_value
      - .offset:         4
        .size:           4
        .value_kind:     by_value
      - .offset:         8
        .size:           4
        .value_kind:     by_value
      - .offset:         12
        .size:           4
        .value_kind:     by_value
      - .offset:         16
        .size:           4
        .value_kind:     by_value
      - .offset:         20
        .size:           4
        .value_kind:     by_value
      - .offset:         24
        .size:           4
        .value_kind:     by_value
      - .offset:         28
        .size:           4
        .value_kind:     by_value
      - .actual_access:  read_only
        .address_space:  global
        .offset:         32
        .size:           8
        .value_kind:     global_buffer
      - .actual_access:  read_only
        .address_space:  global
        .offset:         40
        .size:           8
        .value_kind:     global_buffer
      - .actual_access:  read_only
        .address_space:  global
        .offset:         48
        .size:           8
        .value_kind:     global_buffer
      - .offset:         56
        .size:           4
        .value_kind:     by_value
      - .actual_access:  write_only
        .address_space:  global
        .offset:         64
        .size:           8
        .value_kind:     global_buffer
      - .actual_access:  read_only
        .address_space:  global
        .offset:         72
        .size:           8
        .value_kind:     global_buffer
      - .actual_access:  write_only
        .address_space:  global
        .offset:         80
        .size:           8
        .value_kind:     global_buffer
    .group_segment_fixed_size: 1028
    .kernarg_segment_align: 8
    .kernarg_segment_size: 88
    .language:       OpenCL C
    .language_version:
      - 2
      - 0
    .max_flat_workgroup_size: 256
    .name:           _ZN9rocsparseL44csr2gebsr_wavefront_per_row_multipass_kernelILi256ELi16ELi4ELi64EfEEv20rocsparse_direction_iiiiii21rocsparse_index_base_PKT3_PKiS7_S2_PS3_PiS9_
    .private_segment_fixed_size: 0
    .sgpr_count:     32
    .sgpr_spill_count: 0
    .symbol:         _ZN9rocsparseL44csr2gebsr_wavefront_per_row_multipass_kernelILi256ELi16ELi4ELi64EfEEv20rocsparse_direction_iiiiii21rocsparse_index_base_PKT3_PKiS7_S2_PS3_PiS9_.kd
    .uniform_work_group_size: 1
    .uses_dynamic_stack: false
    .vgpr_count:     29
    .vgpr_spill_count: 0
    .wavefront_size: 64
  - .agpr_count:     0
    .args:
      - .offset:         0
        .size:           4
        .value_kind:     by_value
      - .offset:         4
        .size:           4
        .value_kind:     by_value
      - .offset:         8
        .size:           4
        .value_kind:     by_value
      - .offset:         12
        .size:           4
        .value_kind:     by_value
      - .offset:         16
        .size:           4
        .value_kind:     by_value
      - .offset:         20
        .size:           4
        .value_kind:     by_value
      - .offset:         24
        .size:           4
        .value_kind:     by_value
      - .offset:         28
        .size:           4
        .value_kind:     by_value
      - .actual_access:  read_only
        .address_space:  global
        .offset:         32
        .size:           8
        .value_kind:     global_buffer
      - .actual_access:  read_only
        .address_space:  global
        .offset:         40
        .size:           8
        .value_kind:     global_buffer
      - .actual_access:  read_only
        .address_space:  global
        .offset:         48
        .size:           8
        .value_kind:     global_buffer
      - .offset:         56
        .size:           4
        .value_kind:     by_value
      - .actual_access:  write_only
        .address_space:  global
        .offset:         64
        .size:           8
        .value_kind:     global_buffer
      - .actual_access:  read_only
        .address_space:  global
        .offset:         72
        .size:           8
        .value_kind:     global_buffer
      - .actual_access:  write_only
        .address_space:  global
        .offset:         80
        .size:           8
        .value_kind:     global_buffer
    .group_segment_fixed_size: 2056
    .kernarg_segment_align: 8
    .kernarg_segment_size: 88
    .language:       OpenCL C
    .language_version:
      - 2
      - 0
    .max_flat_workgroup_size: 256
    .name:           _ZN9rocsparseL44csr2gebsr_wavefront_per_row_multipass_kernelILi256ELi16ELi4ELi32EfEEv20rocsparse_direction_iiiiii21rocsparse_index_base_PKT3_PKiS7_S2_PS3_PiS9_
    .private_segment_fixed_size: 0
    .sgpr_count:     38
    .sgpr_spill_count: 0
    .symbol:         _ZN9rocsparseL44csr2gebsr_wavefront_per_row_multipass_kernelILi256ELi16ELi4ELi32EfEEv20rocsparse_direction_iiiiii21rocsparse_index_base_PKT3_PKiS7_S2_PS3_PiS9_.kd
    .uniform_work_group_size: 1
    .uses_dynamic_stack: false
    .vgpr_count:     36
    .vgpr_spill_count: 0
    .wavefront_size: 64
  - .agpr_count:     0
    .args:
      - .offset:         0
        .size:           4
        .value_kind:     by_value
      - .offset:         4
        .size:           4
        .value_kind:     by_value
      - .offset:         8
        .size:           4
        .value_kind:     by_value
      - .offset:         12
        .size:           4
        .value_kind:     by_value
      - .offset:         16
        .size:           4
        .value_kind:     by_value
      - .offset:         20
        .size:           4
        .value_kind:     by_value
      - .offset:         24
        .size:           4
        .value_kind:     by_value
      - .offset:         28
        .size:           4
        .value_kind:     by_value
      - .actual_access:  read_only
        .address_space:  global
        .offset:         32
        .size:           8
        .value_kind:     global_buffer
      - .actual_access:  read_only
        .address_space:  global
        .offset:         40
        .size:           8
        .value_kind:     global_buffer
      - .actual_access:  read_only
        .address_space:  global
        .offset:         48
        .size:           8
        .value_kind:     global_buffer
      - .offset:         56
        .size:           4
        .value_kind:     by_value
      - .actual_access:  write_only
        .address_space:  global
        .offset:         64
        .size:           8
        .value_kind:     global_buffer
      - .actual_access:  read_only
        .address_space:  global
        .offset:         72
        .size:           8
        .value_kind:     global_buffer
      - .actual_access:  write_only
        .address_space:  global
        .offset:         80
        .size:           8
        .value_kind:     global_buffer
    .group_segment_fixed_size: 2052
    .kernarg_segment_align: 8
    .kernarg_segment_size: 88
    .language:       OpenCL C
    .language_version:
      - 2
      - 0
    .max_flat_workgroup_size: 256
    .name:           _ZN9rocsparseL44csr2gebsr_wavefront_per_row_multipass_kernelILi256ELi16ELi8ELi64EfEEv20rocsparse_direction_iiiiii21rocsparse_index_base_PKT3_PKiS7_S2_PS3_PiS9_
    .private_segment_fixed_size: 0
    .sgpr_count:     38
    .sgpr_spill_count: 0
    .symbol:         _ZN9rocsparseL44csr2gebsr_wavefront_per_row_multipass_kernelILi256ELi16ELi8ELi64EfEEv20rocsparse_direction_iiiiii21rocsparse_index_base_PKT3_PKiS7_S2_PS3_PiS9_.kd
    .uniform_work_group_size: 1
    .uses_dynamic_stack: false
    .vgpr_count:     36
    .vgpr_spill_count: 0
    .wavefront_size: 64
  - .agpr_count:     0
    .args:
      - .offset:         0
        .size:           4
        .value_kind:     by_value
      - .offset:         4
        .size:           4
        .value_kind:     by_value
      - .offset:         8
        .size:           4
        .value_kind:     by_value
      - .offset:         12
        .size:           4
        .value_kind:     by_value
      - .offset:         16
        .size:           4
        .value_kind:     by_value
      - .offset:         20
        .size:           4
        .value_kind:     by_value
      - .offset:         24
        .size:           4
        .value_kind:     by_value
      - .offset:         28
        .size:           4
        .value_kind:     by_value
      - .actual_access:  read_only
        .address_space:  global
        .offset:         32
        .size:           8
        .value_kind:     global_buffer
      - .actual_access:  read_only
        .address_space:  global
        .offset:         40
        .size:           8
        .value_kind:     global_buffer
      - .actual_access:  read_only
        .address_space:  global
        .offset:         48
        .size:           8
        .value_kind:     global_buffer
      - .offset:         56
        .size:           4
        .value_kind:     by_value
      - .actual_access:  write_only
        .address_space:  global
        .offset:         64
        .size:           8
        .value_kind:     global_buffer
      - .actual_access:  read_only
        .address_space:  global
        .offset:         72
        .size:           8
        .value_kind:     global_buffer
      - .actual_access:  write_only
        .address_space:  global
        .offset:         80
        .size:           8
        .value_kind:     global_buffer
    .group_segment_fixed_size: 4104
    .kernarg_segment_align: 8
    .kernarg_segment_size: 88
    .language:       OpenCL C
    .language_version:
      - 2
      - 0
    .max_flat_workgroup_size: 256
    .name:           _ZN9rocsparseL44csr2gebsr_wavefront_per_row_multipass_kernelILi256ELi16ELi8ELi32EfEEv20rocsparse_direction_iiiiii21rocsparse_index_base_PKT3_PKiS7_S2_PS3_PiS9_
    .private_segment_fixed_size: 0
    .sgpr_count:     41
    .sgpr_spill_count: 0
    .symbol:         _ZN9rocsparseL44csr2gebsr_wavefront_per_row_multipass_kernelILi256ELi16ELi8ELi32EfEEv20rocsparse_direction_iiiiii21rocsparse_index_base_PKT3_PKiS7_S2_PS3_PiS9_.kd
    .uniform_work_group_size: 1
    .uses_dynamic_stack: false
    .vgpr_count:     42
    .vgpr_spill_count: 0
    .wavefront_size: 64
  - .agpr_count:     0
    .args:
      - .offset:         0
        .size:           4
        .value_kind:     by_value
      - .offset:         4
        .size:           4
        .value_kind:     by_value
      - .offset:         8
        .size:           4
        .value_kind:     by_value
      - .offset:         12
        .size:           4
        .value_kind:     by_value
      - .offset:         16
        .size:           4
        .value_kind:     by_value
      - .offset:         20
        .size:           4
        .value_kind:     by_value
      - .offset:         24
        .size:           4
        .value_kind:     by_value
      - .offset:         28
        .size:           4
        .value_kind:     by_value
      - .actual_access:  read_only
        .address_space:  global
        .offset:         32
        .size:           8
        .value_kind:     global_buffer
      - .actual_access:  read_only
        .address_space:  global
        .offset:         40
        .size:           8
        .value_kind:     global_buffer
      - .actual_access:  read_only
        .address_space:  global
        .offset:         48
        .size:           8
        .value_kind:     global_buffer
      - .offset:         56
        .size:           4
        .value_kind:     by_value
      - .actual_access:  write_only
        .address_space:  global
        .offset:         64
        .size:           8
        .value_kind:     global_buffer
      - .actual_access:  read_only
        .address_space:  global
        .offset:         72
        .size:           8
        .value_kind:     global_buffer
      - .actual_access:  write_only
        .address_space:  global
        .offset:         80
        .size:           8
        .value_kind:     global_buffer
    .group_segment_fixed_size: 4100
    .kernarg_segment_align: 8
    .kernarg_segment_size: 88
    .language:       OpenCL C
    .language_version:
      - 2
      - 0
    .max_flat_workgroup_size: 256
    .name:           _ZN9rocsparseL44csr2gebsr_wavefront_per_row_multipass_kernelILi256ELi16ELi16ELi64EfEEv20rocsparse_direction_iiiiii21rocsparse_index_base_PKT3_PKiS7_S2_PS3_PiS9_
    .private_segment_fixed_size: 0
    .sgpr_count:     41
    .sgpr_spill_count: 0
    .symbol:         _ZN9rocsparseL44csr2gebsr_wavefront_per_row_multipass_kernelILi256ELi16ELi16ELi64EfEEv20rocsparse_direction_iiiiii21rocsparse_index_base_PKT3_PKiS7_S2_PS3_PiS9_.kd
    .uniform_work_group_size: 1
    .uses_dynamic_stack: false
    .vgpr_count:     42
    .vgpr_spill_count: 0
    .wavefront_size: 64
  - .agpr_count:     0
    .args:
      - .offset:         0
        .size:           4
        .value_kind:     by_value
      - .offset:         4
        .size:           4
        .value_kind:     by_value
      - .offset:         8
        .size:           4
        .value_kind:     by_value
      - .offset:         12
        .size:           4
        .value_kind:     by_value
      - .offset:         16
        .size:           4
        .value_kind:     by_value
      - .offset:         20
        .size:           4
        .value_kind:     by_value
      - .offset:         24
        .size:           4
        .value_kind:     by_value
      - .offset:         28
        .size:           4
        .value_kind:     by_value
      - .actual_access:  read_only
        .address_space:  global
        .offset:         32
        .size:           8
        .value_kind:     global_buffer
      - .actual_access:  read_only
        .address_space:  global
        .offset:         40
        .size:           8
        .value_kind:     global_buffer
      - .actual_access:  read_only
        .address_space:  global
        .offset:         48
        .size:           8
        .value_kind:     global_buffer
      - .offset:         56
        .size:           4
        .value_kind:     by_value
      - .actual_access:  write_only
        .address_space:  global
        .offset:         64
        .size:           8
        .value_kind:     global_buffer
      - .actual_access:  read_only
        .address_space:  global
        .offset:         72
        .size:           8
        .value_kind:     global_buffer
      - .actual_access:  write_only
        .address_space:  global
        .offset:         80
        .size:           8
        .value_kind:     global_buffer
    .group_segment_fixed_size: 8200
    .kernarg_segment_align: 8
    .kernarg_segment_size: 88
    .language:       OpenCL C
    .language_version:
      - 2
      - 0
    .max_flat_workgroup_size: 256
    .name:           _ZN9rocsparseL44csr2gebsr_wavefront_per_row_multipass_kernelILi256ELi16ELi16ELi32EfEEv20rocsparse_direction_iiiiii21rocsparse_index_base_PKT3_PKiS7_S2_PS3_PiS9_
    .private_segment_fixed_size: 0
    .sgpr_count:     49
    .sgpr_spill_count: 0
    .symbol:         _ZN9rocsparseL44csr2gebsr_wavefront_per_row_multipass_kernelILi256ELi16ELi16ELi32EfEEv20rocsparse_direction_iiiiii21rocsparse_index_base_PKT3_PKiS7_S2_PS3_PiS9_.kd
    .uniform_work_group_size: 1
    .uses_dynamic_stack: false
    .vgpr_count:     54
    .vgpr_spill_count: 0
    .wavefront_size: 64
  - .agpr_count:     0
    .args:
      - .offset:         0
        .size:           4
        .value_kind:     by_value
      - .offset:         4
        .size:           4
        .value_kind:     by_value
      - .offset:         8
        .size:           4
        .value_kind:     by_value
      - .offset:         12
        .size:           4
        .value_kind:     by_value
      - .offset:         16
        .size:           4
        .value_kind:     by_value
      - .offset:         20
        .size:           4
        .value_kind:     by_value
      - .offset:         24
        .size:           4
        .value_kind:     by_value
      - .offset:         28
        .size:           4
        .value_kind:     by_value
      - .actual_access:  read_only
        .address_space:  global
        .offset:         32
        .size:           8
        .value_kind:     global_buffer
      - .actual_access:  read_only
        .address_space:  global
        .offset:         40
        .size:           8
        .value_kind:     global_buffer
      - .actual_access:  read_only
        .address_space:  global
        .offset:         48
        .size:           8
        .value_kind:     global_buffer
      - .offset:         56
        .size:           4
        .value_kind:     by_value
      - .actual_access:  write_only
        .address_space:  global
        .offset:         64
        .size:           8
        .value_kind:     global_buffer
      - .actual_access:  read_only
        .address_space:  global
        .offset:         72
        .size:           8
        .value_kind:     global_buffer
      - .actual_access:  write_only
        .address_space:  global
        .offset:         80
        .size:           8
        .value_kind:     global_buffer
    .group_segment_fixed_size: 2052
    .kernarg_segment_align: 8
    .kernarg_segment_size: 88
    .language:       OpenCL C
    .language_version:
      - 2
      - 0
    .max_flat_workgroup_size: 128
    .name:           _ZN9rocsparseL40csr2gebsr_block_per_row_multipass_kernelILj128ELj16ELj32EfEEv20rocsparse_direction_iiiiii21rocsparse_index_base_PKT2_PKiS7_S2_PS3_PiS9_
    .private_segment_fixed_size: 0
    .sgpr_count:     58
    .sgpr_spill_count: 0
    .symbol:         _ZN9rocsparseL40csr2gebsr_block_per_row_multipass_kernelILj128ELj16ELj32EfEEv20rocsparse_direction_iiiiii21rocsparse_index_base_PKT2_PKiS7_S2_PS3_PiS9_.kd
    .uniform_work_group_size: 1
    .uses_dynamic_stack: false
    .vgpr_count:     33
    .vgpr_spill_count: 0
    .wavefront_size: 64
  - .agpr_count:     0
    .args:
      - .offset:         0
        .size:           4
        .value_kind:     by_value
      - .offset:         4
        .size:           4
        .value_kind:     by_value
      - .offset:         8
        .size:           4
        .value_kind:     by_value
      - .offset:         12
        .size:           4
        .value_kind:     by_value
      - .offset:         16
        .size:           4
        .value_kind:     by_value
      - .offset:         20
        .size:           4
        .value_kind:     by_value
      - .offset:         24
        .size:           4
        .value_kind:     by_value
      - .offset:         28
        .size:           4
        .value_kind:     by_value
      - .actual_access:  read_only
        .address_space:  global
        .offset:         32
        .size:           8
        .value_kind:     global_buffer
      - .actual_access:  read_only
        .address_space:  global
        .offset:         40
        .size:           8
        .value_kind:     global_buffer
      - .actual_access:  read_only
        .address_space:  global
        .offset:         48
        .size:           8
        .value_kind:     global_buffer
      - .offset:         56
        .size:           4
        .value_kind:     by_value
      - .actual_access:  write_only
        .address_space:  global
        .offset:         64
        .size:           8
        .value_kind:     global_buffer
      - .actual_access:  read_only
        .address_space:  global
        .offset:         72
        .size:           8
        .value_kind:     global_buffer
      - .actual_access:  write_only
        .address_space:  global
        .offset:         80
        .size:           8
        .value_kind:     global_buffer
    .group_segment_fixed_size: 4100
    .kernarg_segment_align: 8
    .kernarg_segment_size: 88
    .language:       OpenCL C
    .language_version:
      - 2
      - 0
    .max_flat_workgroup_size: 128
    .name:           _ZN9rocsparseL40csr2gebsr_block_per_row_multipass_kernelILj128ELj16ELj64EfEEv20rocsparse_direction_iiiiii21rocsparse_index_base_PKT2_PKiS7_S2_PS3_PiS9_
    .private_segment_fixed_size: 0
    .sgpr_count:     74
    .sgpr_spill_count: 0
    .symbol:         _ZN9rocsparseL40csr2gebsr_block_per_row_multipass_kernelILj128ELj16ELj64EfEEv20rocsparse_direction_iiiiii21rocsparse_index_base_PKT2_PKiS7_S2_PS3_PiS9_.kd
    .uniform_work_group_size: 1
    .uses_dynamic_stack: false
    .vgpr_count:     41
    .vgpr_spill_count: 0
    .wavefront_size: 64
  - .agpr_count:     0
    .args:
      - .offset:         0
        .size:           4
        .value_kind:     by_value
      - .offset:         4
        .size:           4
        .value_kind:     by_value
      - .offset:         8
        .size:           4
        .value_kind:     by_value
      - .offset:         12
        .size:           4
        .value_kind:     by_value
      - .offset:         16
        .size:           4
        .value_kind:     by_value
      - .offset:         20
        .size:           4
        .value_kind:     by_value
      - .offset:         24
        .size:           4
        .value_kind:     by_value
      - .offset:         28
        .size:           4
        .value_kind:     by_value
      - .actual_access:  read_only
        .address_space:  global
        .offset:         32
        .size:           8
        .value_kind:     global_buffer
      - .actual_access:  read_only
        .address_space:  global
        .offset:         40
        .size:           8
        .value_kind:     global_buffer
      - .actual_access:  read_only
        .address_space:  global
        .offset:         48
        .size:           8
        .value_kind:     global_buffer
      - .offset:         56
        .size:           4
        .value_kind:     by_value
      - .actual_access:  write_only
        .address_space:  global
        .offset:         64
        .size:           8
        .value_kind:     global_buffer
      - .actual_access:  read_only
        .address_space:  global
        .offset:         72
        .size:           8
        .value_kind:     global_buffer
      - .actual_access:  write_only
        .address_space:  global
        .offset:         80
        .size:           8
        .value_kind:     global_buffer
    .group_segment_fixed_size: 1028
    .kernarg_segment_align: 8
    .kernarg_segment_size: 88
    .language:       OpenCL C
    .language_version:
      - 2
      - 0
    .max_flat_workgroup_size: 256
    .name:           _ZN9rocsparseL44csr2gebsr_wavefront_per_row_multipass_kernelILi256ELi32ELi2ELi64EfEEv20rocsparse_direction_iiiiii21rocsparse_index_base_PKT3_PKiS7_S2_PS3_PiS9_
    .private_segment_fixed_size: 0
    .sgpr_count:     32
    .sgpr_spill_count: 0
    .symbol:         _ZN9rocsparseL44csr2gebsr_wavefront_per_row_multipass_kernelILi256ELi32ELi2ELi64EfEEv20rocsparse_direction_iiiiii21rocsparse_index_base_PKT3_PKiS7_S2_PS3_PiS9_.kd
    .uniform_work_group_size: 1
    .uses_dynamic_stack: false
    .vgpr_count:     29
    .vgpr_spill_count: 0
    .wavefront_size: 64
  - .agpr_count:     0
    .args:
      - .offset:         0
        .size:           4
        .value_kind:     by_value
      - .offset:         4
        .size:           4
        .value_kind:     by_value
      - .offset:         8
        .size:           4
        .value_kind:     by_value
      - .offset:         12
        .size:           4
        .value_kind:     by_value
      - .offset:         16
        .size:           4
        .value_kind:     by_value
      - .offset:         20
        .size:           4
        .value_kind:     by_value
      - .offset:         24
        .size:           4
        .value_kind:     by_value
      - .offset:         28
        .size:           4
        .value_kind:     by_value
      - .actual_access:  read_only
        .address_space:  global
        .offset:         32
        .size:           8
        .value_kind:     global_buffer
      - .actual_access:  read_only
        .address_space:  global
        .offset:         40
        .size:           8
        .value_kind:     global_buffer
      - .actual_access:  read_only
        .address_space:  global
        .offset:         48
        .size:           8
        .value_kind:     global_buffer
      - .offset:         56
        .size:           4
        .value_kind:     by_value
      - .actual_access:  write_only
        .address_space:  global
        .offset:         64
        .size:           8
        .value_kind:     global_buffer
      - .actual_access:  read_only
        .address_space:  global
        .offset:         72
        .size:           8
        .value_kind:     global_buffer
      - .actual_access:  write_only
        .address_space:  global
        .offset:         80
        .size:           8
        .value_kind:     global_buffer
    .group_segment_fixed_size: 2056
    .kernarg_segment_align: 8
    .kernarg_segment_size: 88
    .language:       OpenCL C
    .language_version:
      - 2
      - 0
    .max_flat_workgroup_size: 256
    .name:           _ZN9rocsparseL44csr2gebsr_wavefront_per_row_multipass_kernelILi256ELi32ELi2ELi32EfEEv20rocsparse_direction_iiiiii21rocsparse_index_base_PKT3_PKiS7_S2_PS3_PiS9_
    .private_segment_fixed_size: 0
    .sgpr_count:     38
    .sgpr_spill_count: 0
    .symbol:         _ZN9rocsparseL44csr2gebsr_wavefront_per_row_multipass_kernelILi256ELi32ELi2ELi32EfEEv20rocsparse_direction_iiiiii21rocsparse_index_base_PKT3_PKiS7_S2_PS3_PiS9_.kd
    .uniform_work_group_size: 1
    .uses_dynamic_stack: false
    .vgpr_count:     29
    .vgpr_spill_count: 0
    .wavefront_size: 64
  - .agpr_count:     0
    .args:
      - .offset:         0
        .size:           4
        .value_kind:     by_value
      - .offset:         4
        .size:           4
        .value_kind:     by_value
      - .offset:         8
        .size:           4
        .value_kind:     by_value
      - .offset:         12
        .size:           4
        .value_kind:     by_value
      - .offset:         16
        .size:           4
        .value_kind:     by_value
      - .offset:         20
        .size:           4
        .value_kind:     by_value
      - .offset:         24
        .size:           4
        .value_kind:     by_value
      - .offset:         28
        .size:           4
        .value_kind:     by_value
      - .actual_access:  read_only
        .address_space:  global
        .offset:         32
        .size:           8
        .value_kind:     global_buffer
      - .actual_access:  read_only
        .address_space:  global
        .offset:         40
        .size:           8
        .value_kind:     global_buffer
      - .actual_access:  read_only
        .address_space:  global
        .offset:         48
        .size:           8
        .value_kind:     global_buffer
      - .offset:         56
        .size:           4
        .value_kind:     by_value
      - .actual_access:  write_only
        .address_space:  global
        .offset:         64
        .size:           8
        .value_kind:     global_buffer
      - .actual_access:  read_only
        .address_space:  global
        .offset:         72
        .size:           8
        .value_kind:     global_buffer
      - .actual_access:  write_only
        .address_space:  global
        .offset:         80
        .size:           8
        .value_kind:     global_buffer
    .group_segment_fixed_size: 2052
    .kernarg_segment_align: 8
    .kernarg_segment_size: 88
    .language:       OpenCL C
    .language_version:
      - 2
      - 0
    .max_flat_workgroup_size: 256
    .name:           _ZN9rocsparseL44csr2gebsr_wavefront_per_row_multipass_kernelILi256ELi32ELi4ELi64EfEEv20rocsparse_direction_iiiiii21rocsparse_index_base_PKT3_PKiS7_S2_PS3_PiS9_
    .private_segment_fixed_size: 0
    .sgpr_count:     38
    .sgpr_spill_count: 0
    .symbol:         _ZN9rocsparseL44csr2gebsr_wavefront_per_row_multipass_kernelILi256ELi32ELi4ELi64EfEEv20rocsparse_direction_iiiiii21rocsparse_index_base_PKT3_PKiS7_S2_PS3_PiS9_.kd
    .uniform_work_group_size: 1
    .uses_dynamic_stack: false
    .vgpr_count:     36
    .vgpr_spill_count: 0
    .wavefront_size: 64
  - .agpr_count:     0
    .args:
      - .offset:         0
        .size:           4
        .value_kind:     by_value
      - .offset:         4
        .size:           4
        .value_kind:     by_value
      - .offset:         8
        .size:           4
        .value_kind:     by_value
      - .offset:         12
        .size:           4
        .value_kind:     by_value
      - .offset:         16
        .size:           4
        .value_kind:     by_value
      - .offset:         20
        .size:           4
        .value_kind:     by_value
      - .offset:         24
        .size:           4
        .value_kind:     by_value
      - .offset:         28
        .size:           4
        .value_kind:     by_value
      - .actual_access:  read_only
        .address_space:  global
        .offset:         32
        .size:           8
        .value_kind:     global_buffer
      - .actual_access:  read_only
        .address_space:  global
        .offset:         40
        .size:           8
        .value_kind:     global_buffer
      - .actual_access:  read_only
        .address_space:  global
        .offset:         48
        .size:           8
        .value_kind:     global_buffer
      - .offset:         56
        .size:           4
        .value_kind:     by_value
      - .actual_access:  write_only
        .address_space:  global
        .offset:         64
        .size:           8
        .value_kind:     global_buffer
      - .actual_access:  read_only
        .address_space:  global
        .offset:         72
        .size:           8
        .value_kind:     global_buffer
      - .actual_access:  write_only
        .address_space:  global
        .offset:         80
        .size:           8
        .value_kind:     global_buffer
    .group_segment_fixed_size: 4104
    .kernarg_segment_align: 8
    .kernarg_segment_size: 88
    .language:       OpenCL C
    .language_version:
      - 2
      - 0
    .max_flat_workgroup_size: 256
    .name:           _ZN9rocsparseL44csr2gebsr_wavefront_per_row_multipass_kernelILi256ELi32ELi4ELi32EfEEv20rocsparse_direction_iiiiii21rocsparse_index_base_PKT3_PKiS7_S2_PS3_PiS9_
    .private_segment_fixed_size: 0
    .sgpr_count:     48
    .sgpr_spill_count: 0
    .symbol:         _ZN9rocsparseL44csr2gebsr_wavefront_per_row_multipass_kernelILi256ELi32ELi4ELi32EfEEv20rocsparse_direction_iiiiii21rocsparse_index_base_PKT3_PKiS7_S2_PS3_PiS9_.kd
    .uniform_work_group_size: 1
    .uses_dynamic_stack: false
    .vgpr_count:     31
    .vgpr_spill_count: 0
    .wavefront_size: 64
  - .agpr_count:     0
    .args:
      - .offset:         0
        .size:           4
        .value_kind:     by_value
      - .offset:         4
        .size:           4
        .value_kind:     by_value
      - .offset:         8
        .size:           4
        .value_kind:     by_value
      - .offset:         12
        .size:           4
        .value_kind:     by_value
      - .offset:         16
        .size:           4
        .value_kind:     by_value
      - .offset:         20
        .size:           4
        .value_kind:     by_value
      - .offset:         24
        .size:           4
        .value_kind:     by_value
      - .offset:         28
        .size:           4
        .value_kind:     by_value
      - .actual_access:  read_only
        .address_space:  global
        .offset:         32
        .size:           8
        .value_kind:     global_buffer
      - .actual_access:  read_only
        .address_space:  global
        .offset:         40
        .size:           8
        .value_kind:     global_buffer
      - .actual_access:  read_only
        .address_space:  global
        .offset:         48
        .size:           8
        .value_kind:     global_buffer
      - .offset:         56
        .size:           4
        .value_kind:     by_value
      - .actual_access:  write_only
        .address_space:  global
        .offset:         64
        .size:           8
        .value_kind:     global_buffer
      - .actual_access:  read_only
        .address_space:  global
        .offset:         72
        .size:           8
        .value_kind:     global_buffer
      - .actual_access:  write_only
        .address_space:  global
        .offset:         80
        .size:           8
        .value_kind:     global_buffer
    .group_segment_fixed_size: 4100
    .kernarg_segment_align: 8
    .kernarg_segment_size: 88
    .language:       OpenCL C
    .language_version:
      - 2
      - 0
    .max_flat_workgroup_size: 256
    .name:           _ZN9rocsparseL44csr2gebsr_wavefront_per_row_multipass_kernelILi256ELi32ELi8ELi64EfEEv20rocsparse_direction_iiiiii21rocsparse_index_base_PKT3_PKiS7_S2_PS3_PiS9_
    .private_segment_fixed_size: 0
    .sgpr_count:     41
    .sgpr_spill_count: 0
    .symbol:         _ZN9rocsparseL44csr2gebsr_wavefront_per_row_multipass_kernelILi256ELi32ELi8ELi64EfEEv20rocsparse_direction_iiiiii21rocsparse_index_base_PKT3_PKiS7_S2_PS3_PiS9_.kd
    .uniform_work_group_size: 1
    .uses_dynamic_stack: false
    .vgpr_count:     42
    .vgpr_spill_count: 0
    .wavefront_size: 64
  - .agpr_count:     0
    .args:
      - .offset:         0
        .size:           4
        .value_kind:     by_value
      - .offset:         4
        .size:           4
        .value_kind:     by_value
      - .offset:         8
        .size:           4
        .value_kind:     by_value
      - .offset:         12
        .size:           4
        .value_kind:     by_value
      - .offset:         16
        .size:           4
        .value_kind:     by_value
      - .offset:         20
        .size:           4
        .value_kind:     by_value
      - .offset:         24
        .size:           4
        .value_kind:     by_value
      - .offset:         28
        .size:           4
        .value_kind:     by_value
      - .actual_access:  read_only
        .address_space:  global
        .offset:         32
        .size:           8
        .value_kind:     global_buffer
      - .actual_access:  read_only
        .address_space:  global
        .offset:         40
        .size:           8
        .value_kind:     global_buffer
      - .actual_access:  read_only
        .address_space:  global
        .offset:         48
        .size:           8
        .value_kind:     global_buffer
      - .offset:         56
        .size:           4
        .value_kind:     by_value
      - .actual_access:  write_only
        .address_space:  global
        .offset:         64
        .size:           8
        .value_kind:     global_buffer
      - .actual_access:  read_only
        .address_space:  global
        .offset:         72
        .size:           8
        .value_kind:     global_buffer
      - .actual_access:  write_only
        .address_space:  global
        .offset:         80
        .size:           8
        .value_kind:     global_buffer
    .group_segment_fixed_size: 8200
    .kernarg_segment_align: 8
    .kernarg_segment_size: 88
    .language:       OpenCL C
    .language_version:
      - 2
      - 0
    .max_flat_workgroup_size: 256
    .name:           _ZN9rocsparseL44csr2gebsr_wavefront_per_row_multipass_kernelILi256ELi32ELi8ELi32EfEEv20rocsparse_direction_iiiiii21rocsparse_index_base_PKT3_PKiS7_S2_PS3_PiS9_
    .private_segment_fixed_size: 0
    .sgpr_count:     64
    .sgpr_spill_count: 0
    .symbol:         _ZN9rocsparseL44csr2gebsr_wavefront_per_row_multipass_kernelILi256ELi32ELi8ELi32EfEEv20rocsparse_direction_iiiiii21rocsparse_index_base_PKT3_PKiS7_S2_PS3_PiS9_.kd
    .uniform_work_group_size: 1
    .uses_dynamic_stack: false
    .vgpr_count:     32
    .vgpr_spill_count: 0
    .wavefront_size: 64
  - .agpr_count:     0
    .args:
      - .offset:         0
        .size:           4
        .value_kind:     by_value
      - .offset:         4
        .size:           4
        .value_kind:     by_value
      - .offset:         8
        .size:           4
        .value_kind:     by_value
      - .offset:         12
        .size:           4
        .value_kind:     by_value
      - .offset:         16
        .size:           4
        .value_kind:     by_value
      - .offset:         20
        .size:           4
        .value_kind:     by_value
      - .offset:         24
        .size:           4
        .value_kind:     by_value
      - .offset:         28
        .size:           4
        .value_kind:     by_value
      - .actual_access:  read_only
        .address_space:  global
        .offset:         32
        .size:           8
        .value_kind:     global_buffer
      - .actual_access:  read_only
        .address_space:  global
        .offset:         40
        .size:           8
        .value_kind:     global_buffer
      - .actual_access:  read_only
        .address_space:  global
        .offset:         48
        .size:           8
        .value_kind:     global_buffer
      - .offset:         56
        .size:           4
        .value_kind:     by_value
      - .actual_access:  write_only
        .address_space:  global
        .offset:         64
        .size:           8
        .value_kind:     global_buffer
      - .actual_access:  read_only
        .address_space:  global
        .offset:         72
        .size:           8
        .value_kind:     global_buffer
      - .actual_access:  write_only
        .address_space:  global
        .offset:         80
        .size:           8
        .value_kind:     global_buffer
    .group_segment_fixed_size: 2052
    .kernarg_segment_align: 8
    .kernarg_segment_size: 88
    .language:       OpenCL C
    .language_version:
      - 2
      - 0
    .max_flat_workgroup_size: 256
    .name:           _ZN9rocsparseL40csr2gebsr_block_per_row_multipass_kernelILj256ELj32ELj16EfEEv20rocsparse_direction_iiiiii21rocsparse_index_base_PKT2_PKiS7_S2_PS3_PiS9_
    .private_segment_fixed_size: 0
    .sgpr_count:     54
    .sgpr_spill_count: 0
    .symbol:         _ZN9rocsparseL40csr2gebsr_block_per_row_multipass_kernelILj256ELj32ELj16EfEEv20rocsparse_direction_iiiiii21rocsparse_index_base_PKT2_PKiS7_S2_PS3_PiS9_.kd
    .uniform_work_group_size: 1
    .uses_dynamic_stack: false
    .vgpr_count:     29
    .vgpr_spill_count: 0
    .wavefront_size: 64
  - .agpr_count:     0
    .args:
      - .offset:         0
        .size:           4
        .value_kind:     by_value
      - .offset:         4
        .size:           4
        .value_kind:     by_value
      - .offset:         8
        .size:           4
        .value_kind:     by_value
      - .offset:         12
        .size:           4
        .value_kind:     by_value
      - .offset:         16
        .size:           4
        .value_kind:     by_value
      - .offset:         20
        .size:           4
        .value_kind:     by_value
      - .offset:         24
        .size:           4
        .value_kind:     by_value
      - .offset:         28
        .size:           4
        .value_kind:     by_value
      - .actual_access:  read_only
        .address_space:  global
        .offset:         32
        .size:           8
        .value_kind:     global_buffer
      - .actual_access:  read_only
        .address_space:  global
        .offset:         40
        .size:           8
        .value_kind:     global_buffer
      - .actual_access:  read_only
        .address_space:  global
        .offset:         48
        .size:           8
        .value_kind:     global_buffer
      - .offset:         56
        .size:           4
        .value_kind:     by_value
      - .actual_access:  write_only
        .address_space:  global
        .offset:         64
        .size:           8
        .value_kind:     global_buffer
      - .actual_access:  read_only
        .address_space:  global
        .offset:         72
        .size:           8
        .value_kind:     global_buffer
      - .actual_access:  write_only
        .address_space:  global
        .offset:         80
        .size:           8
        .value_kind:     global_buffer
    .group_segment_fixed_size: 4100
    .kernarg_segment_align: 8
    .kernarg_segment_size: 88
    .language:       OpenCL C
    .language_version:
      - 2
      - 0
    .max_flat_workgroup_size: 256
    .name:           _ZN9rocsparseL40csr2gebsr_block_per_row_multipass_kernelILj256ELj32ELj32EfEEv20rocsparse_direction_iiiiii21rocsparse_index_base_PKT2_PKiS7_S2_PS3_PiS9_
    .private_segment_fixed_size: 0
    .sgpr_count:     60
    .sgpr_spill_count: 0
    .symbol:         _ZN9rocsparseL40csr2gebsr_block_per_row_multipass_kernelILj256ELj32ELj32EfEEv20rocsparse_direction_iiiiii21rocsparse_index_base_PKT2_PKiS7_S2_PS3_PiS9_.kd
    .uniform_work_group_size: 1
    .uses_dynamic_stack: false
    .vgpr_count:     33
    .vgpr_spill_count: 0
    .wavefront_size: 64
  - .agpr_count:     0
    .args:
      - .offset:         0
        .size:           4
        .value_kind:     by_value
      - .offset:         4
        .size:           4
        .value_kind:     by_value
      - .offset:         8
        .size:           4
        .value_kind:     by_value
      - .offset:         12
        .size:           4
        .value_kind:     by_value
      - .offset:         16
        .size:           4
        .value_kind:     by_value
      - .offset:         20
        .size:           4
        .value_kind:     by_value
      - .offset:         24
        .size:           4
        .value_kind:     by_value
      - .offset:         28
        .size:           4
        .value_kind:     by_value
      - .actual_access:  read_only
        .address_space:  global
        .offset:         32
        .size:           8
        .value_kind:     global_buffer
      - .actual_access:  read_only
        .address_space:  global
        .offset:         40
        .size:           8
        .value_kind:     global_buffer
      - .actual_access:  read_only
        .address_space:  global
        .offset:         48
        .size:           8
        .value_kind:     global_buffer
      - .offset:         56
        .size:           4
        .value_kind:     by_value
      - .actual_access:  write_only
        .address_space:  global
        .offset:         64
        .size:           8
        .value_kind:     global_buffer
      - .actual_access:  read_only
        .address_space:  global
        .offset:         72
        .size:           8
        .value_kind:     global_buffer
      - .actual_access:  write_only
        .address_space:  global
        .offset:         80
        .size:           8
        .value_kind:     global_buffer
    .group_segment_fixed_size: 8196
    .kernarg_segment_align: 8
    .kernarg_segment_size: 88
    .language:       OpenCL C
    .language_version:
      - 2
      - 0
    .max_flat_workgroup_size: 256
    .name:           _ZN9rocsparseL40csr2gebsr_block_per_row_multipass_kernelILj256ELj32ELj64EfEEv20rocsparse_direction_iiiiii21rocsparse_index_base_PKT2_PKiS7_S2_PS3_PiS9_
    .private_segment_fixed_size: 0
    .sgpr_count:     76
    .sgpr_spill_count: 0
    .symbol:         _ZN9rocsparseL40csr2gebsr_block_per_row_multipass_kernelILj256ELj32ELj64EfEEv20rocsparse_direction_iiiiii21rocsparse_index_base_PKT2_PKiS7_S2_PS3_PiS9_.kd
    .uniform_work_group_size: 1
    .uses_dynamic_stack: false
    .vgpr_count:     41
    .vgpr_spill_count: 0
    .wavefront_size: 64
  - .agpr_count:     0
    .args:
      - .offset:         0
        .size:           4
        .value_kind:     by_value
      - .offset:         4
        .size:           4
        .value_kind:     by_value
      - .offset:         8
        .size:           4
        .value_kind:     by_value
      - .offset:         12
        .size:           4
        .value_kind:     by_value
      - .offset:         16
        .size:           4
        .value_kind:     by_value
      - .offset:         20
        .size:           4
        .value_kind:     by_value
      - .offset:         24
        .size:           4
        .value_kind:     by_value
      - .offset:         28
        .size:           4
        .value_kind:     by_value
      - .actual_access:  read_only
        .address_space:  global
        .offset:         32
        .size:           8
        .value_kind:     global_buffer
      - .actual_access:  read_only
        .address_space:  global
        .offset:         40
        .size:           8
        .value_kind:     global_buffer
      - .actual_access:  read_only
        .address_space:  global
        .offset:         48
        .size:           8
        .value_kind:     global_buffer
      - .offset:         56
        .size:           4
        .value_kind:     by_value
      - .actual_access:  write_only
        .address_space:  global
        .offset:         64
        .size:           8
        .value_kind:     global_buffer
      - .actual_access:  read_only
        .address_space:  global
        .offset:         72
        .size:           8
        .value_kind:     global_buffer
      - .actual_access:  write_only
        .address_space:  global
        .offset:         80
        .size:           8
        .value_kind:     global_buffer
    .group_segment_fixed_size: 516
    .kernarg_segment_align: 8
    .kernarg_segment_size: 88
    .language:       OpenCL C
    .language_version:
      - 2
      - 0
    .max_flat_workgroup_size: 128
    .name:           _ZN9rocsparseL40csr2gebsr_block_per_row_multipass_kernelILj128ELj64ELj2EfEEv20rocsparse_direction_iiiiii21rocsparse_index_base_PKT2_PKiS7_S2_PS3_PiS9_
    .private_segment_fixed_size: 0
    .sgpr_count:     48
    .sgpr_spill_count: 0
    .symbol:         _ZN9rocsparseL40csr2gebsr_block_per_row_multipass_kernelILj128ELj64ELj2EfEEv20rocsparse_direction_iiiiii21rocsparse_index_base_PKT2_PKiS7_S2_PS3_PiS9_.kd
    .uniform_work_group_size: 1
    .uses_dynamic_stack: false
    .vgpr_count:     23
    .vgpr_spill_count: 0
    .wavefront_size: 64
  - .agpr_count:     0
    .args:
      - .offset:         0
        .size:           4
        .value_kind:     by_value
      - .offset:         4
        .size:           4
        .value_kind:     by_value
      - .offset:         8
        .size:           4
        .value_kind:     by_value
      - .offset:         12
        .size:           4
        .value_kind:     by_value
      - .offset:         16
        .size:           4
        .value_kind:     by_value
      - .offset:         20
        .size:           4
        .value_kind:     by_value
      - .offset:         24
        .size:           4
        .value_kind:     by_value
      - .offset:         28
        .size:           4
        .value_kind:     by_value
      - .actual_access:  read_only
        .address_space:  global
        .offset:         32
        .size:           8
        .value_kind:     global_buffer
      - .actual_access:  read_only
        .address_space:  global
        .offset:         40
        .size:           8
        .value_kind:     global_buffer
      - .actual_access:  read_only
        .address_space:  global
        .offset:         48
        .size:           8
        .value_kind:     global_buffer
      - .offset:         56
        .size:           4
        .value_kind:     by_value
      - .actual_access:  write_only
        .address_space:  global
        .offset:         64
        .size:           8
        .value_kind:     global_buffer
      - .actual_access:  read_only
        .address_space:  global
        .offset:         72
        .size:           8
        .value_kind:     global_buffer
      - .actual_access:  write_only
        .address_space:  global
        .offset:         80
        .size:           8
        .value_kind:     global_buffer
    .group_segment_fixed_size: 1028
    .kernarg_segment_align: 8
    .kernarg_segment_size: 88
    .language:       OpenCL C
    .language_version:
      - 2
      - 0
    .max_flat_workgroup_size: 256
    .name:           _ZN9rocsparseL40csr2gebsr_block_per_row_multipass_kernelILj256ELj64ELj4EfEEv20rocsparse_direction_iiiiii21rocsparse_index_base_PKT2_PKiS7_S2_PS3_PiS9_
    .private_segment_fixed_size: 0
    .sgpr_count:     50
    .sgpr_spill_count: 0
    .symbol:         _ZN9rocsparseL40csr2gebsr_block_per_row_multipass_kernelILj256ELj64ELj4EfEEv20rocsparse_direction_iiiiii21rocsparse_index_base_PKT2_PKiS7_S2_PS3_PiS9_.kd
    .uniform_work_group_size: 1
    .uses_dynamic_stack: false
    .vgpr_count:     23
    .vgpr_spill_count: 0
    .wavefront_size: 64
  - .agpr_count:     0
    .args:
      - .offset:         0
        .size:           4
        .value_kind:     by_value
      - .offset:         4
        .size:           4
        .value_kind:     by_value
      - .offset:         8
        .size:           4
        .value_kind:     by_value
      - .offset:         12
        .size:           4
        .value_kind:     by_value
      - .offset:         16
        .size:           4
        .value_kind:     by_value
      - .offset:         20
        .size:           4
        .value_kind:     by_value
      - .offset:         24
        .size:           4
        .value_kind:     by_value
      - .offset:         28
        .size:           4
        .value_kind:     by_value
      - .actual_access:  read_only
        .address_space:  global
        .offset:         32
        .size:           8
        .value_kind:     global_buffer
      - .actual_access:  read_only
        .address_space:  global
        .offset:         40
        .size:           8
        .value_kind:     global_buffer
      - .actual_access:  read_only
        .address_space:  global
        .offset:         48
        .size:           8
        .value_kind:     global_buffer
      - .offset:         56
        .size:           4
        .value_kind:     by_value
      - .actual_access:  write_only
        .address_space:  global
        .offset:         64
        .size:           8
        .value_kind:     global_buffer
      - .actual_access:  read_only
        .address_space:  global
        .offset:         72
        .size:           8
        .value_kind:     global_buffer
      - .actual_access:  write_only
        .address_space:  global
        .offset:         80
        .size:           8
        .value_kind:     global_buffer
    .group_segment_fixed_size: 2052
    .kernarg_segment_align: 8
    .kernarg_segment_size: 88
    .language:       OpenCL C
    .language_version:
      - 2
      - 0
    .max_flat_workgroup_size: 256
    .name:           _ZN9rocsparseL40csr2gebsr_block_per_row_multipass_kernelILj256ELj64ELj8EfEEv20rocsparse_direction_iiiiii21rocsparse_index_base_PKT2_PKiS7_S2_PS3_PiS9_
    .private_segment_fixed_size: 0
    .sgpr_count:     54
    .sgpr_spill_count: 0
    .symbol:         _ZN9rocsparseL40csr2gebsr_block_per_row_multipass_kernelILj256ELj64ELj8EfEEv20rocsparse_direction_iiiiii21rocsparse_index_base_PKT2_PKiS7_S2_PS3_PiS9_.kd
    .uniform_work_group_size: 1
    .uses_dynamic_stack: false
    .vgpr_count:     29
    .vgpr_spill_count: 0
    .wavefront_size: 64
  - .agpr_count:     0
    .args:
      - .offset:         0
        .size:           4
        .value_kind:     by_value
      - .offset:         4
        .size:           4
        .value_kind:     by_value
      - .offset:         8
        .size:           4
        .value_kind:     by_value
      - .offset:         12
        .size:           4
        .value_kind:     by_value
      - .offset:         16
        .size:           4
        .value_kind:     by_value
      - .offset:         20
        .size:           4
        .value_kind:     by_value
      - .offset:         24
        .size:           4
        .value_kind:     by_value
      - .offset:         28
        .size:           4
        .value_kind:     by_value
      - .actual_access:  read_only
        .address_space:  global
        .offset:         32
        .size:           8
        .value_kind:     global_buffer
      - .actual_access:  read_only
        .address_space:  global
        .offset:         40
        .size:           8
        .value_kind:     global_buffer
      - .actual_access:  read_only
        .address_space:  global
        .offset:         48
        .size:           8
        .value_kind:     global_buffer
      - .offset:         56
        .size:           4
        .value_kind:     by_value
      - .actual_access:  write_only
        .address_space:  global
        .offset:         64
        .size:           8
        .value_kind:     global_buffer
      - .actual_access:  read_only
        .address_space:  global
        .offset:         72
        .size:           8
        .value_kind:     global_buffer
      - .actual_access:  write_only
        .address_space:  global
        .offset:         80
        .size:           8
        .value_kind:     global_buffer
    .group_segment_fixed_size: 4100
    .kernarg_segment_align: 8
    .kernarg_segment_size: 88
    .language:       OpenCL C
    .language_version:
      - 2
      - 0
    .max_flat_workgroup_size: 256
    .name:           _ZN9rocsparseL40csr2gebsr_block_per_row_multipass_kernelILj256ELj64ELj16EfEEv20rocsparse_direction_iiiiii21rocsparse_index_base_PKT2_PKiS7_S2_PS3_PiS9_
    .private_segment_fixed_size: 0
    .sgpr_count:     58
    .sgpr_spill_count: 0
    .symbol:         _ZN9rocsparseL40csr2gebsr_block_per_row_multipass_kernelILj256ELj64ELj16EfEEv20rocsparse_direction_iiiiii21rocsparse_index_base_PKT2_PKiS7_S2_PS3_PiS9_.kd
    .uniform_work_group_size: 1
    .uses_dynamic_stack: false
    .vgpr_count:     33
    .vgpr_spill_count: 0
    .wavefront_size: 64
  - .agpr_count:     0
    .args:
      - .offset:         0
        .size:           4
        .value_kind:     by_value
      - .offset:         4
        .size:           4
        .value_kind:     by_value
      - .offset:         8
        .size:           4
        .value_kind:     by_value
      - .offset:         12
        .size:           4
        .value_kind:     by_value
      - .offset:         16
        .size:           4
        .value_kind:     by_value
      - .offset:         20
        .size:           4
        .value_kind:     by_value
      - .offset:         24
        .size:           4
        .value_kind:     by_value
      - .offset:         28
        .size:           4
        .value_kind:     by_value
      - .actual_access:  read_only
        .address_space:  global
        .offset:         32
        .size:           8
        .value_kind:     global_buffer
      - .actual_access:  read_only
        .address_space:  global
        .offset:         40
        .size:           8
        .value_kind:     global_buffer
      - .actual_access:  read_only
        .address_space:  global
        .offset:         48
        .size:           8
        .value_kind:     global_buffer
      - .offset:         56
        .size:           4
        .value_kind:     by_value
      - .actual_access:  write_only
        .address_space:  global
        .offset:         64
        .size:           8
        .value_kind:     global_buffer
      - .actual_access:  read_only
        .address_space:  global
        .offset:         72
        .size:           8
        .value_kind:     global_buffer
      - .actual_access:  write_only
        .address_space:  global
        .offset:         80
        .size:           8
        .value_kind:     global_buffer
    .group_segment_fixed_size: 8196
    .kernarg_segment_align: 8
    .kernarg_segment_size: 88
    .language:       OpenCL C
    .language_version:
      - 2
      - 0
    .max_flat_workgroup_size: 256
    .name:           _ZN9rocsparseL40csr2gebsr_block_per_row_multipass_kernelILj256ELj64ELj32EfEEv20rocsparse_direction_iiiiii21rocsparse_index_base_PKT2_PKiS7_S2_PS3_PiS9_
    .private_segment_fixed_size: 0
    .sgpr_count:     72
    .sgpr_spill_count: 0
    .symbol:         _ZN9rocsparseL40csr2gebsr_block_per_row_multipass_kernelILj256ELj64ELj32EfEEv20rocsparse_direction_iiiiii21rocsparse_index_base_PKT2_PKiS7_S2_PS3_PiS9_.kd
    .uniform_work_group_size: 1
    .uses_dynamic_stack: false
    .vgpr_count:     41
    .vgpr_spill_count: 0
    .wavefront_size: 64
  - .agpr_count:     0
    .args:
      - .offset:         0
        .size:           4
        .value_kind:     by_value
      - .offset:         4
        .size:           4
        .value_kind:     by_value
      - .offset:         8
        .size:           4
        .value_kind:     by_value
      - .offset:         12
        .size:           4
        .value_kind:     by_value
      - .offset:         16
        .size:           4
        .value_kind:     by_value
      - .offset:         20
        .size:           4
        .value_kind:     by_value
      - .offset:         24
        .size:           4
        .value_kind:     by_value
      - .offset:         28
        .size:           4
        .value_kind:     by_value
      - .actual_access:  read_only
        .address_space:  global
        .offset:         32
        .size:           8
        .value_kind:     global_buffer
      - .actual_access:  read_only
        .address_space:  global
        .offset:         40
        .size:           8
        .value_kind:     global_buffer
      - .actual_access:  read_only
        .address_space:  global
        .offset:         48
        .size:           8
        .value_kind:     global_buffer
      - .offset:         56
        .size:           4
        .value_kind:     by_value
      - .actual_access:  write_only
        .address_space:  global
        .offset:         64
        .size:           8
        .value_kind:     global_buffer
      - .actual_access:  read_only
        .address_space:  global
        .offset:         72
        .size:           8
        .value_kind:     global_buffer
      - .actual_access:  write_only
        .address_space:  global
        .offset:         80
        .size:           8
        .value_kind:     global_buffer
    .group_segment_fixed_size: 16388
    .kernarg_segment_align: 8
    .kernarg_segment_size: 88
    .language:       OpenCL C
    .language_version:
      - 2
      - 0
    .max_flat_workgroup_size: 256
    .name:           _ZN9rocsparseL40csr2gebsr_block_per_row_multipass_kernelILj256ELj64ELj64EfEEv20rocsparse_direction_iiiiii21rocsparse_index_base_PKT2_PKiS7_S2_PS3_PiS9_
    .private_segment_fixed_size: 0
    .sgpr_count:     104
    .sgpr_spill_count: 0
    .symbol:         _ZN9rocsparseL40csr2gebsr_block_per_row_multipass_kernelILj256ELj64ELj64EfEEv20rocsparse_direction_iiiiii21rocsparse_index_base_PKT2_PKiS7_S2_PS3_PiS9_.kd
    .uniform_work_group_size: 1
    .uses_dynamic_stack: false
    .vgpr_count:     57
    .vgpr_spill_count: 0
    .wavefront_size: 64
  - .agpr_count:     0
    .args:
      - .offset:         0
        .size:           4
        .value_kind:     by_value
      - .offset:         4
        .size:           4
        .value_kind:     by_value
      - .offset:         8
        .size:           4
        .value_kind:     by_value
      - .offset:         12
        .size:           4
        .value_kind:     by_value
      - .offset:         16
        .size:           4
        .value_kind:     by_value
      - .offset:         20
        .size:           4
        .value_kind:     by_value
      - .offset:         24
        .size:           4
        .value_kind:     by_value
      - .offset:         28
        .size:           4
        .value_kind:     by_value
      - .offset:         32
        .size:           4
        .value_kind:     by_value
      - .actual_access:  read_only
        .address_space:  global
        .offset:         40
        .size:           8
        .value_kind:     global_buffer
      - .actual_access:  read_only
        .address_space:  global
        .offset:         48
        .size:           8
        .value_kind:     global_buffer
      - .actual_access:  read_only
        .address_space:  global
        .offset:         56
        .size:           8
        .value_kind:     global_buffer
      - .offset:         64
        .size:           4
        .value_kind:     by_value
      - .actual_access:  write_only
        .address_space:  global
        .offset:         72
        .size:           8
        .value_kind:     global_buffer
      - .actual_access:  read_only
        .address_space:  global
        .offset:         80
        .size:           8
        .value_kind:     global_buffer
      - .actual_access:  write_only
        .address_space:  global
        .offset:         88
        .size:           8
        .value_kind:     global_buffer
      - .address_space:  global
        .offset:         96
        .size:           8
        .value_kind:     global_buffer
      - .address_space:  global
        .offset:         104
        .size:           8
        .value_kind:     global_buffer
    .group_segment_fixed_size: 0
    .kernarg_segment_align: 8
    .kernarg_segment_size: 112
    .language:       OpenCL C
    .language_version:
      - 2
      - 0
    .max_flat_workgroup_size: 32
    .name:           _ZN9rocsparseL23csr2gebsr_65_inf_kernelILi32EfEEv20rocsparse_direction_iiiiiii21rocsparse_index_base_PKT0_PKiS7_S2_PS3_PiS9_S9_S8_
    .private_segment_fixed_size: 0
    .sgpr_count:     52
    .sgpr_spill_count: 0
    .symbol:         _ZN9rocsparseL23csr2gebsr_65_inf_kernelILi32EfEEv20rocsparse_direction_iiiiiii21rocsparse_index_base_PKT0_PKiS7_S2_PS3_PiS9_S9_S8_.kd
    .uniform_work_group_size: 1
    .uses_dynamic_stack: false
    .vgpr_count:     33
    .vgpr_spill_count: 0
    .wavefront_size: 64
  - .agpr_count:     0
    .args:
      - .offset:         0
        .size:           4
        .value_kind:     by_value
      - .offset:         4
        .size:           4
        .value_kind:     by_value
      - .offset:         8
        .size:           4
        .value_kind:     by_value
      - .offset:         12
        .size:           4
        .value_kind:     by_value
      - .offset:         16
        .size:           4
        .value_kind:     by_value
      - .address_space:  global
        .offset:         24
        .size:           8
        .value_kind:     global_buffer
      - .address_space:  global
        .offset:         32
        .size:           8
        .value_kind:     global_buffer
      - .address_space:  global
        .offset:         40
        .size:           8
        .value_kind:     global_buffer
      - .offset:         48
        .size:           4
        .value_kind:     by_value
      - .offset:         52
        .size:           4
        .value_kind:     by_value
      - .address_space:  global
        .offset:         56
        .size:           8
        .value_kind:     global_buffer
      - .address_space:  global
        .offset:         64
        .size:           8
        .value_kind:     global_buffer
      - .address_space:  global
        .offset:         72
        .size:           8
        .value_kind:     global_buffer
      - .offset:         80
        .size:           4
        .value_kind:     by_value
      - .offset:         84
        .size:           4
        .value_kind:     by_value
    .group_segment_fixed_size: 0
    .kernarg_segment_align: 8
    .kernarg_segment_size: 88
    .language:       OpenCL C
    .language_version:
      - 2
      - 0
    .max_flat_workgroup_size: 256
    .name:           _ZN9rocsparseL20csr2gebsr_kernel_bm1ILi256EdEEviiii21rocsparse_index_base_PKT0_PKiS6_20rocsparse_direction_S1_PS2_S6_Piii
    .private_segment_fixed_size: 0
    .sgpr_count:     26
    .sgpr_spill_count: 0
    .symbol:         _ZN9rocsparseL20csr2gebsr_kernel_bm1ILi256EdEEviiii21rocsparse_index_base_PKT0_PKiS6_20rocsparse_direction_S1_PS2_S6_Piii.kd
    .uniform_work_group_size: 1
    .uses_dynamic_stack: false
    .vgpr_count:     21
    .vgpr_spill_count: 0
    .wavefront_size: 64
  - .agpr_count:     0
    .args:
      - .offset:         0
        .size:           4
        .value_kind:     by_value
      - .offset:         4
        .size:           4
        .value_kind:     by_value
      - .offset:         8
        .size:           4
        .value_kind:     by_value
      - .offset:         12
        .size:           4
        .value_kind:     by_value
      - .offset:         16
        .size:           4
        .value_kind:     by_value
      - .offset:         20
        .size:           4
        .value_kind:     by_value
      - .offset:         24
        .size:           4
        .value_kind:     by_value
      - .offset:         28
        .size:           4
        .value_kind:     by_value
      - .actual_access:  read_only
        .address_space:  global
        .offset:         32
        .size:           8
        .value_kind:     global_buffer
      - .actual_access:  read_only
        .address_space:  global
        .offset:         40
        .size:           8
        .value_kind:     global_buffer
      - .actual_access:  read_only
        .address_space:  global
        .offset:         48
        .size:           8
        .value_kind:     global_buffer
      - .offset:         56
        .size:           4
        .value_kind:     by_value
      - .actual_access:  write_only
        .address_space:  global
        .offset:         64
        .size:           8
        .value_kind:     global_buffer
      - .actual_access:  read_only
        .address_space:  global
        .offset:         72
        .size:           8
        .value_kind:     global_buffer
      - .actual_access:  write_only
        .address_space:  global
        .offset:         80
        .size:           8
        .value_kind:     global_buffer
    .group_segment_fixed_size: 2112
    .kernarg_segment_align: 8
    .kernarg_segment_size: 88
    .language:       OpenCL C
    .language_version:
      - 2
      - 0
    .max_flat_workgroup_size: 256
    .name:           _ZN9rocsparseL44csr2gebsr_wavefront_per_row_multipass_kernelILi256ELi2ELi2ELi4EdEEv20rocsparse_direction_iiiiii21rocsparse_index_base_PKT3_PKiS7_S2_PS3_PiS9_
    .private_segment_fixed_size: 0
    .sgpr_count:     32
    .sgpr_spill_count: 0
    .symbol:         _ZN9rocsparseL44csr2gebsr_wavefront_per_row_multipass_kernelILi256ELi2ELi2ELi4EdEEv20rocsparse_direction_iiiiii21rocsparse_index_base_PKT3_PKiS7_S2_PS3_PiS9_.kd
    .uniform_work_group_size: 1
    .uses_dynamic_stack: false
    .vgpr_count:     30
    .vgpr_spill_count: 0
    .wavefront_size: 64
  - .agpr_count:     0
    .args:
      - .offset:         0
        .size:           4
        .value_kind:     by_value
      - .offset:         4
        .size:           4
        .value_kind:     by_value
      - .offset:         8
        .size:           4
        .value_kind:     by_value
      - .offset:         12
        .size:           4
        .value_kind:     by_value
      - .offset:         16
        .size:           4
        .value_kind:     by_value
      - .offset:         20
        .size:           4
        .value_kind:     by_value
      - .offset:         24
        .size:           4
        .value_kind:     by_value
      - .offset:         28
        .size:           4
        .value_kind:     by_value
      - .actual_access:  read_only
        .address_space:  global
        .offset:         32
        .size:           8
        .value_kind:     global_buffer
      - .actual_access:  read_only
        .address_space:  global
        .offset:         40
        .size:           8
        .value_kind:     global_buffer
      - .actual_access:  read_only
        .address_space:  global
        .offset:         48
        .size:           8
        .value_kind:     global_buffer
      - .offset:         56
        .size:           4
        .value_kind:     by_value
      - .actual_access:  write_only
        .address_space:  global
        .offset:         64
        .size:           8
        .value_kind:     global_buffer
      - .actual_access:  read_only
        .address_space:  global
        .offset:         72
        .size:           8
        .value_kind:     global_buffer
      - .actual_access:  write_only
        .address_space:  global
        .offset:         80
        .size:           8
        .value_kind:     global_buffer
    .group_segment_fixed_size: 2080
    .kernarg_segment_align: 8
    .kernarg_segment_size: 88
    .language:       OpenCL C
    .language_version:
      - 2
      - 0
    .max_flat_workgroup_size: 256
    .name:           _ZN9rocsparseL44csr2gebsr_wavefront_per_row_multipass_kernelILi256ELi2ELi4ELi8EdEEv20rocsparse_direction_iiiiii21rocsparse_index_base_PKT3_PKiS7_S2_PS3_PiS9_
    .private_segment_fixed_size: 0
    .sgpr_count:     32
    .sgpr_spill_count: 0
    .symbol:         _ZN9rocsparseL44csr2gebsr_wavefront_per_row_multipass_kernelILi256ELi2ELi4ELi8EdEEv20rocsparse_direction_iiiiii21rocsparse_index_base_PKT3_PKiS7_S2_PS3_PiS9_.kd
    .uniform_work_group_size: 1
    .uses_dynamic_stack: false
    .vgpr_count:     30
    .vgpr_spill_count: 0
    .wavefront_size: 64
  - .agpr_count:     0
    .args:
      - .offset:         0
        .size:           4
        .value_kind:     by_value
      - .offset:         4
        .size:           4
        .value_kind:     by_value
      - .offset:         8
        .size:           4
        .value_kind:     by_value
      - .offset:         12
        .size:           4
        .value_kind:     by_value
      - .offset:         16
        .size:           4
        .value_kind:     by_value
      - .offset:         20
        .size:           4
        .value_kind:     by_value
      - .offset:         24
        .size:           4
        .value_kind:     by_value
      - .offset:         28
        .size:           4
        .value_kind:     by_value
      - .actual_access:  read_only
        .address_space:  global
        .offset:         32
        .size:           8
        .value_kind:     global_buffer
      - .actual_access:  read_only
        .address_space:  global
        .offset:         40
        .size:           8
        .value_kind:     global_buffer
      - .actual_access:  read_only
        .address_space:  global
        .offset:         48
        .size:           8
        .value_kind:     global_buffer
      - .offset:         56
        .size:           4
        .value_kind:     by_value
      - .actual_access:  write_only
        .address_space:  global
        .offset:         64
        .size:           8
        .value_kind:     global_buffer
      - .actual_access:  read_only
        .address_space:  global
        .offset:         72
        .size:           8
        .value_kind:     global_buffer
      - .actual_access:  write_only
        .address_space:  global
        .offset:         80
        .size:           8
        .value_kind:     global_buffer
    .group_segment_fixed_size: 2064
    .kernarg_segment_align: 8
    .kernarg_segment_size: 88
    .language:       OpenCL C
    .language_version:
      - 2
      - 0
    .max_flat_workgroup_size: 256
    .name:           _ZN9rocsparseL44csr2gebsr_wavefront_per_row_multipass_kernelILi256ELi2ELi8ELi16EdEEv20rocsparse_direction_iiiiii21rocsparse_index_base_PKT3_PKiS7_S2_PS3_PiS9_
    .private_segment_fixed_size: 0
    .sgpr_count:     32
    .sgpr_spill_count: 0
    .symbol:         _ZN9rocsparseL44csr2gebsr_wavefront_per_row_multipass_kernelILi256ELi2ELi8ELi16EdEEv20rocsparse_direction_iiiiii21rocsparse_index_base_PKT3_PKiS7_S2_PS3_PiS9_.kd
    .uniform_work_group_size: 1
    .uses_dynamic_stack: false
    .vgpr_count:     30
    .vgpr_spill_count: 0
    .wavefront_size: 64
  - .agpr_count:     0
    .args:
      - .offset:         0
        .size:           4
        .value_kind:     by_value
      - .offset:         4
        .size:           4
        .value_kind:     by_value
      - .offset:         8
        .size:           4
        .value_kind:     by_value
      - .offset:         12
        .size:           4
        .value_kind:     by_value
      - .offset:         16
        .size:           4
        .value_kind:     by_value
      - .offset:         20
        .size:           4
        .value_kind:     by_value
      - .offset:         24
        .size:           4
        .value_kind:     by_value
      - .offset:         28
        .size:           4
        .value_kind:     by_value
      - .actual_access:  read_only
        .address_space:  global
        .offset:         32
        .size:           8
        .value_kind:     global_buffer
      - .actual_access:  read_only
        .address_space:  global
        .offset:         40
        .size:           8
        .value_kind:     global_buffer
      - .actual_access:  read_only
        .address_space:  global
        .offset:         48
        .size:           8
        .value_kind:     global_buffer
      - .offset:         56
        .size:           4
        .value_kind:     by_value
      - .actual_access:  write_only
        .address_space:  global
        .offset:         64
        .size:           8
        .value_kind:     global_buffer
      - .actual_access:  read_only
        .address_space:  global
        .offset:         72
        .size:           8
        .value_kind:     global_buffer
      - .actual_access:  write_only
        .address_space:  global
        .offset:         80
        .size:           8
        .value_kind:     global_buffer
    .group_segment_fixed_size: 2056
    .kernarg_segment_align: 8
    .kernarg_segment_size: 88
    .language:       OpenCL C
    .language_version:
      - 2
      - 0
    .max_flat_workgroup_size: 256
    .name:           _ZN9rocsparseL44csr2gebsr_wavefront_per_row_multipass_kernelILi256ELi2ELi16ELi32EdEEv20rocsparse_direction_iiiiii21rocsparse_index_base_PKT3_PKiS7_S2_PS3_PiS9_
    .private_segment_fixed_size: 0
    .sgpr_count:     34
    .sgpr_spill_count: 0
    .symbol:         _ZN9rocsparseL44csr2gebsr_wavefront_per_row_multipass_kernelILi256ELi2ELi16ELi32EdEEv20rocsparse_direction_iiiiii21rocsparse_index_base_PKT3_PKiS7_S2_PS3_PiS9_.kd
    .uniform_work_group_size: 1
    .uses_dynamic_stack: false
    .vgpr_count:     30
    .vgpr_spill_count: 0
    .wavefront_size: 64
  - .agpr_count:     0
    .args:
      - .offset:         0
        .size:           4
        .value_kind:     by_value
      - .offset:         4
        .size:           4
        .value_kind:     by_value
      - .offset:         8
        .size:           4
        .value_kind:     by_value
      - .offset:         12
        .size:           4
        .value_kind:     by_value
      - .offset:         16
        .size:           4
        .value_kind:     by_value
      - .offset:         20
        .size:           4
        .value_kind:     by_value
      - .offset:         24
        .size:           4
        .value_kind:     by_value
      - .offset:         28
        .size:           4
        .value_kind:     by_value
      - .actual_access:  read_only
        .address_space:  global
        .offset:         32
        .size:           8
        .value_kind:     global_buffer
      - .actual_access:  read_only
        .address_space:  global
        .offset:         40
        .size:           8
        .value_kind:     global_buffer
      - .actual_access:  read_only
        .address_space:  global
        .offset:         48
        .size:           8
        .value_kind:     global_buffer
      - .offset:         56
        .size:           4
        .value_kind:     by_value
      - .actual_access:  write_only
        .address_space:  global
        .offset:         64
        .size:           8
        .value_kind:     global_buffer
      - .actual_access:  read_only
        .address_space:  global
        .offset:         72
        .size:           8
        .value_kind:     global_buffer
      - .actual_access:  write_only
        .address_space:  global
        .offset:         80
        .size:           8
        .value_kind:     global_buffer
    .group_segment_fixed_size: 2056
    .kernarg_segment_align: 8
    .kernarg_segment_size: 88
    .language:       OpenCL C
    .language_version:
      - 2
      - 0
    .max_flat_workgroup_size: 256
    .name:           _ZN9rocsparseL44csr2gebsr_wavefront_per_row_multipass_kernelILi256ELi2ELi32ELi64EdEEv20rocsparse_direction_iiiiii21rocsparse_index_base_PKT3_PKiS7_S2_PS3_PiS9_
    .private_segment_fixed_size: 0
    .sgpr_count:     36
    .sgpr_spill_count: 0
    .symbol:         _ZN9rocsparseL44csr2gebsr_wavefront_per_row_multipass_kernelILi256ELi2ELi32ELi64EdEEv20rocsparse_direction_iiiiii21rocsparse_index_base_PKT3_PKiS7_S2_PS3_PiS9_.kd
    .uniform_work_group_size: 1
    .uses_dynamic_stack: false
    .vgpr_count:     30
    .vgpr_spill_count: 0
    .wavefront_size: 64
  - .agpr_count:     0
    .args:
      - .offset:         0
        .size:           4
        .value_kind:     by_value
      - .offset:         4
        .size:           4
        .value_kind:     by_value
      - .offset:         8
        .size:           4
        .value_kind:     by_value
      - .offset:         12
        .size:           4
        .value_kind:     by_value
      - .offset:         16
        .size:           4
        .value_kind:     by_value
      - .offset:         20
        .size:           4
        .value_kind:     by_value
      - .offset:         24
        .size:           4
        .value_kind:     by_value
      - .offset:         28
        .size:           4
        .value_kind:     by_value
      - .actual_access:  read_only
        .address_space:  global
        .offset:         32
        .size:           8
        .value_kind:     global_buffer
      - .actual_access:  read_only
        .address_space:  global
        .offset:         40
        .size:           8
        .value_kind:     global_buffer
      - .actual_access:  read_only
        .address_space:  global
        .offset:         48
        .size:           8
        .value_kind:     global_buffer
      - .offset:         56
        .size:           4
        .value_kind:     by_value
      - .actual_access:  write_only
        .address_space:  global
        .offset:         64
        .size:           8
        .value_kind:     global_buffer
      - .actual_access:  read_only
        .address_space:  global
        .offset:         72
        .size:           8
        .value_kind:     global_buffer
      - .actual_access:  write_only
        .address_space:  global
        .offset:         80
        .size:           8
        .value_kind:     global_buffer
    .group_segment_fixed_size: 4104
    .kernarg_segment_align: 8
    .kernarg_segment_size: 88
    .language:       OpenCL C
    .language_version:
      - 2
      - 0
    .max_flat_workgroup_size: 256
    .name:           _ZN9rocsparseL44csr2gebsr_wavefront_per_row_multipass_kernelILi256ELi2ELi32ELi32EdEEv20rocsparse_direction_iiiiii21rocsparse_index_base_PKT3_PKiS7_S2_PS3_PiS9_
    .private_segment_fixed_size: 0
    .sgpr_count:     42
    .sgpr_spill_count: 0
    .symbol:         _ZN9rocsparseL44csr2gebsr_wavefront_per_row_multipass_kernelILi256ELi2ELi32ELi32EdEEv20rocsparse_direction_iiiiii21rocsparse_index_base_PKT3_PKiS7_S2_PS3_PiS9_.kd
    .uniform_work_group_size: 1
    .uses_dynamic_stack: false
    .vgpr_count:     36
    .vgpr_spill_count: 0
    .wavefront_size: 64
  - .agpr_count:     0
    .args:
      - .offset:         0
        .size:           4
        .value_kind:     by_value
      - .offset:         4
        .size:           4
        .value_kind:     by_value
      - .offset:         8
        .size:           4
        .value_kind:     by_value
      - .offset:         12
        .size:           4
        .value_kind:     by_value
      - .offset:         16
        .size:           4
        .value_kind:     by_value
      - .offset:         20
        .size:           4
        .value_kind:     by_value
      - .offset:         24
        .size:           4
        .value_kind:     by_value
      - .offset:         28
        .size:           4
        .value_kind:     by_value
      - .actual_access:  read_only
        .address_space:  global
        .offset:         32
        .size:           8
        .value_kind:     global_buffer
      - .actual_access:  read_only
        .address_space:  global
        .offset:         40
        .size:           8
        .value_kind:     global_buffer
      - .actual_access:  read_only
        .address_space:  global
        .offset:         48
        .size:           8
        .value_kind:     global_buffer
      - .offset:         56
        .size:           4
        .value_kind:     by_value
      - .actual_access:  write_only
        .address_space:  global
        .offset:         64
        .size:           8
        .value_kind:     global_buffer
      - .actual_access:  read_only
        .address_space:  global
        .offset:         72
        .size:           8
        .value_kind:     global_buffer
      - .actual_access:  write_only
        .address_space:  global
        .offset:         80
        .size:           8
        .value_kind:     global_buffer
    .group_segment_fixed_size: 4104
    .kernarg_segment_align: 8
    .kernarg_segment_size: 88
    .language:       OpenCL C
    .language_version:
      - 2
      - 0
    .max_flat_workgroup_size: 256
    .name:           _ZN9rocsparseL44csr2gebsr_wavefront_per_row_multipass_kernelILi256ELi2ELi64ELi64EdEEv20rocsparse_direction_iiiiii21rocsparse_index_base_PKT3_PKiS7_S2_PS3_PiS9_
    .private_segment_fixed_size: 0
    .sgpr_count:     42
    .sgpr_spill_count: 0
    .symbol:         _ZN9rocsparseL44csr2gebsr_wavefront_per_row_multipass_kernelILi256ELi2ELi64ELi64EdEEv20rocsparse_direction_iiiiii21rocsparse_index_base_PKT3_PKiS7_S2_PS3_PiS9_.kd
    .uniform_work_group_size: 1
    .uses_dynamic_stack: false
    .vgpr_count:     36
    .vgpr_spill_count: 0
    .wavefront_size: 64
  - .agpr_count:     0
    .args:
      - .offset:         0
        .size:           4
        .value_kind:     by_value
      - .offset:         4
        .size:           4
        .value_kind:     by_value
      - .offset:         8
        .size:           4
        .value_kind:     by_value
      - .offset:         12
        .size:           4
        .value_kind:     by_value
      - .offset:         16
        .size:           4
        .value_kind:     by_value
      - .offset:         20
        .size:           4
        .value_kind:     by_value
      - .offset:         24
        .size:           4
        .value_kind:     by_value
      - .offset:         28
        .size:           4
        .value_kind:     by_value
      - .actual_access:  read_only
        .address_space:  global
        .offset:         32
        .size:           8
        .value_kind:     global_buffer
      - .actual_access:  read_only
        .address_space:  global
        .offset:         40
        .size:           8
        .value_kind:     global_buffer
      - .actual_access:  read_only
        .address_space:  global
        .offset:         48
        .size:           8
        .value_kind:     global_buffer
      - .offset:         56
        .size:           4
        .value_kind:     by_value
      - .actual_access:  write_only
        .address_space:  global
        .offset:         64
        .size:           8
        .value_kind:     global_buffer
      - .actual_access:  read_only
        .address_space:  global
        .offset:         72
        .size:           8
        .value_kind:     global_buffer
      - .actual_access:  write_only
        .address_space:  global
        .offset:         80
        .size:           8
        .value_kind:     global_buffer
    .group_segment_fixed_size: 8200
    .kernarg_segment_align: 8
    .kernarg_segment_size: 88
    .language:       OpenCL C
    .language_version:
      - 2
      - 0
    .max_flat_workgroup_size: 256
    .name:           _ZN9rocsparseL44csr2gebsr_wavefront_per_row_multipass_kernelILi256ELi2ELi64ELi32EdEEv20rocsparse_direction_iiiiii21rocsparse_index_base_PKT3_PKiS7_S2_PS3_PiS9_
    .private_segment_fixed_size: 0
    .sgpr_count:     43
    .sgpr_spill_count: 0
    .symbol:         _ZN9rocsparseL44csr2gebsr_wavefront_per_row_multipass_kernelILi256ELi2ELi64ELi32EdEEv20rocsparse_direction_iiiiii21rocsparse_index_base_PKT3_PKiS7_S2_PS3_PiS9_.kd
    .uniform_work_group_size: 1
    .uses_dynamic_stack: false
    .vgpr_count:     40
    .vgpr_spill_count: 0
    .wavefront_size: 64
  - .agpr_count:     0
    .args:
      - .offset:         0
        .size:           4
        .value_kind:     by_value
      - .offset:         4
        .size:           4
        .value_kind:     by_value
      - .offset:         8
        .size:           4
        .value_kind:     by_value
      - .offset:         12
        .size:           4
        .value_kind:     by_value
      - .offset:         16
        .size:           4
        .value_kind:     by_value
      - .offset:         20
        .size:           4
        .value_kind:     by_value
      - .offset:         24
        .size:           4
        .value_kind:     by_value
      - .offset:         28
        .size:           4
        .value_kind:     by_value
      - .actual_access:  read_only
        .address_space:  global
        .offset:         32
        .size:           8
        .value_kind:     global_buffer
      - .actual_access:  read_only
        .address_space:  global
        .offset:         40
        .size:           8
        .value_kind:     global_buffer
      - .actual_access:  read_only
        .address_space:  global
        .offset:         48
        .size:           8
        .value_kind:     global_buffer
      - .offset:         56
        .size:           4
        .value_kind:     by_value
      - .actual_access:  write_only
        .address_space:  global
        .offset:         64
        .size:           8
        .value_kind:     global_buffer
      - .actual_access:  read_only
        .address_space:  global
        .offset:         72
        .size:           8
        .value_kind:     global_buffer
      - .actual_access:  write_only
        .address_space:  global
        .offset:         80
        .size:           8
        .value_kind:     global_buffer
    .group_segment_fixed_size: 2080
    .kernarg_segment_align: 8
    .kernarg_segment_size: 88
    .language:       OpenCL C
    .language_version:
      - 2
      - 0
    .max_flat_workgroup_size: 256
    .name:           _ZN9rocsparseL44csr2gebsr_wavefront_per_row_multipass_kernelILi256ELi4ELi2ELi8EdEEv20rocsparse_direction_iiiiii21rocsparse_index_base_PKT3_PKiS7_S2_PS3_PiS9_
    .private_segment_fixed_size: 0
    .sgpr_count:     32
    .sgpr_spill_count: 0
    .symbol:         _ZN9rocsparseL44csr2gebsr_wavefront_per_row_multipass_kernelILi256ELi4ELi2ELi8EdEEv20rocsparse_direction_iiiiii21rocsparse_index_base_PKT3_PKiS7_S2_PS3_PiS9_.kd
    .uniform_work_group_size: 1
    .uses_dynamic_stack: false
    .vgpr_count:     30
    .vgpr_spill_count: 0
    .wavefront_size: 64
  - .agpr_count:     0
    .args:
      - .offset:         0
        .size:           4
        .value_kind:     by_value
      - .offset:         4
        .size:           4
        .value_kind:     by_value
      - .offset:         8
        .size:           4
        .value_kind:     by_value
      - .offset:         12
        .size:           4
        .value_kind:     by_value
      - .offset:         16
        .size:           4
        .value_kind:     by_value
      - .offset:         20
        .size:           4
        .value_kind:     by_value
      - .offset:         24
        .size:           4
        .value_kind:     by_value
      - .offset:         28
        .size:           4
        .value_kind:     by_value
      - .actual_access:  read_only
        .address_space:  global
        .offset:         32
        .size:           8
        .value_kind:     global_buffer
      - .actual_access:  read_only
        .address_space:  global
        .offset:         40
        .size:           8
        .value_kind:     global_buffer
      - .actual_access:  read_only
        .address_space:  global
        .offset:         48
        .size:           8
        .value_kind:     global_buffer
      - .offset:         56
        .size:           4
        .value_kind:     by_value
      - .actual_access:  write_only
        .address_space:  global
        .offset:         64
        .size:           8
        .value_kind:     global_buffer
      - .actual_access:  read_only
        .address_space:  global
        .offset:         72
        .size:           8
        .value_kind:     global_buffer
      - .actual_access:  write_only
        .address_space:  global
        .offset:         80
        .size:           8
        .value_kind:     global_buffer
    .group_segment_fixed_size: 2064
    .kernarg_segment_align: 8
    .kernarg_segment_size: 88
    .language:       OpenCL C
    .language_version:
      - 2
      - 0
    .max_flat_workgroup_size: 256
    .name:           _ZN9rocsparseL44csr2gebsr_wavefront_per_row_multipass_kernelILi256ELi4ELi4ELi16EdEEv20rocsparse_direction_iiiiii21rocsparse_index_base_PKT3_PKiS7_S2_PS3_PiS9_
    .private_segment_fixed_size: 0
    .sgpr_count:     32
    .sgpr_spill_count: 0
    .symbol:         _ZN9rocsparseL44csr2gebsr_wavefront_per_row_multipass_kernelILi256ELi4ELi4ELi16EdEEv20rocsparse_direction_iiiiii21rocsparse_index_base_PKT3_PKiS7_S2_PS3_PiS9_.kd
    .uniform_work_group_size: 1
    .uses_dynamic_stack: false
    .vgpr_count:     30
    .vgpr_spill_count: 0
    .wavefront_size: 64
  - .agpr_count:     0
    .args:
      - .offset:         0
        .size:           4
        .value_kind:     by_value
      - .offset:         4
        .size:           4
        .value_kind:     by_value
      - .offset:         8
        .size:           4
        .value_kind:     by_value
      - .offset:         12
        .size:           4
        .value_kind:     by_value
      - .offset:         16
        .size:           4
        .value_kind:     by_value
      - .offset:         20
        .size:           4
        .value_kind:     by_value
      - .offset:         24
        .size:           4
        .value_kind:     by_value
      - .offset:         28
        .size:           4
        .value_kind:     by_value
      - .actual_access:  read_only
        .address_space:  global
        .offset:         32
        .size:           8
        .value_kind:     global_buffer
      - .actual_access:  read_only
        .address_space:  global
        .offset:         40
        .size:           8
        .value_kind:     global_buffer
      - .actual_access:  read_only
        .address_space:  global
        .offset:         48
        .size:           8
        .value_kind:     global_buffer
      - .offset:         56
        .size:           4
        .value_kind:     by_value
      - .actual_access:  write_only
        .address_space:  global
        .offset:         64
        .size:           8
        .value_kind:     global_buffer
      - .actual_access:  read_only
        .address_space:  global
        .offset:         72
        .size:           8
        .value_kind:     global_buffer
      - .actual_access:  write_only
        .address_space:  global
        .offset:         80
        .size:           8
        .value_kind:     global_buffer
    .group_segment_fixed_size: 2056
    .kernarg_segment_align: 8
    .kernarg_segment_size: 88
    .language:       OpenCL C
    .language_version:
      - 2
      - 0
    .max_flat_workgroup_size: 256
    .name:           _ZN9rocsparseL44csr2gebsr_wavefront_per_row_multipass_kernelILi256ELi4ELi8ELi32EdEEv20rocsparse_direction_iiiiii21rocsparse_index_base_PKT3_PKiS7_S2_PS3_PiS9_
    .private_segment_fixed_size: 0
    .sgpr_count:     32
    .sgpr_spill_count: 0
    .symbol:         _ZN9rocsparseL44csr2gebsr_wavefront_per_row_multipass_kernelILi256ELi4ELi8ELi32EdEEv20rocsparse_direction_iiiiii21rocsparse_index_base_PKT3_PKiS7_S2_PS3_PiS9_.kd
    .uniform_work_group_size: 1
    .uses_dynamic_stack: false
    .vgpr_count:     30
    .vgpr_spill_count: 0
    .wavefront_size: 64
  - .agpr_count:     0
    .args:
      - .offset:         0
        .size:           4
        .value_kind:     by_value
      - .offset:         4
        .size:           4
        .value_kind:     by_value
      - .offset:         8
        .size:           4
        .value_kind:     by_value
      - .offset:         12
        .size:           4
        .value_kind:     by_value
      - .offset:         16
        .size:           4
        .value_kind:     by_value
      - .offset:         20
        .size:           4
        .value_kind:     by_value
      - .offset:         24
        .size:           4
        .value_kind:     by_value
      - .offset:         28
        .size:           4
        .value_kind:     by_value
      - .actual_access:  read_only
        .address_space:  global
        .offset:         32
        .size:           8
        .value_kind:     global_buffer
      - .actual_access:  read_only
        .address_space:  global
        .offset:         40
        .size:           8
        .value_kind:     global_buffer
      - .actual_access:  read_only
        .address_space:  global
        .offset:         48
        .size:           8
        .value_kind:     global_buffer
      - .offset:         56
        .size:           4
        .value_kind:     by_value
      - .actual_access:  write_only
        .address_space:  global
        .offset:         64
        .size:           8
        .value_kind:     global_buffer
      - .actual_access:  read_only
        .address_space:  global
        .offset:         72
        .size:           8
        .value_kind:     global_buffer
      - .actual_access:  write_only
        .address_space:  global
        .offset:         80
        .size:           8
        .value_kind:     global_buffer
    .group_segment_fixed_size: 2056
    .kernarg_segment_align: 8
    .kernarg_segment_size: 88
    .language:       OpenCL C
    .language_version:
      - 2
      - 0
    .max_flat_workgroup_size: 256
    .name:           _ZN9rocsparseL44csr2gebsr_wavefront_per_row_multipass_kernelILi256ELi4ELi16ELi64EdEEv20rocsparse_direction_iiiiii21rocsparse_index_base_PKT3_PKiS7_S2_PS3_PiS9_
    .private_segment_fixed_size: 0
    .sgpr_count:     34
    .sgpr_spill_count: 0
    .symbol:         _ZN9rocsparseL44csr2gebsr_wavefront_per_row_multipass_kernelILi256ELi4ELi16ELi64EdEEv20rocsparse_direction_iiiiii21rocsparse_index_base_PKT3_PKiS7_S2_PS3_PiS9_.kd
    .uniform_work_group_size: 1
    .uses_dynamic_stack: false
    .vgpr_count:     30
    .vgpr_spill_count: 0
    .wavefront_size: 64
  - .agpr_count:     0
    .args:
      - .offset:         0
        .size:           4
        .value_kind:     by_value
      - .offset:         4
        .size:           4
        .value_kind:     by_value
      - .offset:         8
        .size:           4
        .value_kind:     by_value
      - .offset:         12
        .size:           4
        .value_kind:     by_value
      - .offset:         16
        .size:           4
        .value_kind:     by_value
      - .offset:         20
        .size:           4
        .value_kind:     by_value
      - .offset:         24
        .size:           4
        .value_kind:     by_value
      - .offset:         28
        .size:           4
        .value_kind:     by_value
      - .actual_access:  read_only
        .address_space:  global
        .offset:         32
        .size:           8
        .value_kind:     global_buffer
      - .actual_access:  read_only
        .address_space:  global
        .offset:         40
        .size:           8
        .value_kind:     global_buffer
      - .actual_access:  read_only
        .address_space:  global
        .offset:         48
        .size:           8
        .value_kind:     global_buffer
      - .offset:         56
        .size:           4
        .value_kind:     by_value
      - .actual_access:  write_only
        .address_space:  global
        .offset:         64
        .size:           8
        .value_kind:     global_buffer
      - .actual_access:  read_only
        .address_space:  global
        .offset:         72
        .size:           8
        .value_kind:     global_buffer
      - .actual_access:  write_only
        .address_space:  global
        .offset:         80
        .size:           8
        .value_kind:     global_buffer
    .group_segment_fixed_size: 4104
    .kernarg_segment_align: 8
    .kernarg_segment_size: 88
    .language:       OpenCL C
    .language_version:
      - 2
      - 0
    .max_flat_workgroup_size: 256
    .name:           _ZN9rocsparseL44csr2gebsr_wavefront_per_row_multipass_kernelILi256ELi4ELi16ELi32EdEEv20rocsparse_direction_iiiiii21rocsparse_index_base_PKT3_PKiS7_S2_PS3_PiS9_
    .private_segment_fixed_size: 0
    .sgpr_count:     38
    .sgpr_spill_count: 0
    .symbol:         _ZN9rocsparseL44csr2gebsr_wavefront_per_row_multipass_kernelILi256ELi4ELi16ELi32EdEEv20rocsparse_direction_iiiiii21rocsparse_index_base_PKT3_PKiS7_S2_PS3_PiS9_.kd
    .uniform_work_group_size: 1
    .uses_dynamic_stack: false
    .vgpr_count:     36
    .vgpr_spill_count: 0
    .wavefront_size: 64
  - .agpr_count:     0
    .args:
      - .offset:         0
        .size:           4
        .value_kind:     by_value
      - .offset:         4
        .size:           4
        .value_kind:     by_value
      - .offset:         8
        .size:           4
        .value_kind:     by_value
      - .offset:         12
        .size:           4
        .value_kind:     by_value
      - .offset:         16
        .size:           4
        .value_kind:     by_value
      - .offset:         20
        .size:           4
        .value_kind:     by_value
      - .offset:         24
        .size:           4
        .value_kind:     by_value
      - .offset:         28
        .size:           4
        .value_kind:     by_value
      - .actual_access:  read_only
        .address_space:  global
        .offset:         32
        .size:           8
        .value_kind:     global_buffer
      - .actual_access:  read_only
        .address_space:  global
        .offset:         40
        .size:           8
        .value_kind:     global_buffer
      - .actual_access:  read_only
        .address_space:  global
        .offset:         48
        .size:           8
        .value_kind:     global_buffer
      - .offset:         56
        .size:           4
        .value_kind:     by_value
      - .actual_access:  write_only
        .address_space:  global
        .offset:         64
        .size:           8
        .value_kind:     global_buffer
      - .actual_access:  read_only
        .address_space:  global
        .offset:         72
        .size:           8
        .value_kind:     global_buffer
      - .actual_access:  write_only
        .address_space:  global
        .offset:         80
        .size:           8
        .value_kind:     global_buffer
    .group_segment_fixed_size: 4104
    .kernarg_segment_align: 8
    .kernarg_segment_size: 88
    .language:       OpenCL C
    .language_version:
      - 2
      - 0
    .max_flat_workgroup_size: 256
    .name:           _ZN9rocsparseL44csr2gebsr_wavefront_per_row_multipass_kernelILi256ELi4ELi32ELi64EdEEv20rocsparse_direction_iiiiii21rocsparse_index_base_PKT3_PKiS7_S2_PS3_PiS9_
    .private_segment_fixed_size: 0
    .sgpr_count:     42
    .sgpr_spill_count: 0
    .symbol:         _ZN9rocsparseL44csr2gebsr_wavefront_per_row_multipass_kernelILi256ELi4ELi32ELi64EdEEv20rocsparse_direction_iiiiii21rocsparse_index_base_PKT3_PKiS7_S2_PS3_PiS9_.kd
    .uniform_work_group_size: 1
    .uses_dynamic_stack: false
    .vgpr_count:     36
    .vgpr_spill_count: 0
    .wavefront_size: 64
  - .agpr_count:     0
    .args:
      - .offset:         0
        .size:           4
        .value_kind:     by_value
      - .offset:         4
        .size:           4
        .value_kind:     by_value
      - .offset:         8
        .size:           4
        .value_kind:     by_value
      - .offset:         12
        .size:           4
        .value_kind:     by_value
      - .offset:         16
        .size:           4
        .value_kind:     by_value
      - .offset:         20
        .size:           4
        .value_kind:     by_value
      - .offset:         24
        .size:           4
        .value_kind:     by_value
      - .offset:         28
        .size:           4
        .value_kind:     by_value
      - .actual_access:  read_only
        .address_space:  global
        .offset:         32
        .size:           8
        .value_kind:     global_buffer
      - .actual_access:  read_only
        .address_space:  global
        .offset:         40
        .size:           8
        .value_kind:     global_buffer
      - .actual_access:  read_only
        .address_space:  global
        .offset:         48
        .size:           8
        .value_kind:     global_buffer
      - .offset:         56
        .size:           4
        .value_kind:     by_value
      - .actual_access:  write_only
        .address_space:  global
        .offset:         64
        .size:           8
        .value_kind:     global_buffer
      - .actual_access:  read_only
        .address_space:  global
        .offset:         72
        .size:           8
        .value_kind:     global_buffer
      - .actual_access:  write_only
        .address_space:  global
        .offset:         80
        .size:           8
        .value_kind:     global_buffer
    .group_segment_fixed_size: 8200
    .kernarg_segment_align: 8
    .kernarg_segment_size: 88
    .language:       OpenCL C
    .language_version:
      - 2
      - 0
    .max_flat_workgroup_size: 256
    .name:           _ZN9rocsparseL44csr2gebsr_wavefront_per_row_multipass_kernelILi256ELi4ELi32ELi32EdEEv20rocsparse_direction_iiiiii21rocsparse_index_base_PKT3_PKiS7_S2_PS3_PiS9_
    .private_segment_fixed_size: 0
    .sgpr_count:     41
    .sgpr_spill_count: 0
    .symbol:         _ZN9rocsparseL44csr2gebsr_wavefront_per_row_multipass_kernelILi256ELi4ELi32ELi32EdEEv20rocsparse_direction_iiiiii21rocsparse_index_base_PKT3_PKiS7_S2_PS3_PiS9_.kd
    .uniform_work_group_size: 1
    .uses_dynamic_stack: false
    .vgpr_count:     40
    .vgpr_spill_count: 0
    .wavefront_size: 64
  - .agpr_count:     0
    .args:
      - .offset:         0
        .size:           4
        .value_kind:     by_value
      - .offset:         4
        .size:           4
        .value_kind:     by_value
      - .offset:         8
        .size:           4
        .value_kind:     by_value
      - .offset:         12
        .size:           4
        .value_kind:     by_value
      - .offset:         16
        .size:           4
        .value_kind:     by_value
      - .offset:         20
        .size:           4
        .value_kind:     by_value
      - .offset:         24
        .size:           4
        .value_kind:     by_value
      - .offset:         28
        .size:           4
        .value_kind:     by_value
      - .actual_access:  read_only
        .address_space:  global
        .offset:         32
        .size:           8
        .value_kind:     global_buffer
      - .actual_access:  read_only
        .address_space:  global
        .offset:         40
        .size:           8
        .value_kind:     global_buffer
      - .actual_access:  read_only
        .address_space:  global
        .offset:         48
        .size:           8
        .value_kind:     global_buffer
      - .offset:         56
        .size:           4
        .value_kind:     by_value
      - .actual_access:  write_only
        .address_space:  global
        .offset:         64
        .size:           8
        .value_kind:     global_buffer
      - .actual_access:  read_only
        .address_space:  global
        .offset:         72
        .size:           8
        .value_kind:     global_buffer
      - .actual_access:  write_only
        .address_space:  global
        .offset:         80
        .size:           8
        .value_kind:     global_buffer
    .group_segment_fixed_size: 8200
    .kernarg_segment_align: 8
    .kernarg_segment_size: 88
    .language:       OpenCL C
    .language_version:
      - 2
      - 0
    .max_flat_workgroup_size: 256
    .name:           _ZN9rocsparseL44csr2gebsr_wavefront_per_row_multipass_kernelILi256ELi4ELi64ELi64EdEEv20rocsparse_direction_iiiiii21rocsparse_index_base_PKT3_PKiS7_S2_PS3_PiS9_
    .private_segment_fixed_size: 0
    .sgpr_count:     43
    .sgpr_spill_count: 0
    .symbol:         _ZN9rocsparseL44csr2gebsr_wavefront_per_row_multipass_kernelILi256ELi4ELi64ELi64EdEEv20rocsparse_direction_iiiiii21rocsparse_index_base_PKT3_PKiS7_S2_PS3_PiS9_.kd
    .uniform_work_group_size: 1
    .uses_dynamic_stack: false
    .vgpr_count:     40
    .vgpr_spill_count: 0
    .wavefront_size: 64
  - .agpr_count:     0
    .args:
      - .offset:         0
        .size:           4
        .value_kind:     by_value
      - .offset:         4
        .size:           4
        .value_kind:     by_value
      - .offset:         8
        .size:           4
        .value_kind:     by_value
      - .offset:         12
        .size:           4
        .value_kind:     by_value
      - .offset:         16
        .size:           4
        .value_kind:     by_value
      - .offset:         20
        .size:           4
        .value_kind:     by_value
      - .offset:         24
        .size:           4
        .value_kind:     by_value
      - .offset:         28
        .size:           4
        .value_kind:     by_value
      - .actual_access:  read_only
        .address_space:  global
        .offset:         32
        .size:           8
        .value_kind:     global_buffer
      - .actual_access:  read_only
        .address_space:  global
        .offset:         40
        .size:           8
        .value_kind:     global_buffer
      - .actual_access:  read_only
        .address_space:  global
        .offset:         48
        .size:           8
        .value_kind:     global_buffer
      - .offset:         56
        .size:           4
        .value_kind:     by_value
      - .actual_access:  write_only
        .address_space:  global
        .offset:         64
        .size:           8
        .value_kind:     global_buffer
      - .actual_access:  read_only
        .address_space:  global
        .offset:         72
        .size:           8
        .value_kind:     global_buffer
      - .actual_access:  write_only
        .address_space:  global
        .offset:         80
        .size:           8
        .value_kind:     global_buffer
    .group_segment_fixed_size: 16392
    .kernarg_segment_align: 8
    .kernarg_segment_size: 88
    .language:       OpenCL C
    .language_version:
      - 2
      - 0
    .max_flat_workgroup_size: 256
    .name:           _ZN9rocsparseL44csr2gebsr_wavefront_per_row_multipass_kernelILi256ELi4ELi64ELi32EdEEv20rocsparse_direction_iiiiii21rocsparse_index_base_PKT3_PKiS7_S2_PS3_PiS9_
    .private_segment_fixed_size: 0
    .sgpr_count:     52
    .sgpr_spill_count: 0
    .symbol:         _ZN9rocsparseL44csr2gebsr_wavefront_per_row_multipass_kernelILi256ELi4ELi64ELi32EdEEv20rocsparse_direction_iiiiii21rocsparse_index_base_PKT3_PKiS7_S2_PS3_PiS9_.kd
    .uniform_work_group_size: 1
    .uses_dynamic_stack: false
    .vgpr_count:     49
    .vgpr_spill_count: 0
    .wavefront_size: 64
  - .agpr_count:     0
    .args:
      - .offset:         0
        .size:           4
        .value_kind:     by_value
      - .offset:         4
        .size:           4
        .value_kind:     by_value
      - .offset:         8
        .size:           4
        .value_kind:     by_value
      - .offset:         12
        .size:           4
        .value_kind:     by_value
      - .offset:         16
        .size:           4
        .value_kind:     by_value
      - .offset:         20
        .size:           4
        .value_kind:     by_value
      - .offset:         24
        .size:           4
        .value_kind:     by_value
      - .offset:         28
        .size:           4
        .value_kind:     by_value
      - .actual_access:  read_only
        .address_space:  global
        .offset:         32
        .size:           8
        .value_kind:     global_buffer
      - .actual_access:  read_only
        .address_space:  global
        .offset:         40
        .size:           8
        .value_kind:     global_buffer
      - .actual_access:  read_only
        .address_space:  global
        .offset:         48
        .size:           8
        .value_kind:     global_buffer
      - .offset:         56
        .size:           4
        .value_kind:     by_value
      - .actual_access:  write_only
        .address_space:  global
        .offset:         64
        .size:           8
        .value_kind:     global_buffer
      - .actual_access:  read_only
        .address_space:  global
        .offset:         72
        .size:           8
        .value_kind:     global_buffer
      - .actual_access:  write_only
        .address_space:  global
        .offset:         80
        .size:           8
        .value_kind:     global_buffer
    .group_segment_fixed_size: 2064
    .kernarg_segment_align: 8
    .kernarg_segment_size: 88
    .language:       OpenCL C
    .language_version:
      - 2
      - 0
    .max_flat_workgroup_size: 256
    .name:           _ZN9rocsparseL44csr2gebsr_wavefront_per_row_multipass_kernelILi256ELi8ELi2ELi16EdEEv20rocsparse_direction_iiiiii21rocsparse_index_base_PKT3_PKiS7_S2_PS3_PiS9_
    .private_segment_fixed_size: 0
    .sgpr_count:     32
    .sgpr_spill_count: 0
    .symbol:         _ZN9rocsparseL44csr2gebsr_wavefront_per_row_multipass_kernelILi256ELi8ELi2ELi16EdEEv20rocsparse_direction_iiiiii21rocsparse_index_base_PKT3_PKiS7_S2_PS3_PiS9_.kd
    .uniform_work_group_size: 1
    .uses_dynamic_stack: false
    .vgpr_count:     30
    .vgpr_spill_count: 0
    .wavefront_size: 64
  - .agpr_count:     0
    .args:
      - .offset:         0
        .size:           4
        .value_kind:     by_value
      - .offset:         4
        .size:           4
        .value_kind:     by_value
      - .offset:         8
        .size:           4
        .value_kind:     by_value
      - .offset:         12
        .size:           4
        .value_kind:     by_value
      - .offset:         16
        .size:           4
        .value_kind:     by_value
      - .offset:         20
        .size:           4
        .value_kind:     by_value
      - .offset:         24
        .size:           4
        .value_kind:     by_value
      - .offset:         28
        .size:           4
        .value_kind:     by_value
      - .actual_access:  read_only
        .address_space:  global
        .offset:         32
        .size:           8
        .value_kind:     global_buffer
      - .actual_access:  read_only
        .address_space:  global
        .offset:         40
        .size:           8
        .value_kind:     global_buffer
      - .actual_access:  read_only
        .address_space:  global
        .offset:         48
        .size:           8
        .value_kind:     global_buffer
      - .offset:         56
        .size:           4
        .value_kind:     by_value
      - .actual_access:  write_only
        .address_space:  global
        .offset:         64
        .size:           8
        .value_kind:     global_buffer
      - .actual_access:  read_only
        .address_space:  global
        .offset:         72
        .size:           8
        .value_kind:     global_buffer
      - .actual_access:  write_only
        .address_space:  global
        .offset:         80
        .size:           8
        .value_kind:     global_buffer
    .group_segment_fixed_size: 2056
    .kernarg_segment_align: 8
    .kernarg_segment_size: 88
    .language:       OpenCL C
    .language_version:
      - 2
      - 0
    .max_flat_workgroup_size: 256
    .name:           _ZN9rocsparseL44csr2gebsr_wavefront_per_row_multipass_kernelILi256ELi8ELi4ELi32EdEEv20rocsparse_direction_iiiiii21rocsparse_index_base_PKT3_PKiS7_S2_PS3_PiS9_
    .private_segment_fixed_size: 0
    .sgpr_count:     32
    .sgpr_spill_count: 0
    .symbol:         _ZN9rocsparseL44csr2gebsr_wavefront_per_row_multipass_kernelILi256ELi8ELi4ELi32EdEEv20rocsparse_direction_iiiiii21rocsparse_index_base_PKT3_PKiS7_S2_PS3_PiS9_.kd
    .uniform_work_group_size: 1
    .uses_dynamic_stack: false
    .vgpr_count:     30
    .vgpr_spill_count: 0
    .wavefront_size: 64
  - .agpr_count:     0
    .args:
      - .offset:         0
        .size:           4
        .value_kind:     by_value
      - .offset:         4
        .size:           4
        .value_kind:     by_value
      - .offset:         8
        .size:           4
        .value_kind:     by_value
      - .offset:         12
        .size:           4
        .value_kind:     by_value
      - .offset:         16
        .size:           4
        .value_kind:     by_value
      - .offset:         20
        .size:           4
        .value_kind:     by_value
      - .offset:         24
        .size:           4
        .value_kind:     by_value
      - .offset:         28
        .size:           4
        .value_kind:     by_value
      - .actual_access:  read_only
        .address_space:  global
        .offset:         32
        .size:           8
        .value_kind:     global_buffer
      - .actual_access:  read_only
        .address_space:  global
        .offset:         40
        .size:           8
        .value_kind:     global_buffer
      - .actual_access:  read_only
        .address_space:  global
        .offset:         48
        .size:           8
        .value_kind:     global_buffer
      - .offset:         56
        .size:           4
        .value_kind:     by_value
      - .actual_access:  write_only
        .address_space:  global
        .offset:         64
        .size:           8
        .value_kind:     global_buffer
      - .actual_access:  read_only
        .address_space:  global
        .offset:         72
        .size:           8
        .value_kind:     global_buffer
      - .actual_access:  write_only
        .address_space:  global
        .offset:         80
        .size:           8
        .value_kind:     global_buffer
    .group_segment_fixed_size: 2056
    .kernarg_segment_align: 8
    .kernarg_segment_size: 88
    .language:       OpenCL C
    .language_version:
      - 2
      - 0
    .max_flat_workgroup_size: 256
    .name:           _ZN9rocsparseL44csr2gebsr_wavefront_per_row_multipass_kernelILi256ELi8ELi8ELi64EdEEv20rocsparse_direction_iiiiii21rocsparse_index_base_PKT3_PKiS7_S2_PS3_PiS9_
    .private_segment_fixed_size: 0
    .sgpr_count:     32
    .sgpr_spill_count: 0
    .symbol:         _ZN9rocsparseL44csr2gebsr_wavefront_per_row_multipass_kernelILi256ELi8ELi8ELi64EdEEv20rocsparse_direction_iiiiii21rocsparse_index_base_PKT3_PKiS7_S2_PS3_PiS9_.kd
    .uniform_work_group_size: 1
    .uses_dynamic_stack: false
    .vgpr_count:     30
    .vgpr_spill_count: 0
    .wavefront_size: 64
  - .agpr_count:     0
    .args:
      - .offset:         0
        .size:           4
        .value_kind:     by_value
      - .offset:         4
        .size:           4
        .value_kind:     by_value
      - .offset:         8
        .size:           4
        .value_kind:     by_value
      - .offset:         12
        .size:           4
        .value_kind:     by_value
      - .offset:         16
        .size:           4
        .value_kind:     by_value
      - .offset:         20
        .size:           4
        .value_kind:     by_value
      - .offset:         24
        .size:           4
        .value_kind:     by_value
      - .offset:         28
        .size:           4
        .value_kind:     by_value
      - .actual_access:  read_only
        .address_space:  global
        .offset:         32
        .size:           8
        .value_kind:     global_buffer
      - .actual_access:  read_only
        .address_space:  global
        .offset:         40
        .size:           8
        .value_kind:     global_buffer
      - .actual_access:  read_only
        .address_space:  global
        .offset:         48
        .size:           8
        .value_kind:     global_buffer
      - .offset:         56
        .size:           4
        .value_kind:     by_value
      - .actual_access:  write_only
        .address_space:  global
        .offset:         64
        .size:           8
        .value_kind:     global_buffer
      - .actual_access:  read_only
        .address_space:  global
        .offset:         72
        .size:           8
        .value_kind:     global_buffer
      - .actual_access:  write_only
        .address_space:  global
        .offset:         80
        .size:           8
        .value_kind:     global_buffer
    .group_segment_fixed_size: 4104
    .kernarg_segment_align: 8
    .kernarg_segment_size: 88
    .language:       OpenCL C
    .language_version:
      - 2
      - 0
    .max_flat_workgroup_size: 256
    .name:           _ZN9rocsparseL44csr2gebsr_wavefront_per_row_multipass_kernelILi256ELi8ELi8ELi32EdEEv20rocsparse_direction_iiiiii21rocsparse_index_base_PKT3_PKiS7_S2_PS3_PiS9_
    .private_segment_fixed_size: 0
    .sgpr_count:     38
    .sgpr_spill_count: 0
    .symbol:         _ZN9rocsparseL44csr2gebsr_wavefront_per_row_multipass_kernelILi256ELi8ELi8ELi32EdEEv20rocsparse_direction_iiiiii21rocsparse_index_base_PKT3_PKiS7_S2_PS3_PiS9_.kd
    .uniform_work_group_size: 1
    .uses_dynamic_stack: false
    .vgpr_count:     36
    .vgpr_spill_count: 0
    .wavefront_size: 64
  - .agpr_count:     0
    .args:
      - .offset:         0
        .size:           4
        .value_kind:     by_value
      - .offset:         4
        .size:           4
        .value_kind:     by_value
      - .offset:         8
        .size:           4
        .value_kind:     by_value
      - .offset:         12
        .size:           4
        .value_kind:     by_value
      - .offset:         16
        .size:           4
        .value_kind:     by_value
      - .offset:         20
        .size:           4
        .value_kind:     by_value
      - .offset:         24
        .size:           4
        .value_kind:     by_value
      - .offset:         28
        .size:           4
        .value_kind:     by_value
      - .actual_access:  read_only
        .address_space:  global
        .offset:         32
        .size:           8
        .value_kind:     global_buffer
      - .actual_access:  read_only
        .address_space:  global
        .offset:         40
        .size:           8
        .value_kind:     global_buffer
      - .actual_access:  read_only
        .address_space:  global
        .offset:         48
        .size:           8
        .value_kind:     global_buffer
      - .offset:         56
        .size:           4
        .value_kind:     by_value
      - .actual_access:  write_only
        .address_space:  global
        .offset:         64
        .size:           8
        .value_kind:     global_buffer
      - .actual_access:  read_only
        .address_space:  global
        .offset:         72
        .size:           8
        .value_kind:     global_buffer
      - .actual_access:  write_only
        .address_space:  global
        .offset:         80
        .size:           8
        .value_kind:     global_buffer
    .group_segment_fixed_size: 4104
    .kernarg_segment_align: 8
    .kernarg_segment_size: 88
    .language:       OpenCL C
    .language_version:
      - 2
      - 0
    .max_flat_workgroup_size: 256
    .name:           _ZN9rocsparseL44csr2gebsr_wavefront_per_row_multipass_kernelILi256ELi8ELi16ELi64EdEEv20rocsparse_direction_iiiiii21rocsparse_index_base_PKT3_PKiS7_S2_PS3_PiS9_
    .private_segment_fixed_size: 0
    .sgpr_count:     38
    .sgpr_spill_count: 0
    .symbol:         _ZN9rocsparseL44csr2gebsr_wavefront_per_row_multipass_kernelILi256ELi8ELi16ELi64EdEEv20rocsparse_direction_iiiiii21rocsparse_index_base_PKT3_PKiS7_S2_PS3_PiS9_.kd
    .uniform_work_group_size: 1
    .uses_dynamic_stack: false
    .vgpr_count:     36
    .vgpr_spill_count: 0
    .wavefront_size: 64
  - .agpr_count:     0
    .args:
      - .offset:         0
        .size:           4
        .value_kind:     by_value
      - .offset:         4
        .size:           4
        .value_kind:     by_value
      - .offset:         8
        .size:           4
        .value_kind:     by_value
      - .offset:         12
        .size:           4
        .value_kind:     by_value
      - .offset:         16
        .size:           4
        .value_kind:     by_value
      - .offset:         20
        .size:           4
        .value_kind:     by_value
      - .offset:         24
        .size:           4
        .value_kind:     by_value
      - .offset:         28
        .size:           4
        .value_kind:     by_value
      - .actual_access:  read_only
        .address_space:  global
        .offset:         32
        .size:           8
        .value_kind:     global_buffer
      - .actual_access:  read_only
        .address_space:  global
        .offset:         40
        .size:           8
        .value_kind:     global_buffer
      - .actual_access:  read_only
        .address_space:  global
        .offset:         48
        .size:           8
        .value_kind:     global_buffer
      - .offset:         56
        .size:           4
        .value_kind:     by_value
      - .actual_access:  write_only
        .address_space:  global
        .offset:         64
        .size:           8
        .value_kind:     global_buffer
      - .actual_access:  read_only
        .address_space:  global
        .offset:         72
        .size:           8
        .value_kind:     global_buffer
      - .actual_access:  write_only
        .address_space:  global
        .offset:         80
        .size:           8
        .value_kind:     global_buffer
    .group_segment_fixed_size: 8200
    .kernarg_segment_align: 8
    .kernarg_segment_size: 88
    .language:       OpenCL C
    .language_version:
      - 2
      - 0
    .max_flat_workgroup_size: 256
    .name:           _ZN9rocsparseL44csr2gebsr_wavefront_per_row_multipass_kernelILi256ELi8ELi16ELi32EdEEv20rocsparse_direction_iiiiii21rocsparse_index_base_PKT3_PKiS7_S2_PS3_PiS9_
    .private_segment_fixed_size: 0
    .sgpr_count:     41
    .sgpr_spill_count: 0
    .symbol:         _ZN9rocsparseL44csr2gebsr_wavefront_per_row_multipass_kernelILi256ELi8ELi16ELi32EdEEv20rocsparse_direction_iiiiii21rocsparse_index_base_PKT3_PKiS7_S2_PS3_PiS9_.kd
    .uniform_work_group_size: 1
    .uses_dynamic_stack: false
    .vgpr_count:     40
    .vgpr_spill_count: 0
    .wavefront_size: 64
  - .agpr_count:     0
    .args:
      - .offset:         0
        .size:           4
        .value_kind:     by_value
      - .offset:         4
        .size:           4
        .value_kind:     by_value
      - .offset:         8
        .size:           4
        .value_kind:     by_value
      - .offset:         12
        .size:           4
        .value_kind:     by_value
      - .offset:         16
        .size:           4
        .value_kind:     by_value
      - .offset:         20
        .size:           4
        .value_kind:     by_value
      - .offset:         24
        .size:           4
        .value_kind:     by_value
      - .offset:         28
        .size:           4
        .value_kind:     by_value
      - .actual_access:  read_only
        .address_space:  global
        .offset:         32
        .size:           8
        .value_kind:     global_buffer
      - .actual_access:  read_only
        .address_space:  global
        .offset:         40
        .size:           8
        .value_kind:     global_buffer
      - .actual_access:  read_only
        .address_space:  global
        .offset:         48
        .size:           8
        .value_kind:     global_buffer
      - .offset:         56
        .size:           4
        .value_kind:     by_value
      - .actual_access:  write_only
        .address_space:  global
        .offset:         64
        .size:           8
        .value_kind:     global_buffer
      - .actual_access:  read_only
        .address_space:  global
        .offset:         72
        .size:           8
        .value_kind:     global_buffer
      - .actual_access:  write_only
        .address_space:  global
        .offset:         80
        .size:           8
        .value_kind:     global_buffer
    .group_segment_fixed_size: 8200
    .kernarg_segment_align: 8
    .kernarg_segment_size: 88
    .language:       OpenCL C
    .language_version:
      - 2
      - 0
    .max_flat_workgroup_size: 256
    .name:           _ZN9rocsparseL44csr2gebsr_wavefront_per_row_multipass_kernelILi256ELi8ELi32ELi64EdEEv20rocsparse_direction_iiiiii21rocsparse_index_base_PKT3_PKiS7_S2_PS3_PiS9_
    .private_segment_fixed_size: 0
    .sgpr_count:     41
    .sgpr_spill_count: 0
    .symbol:         _ZN9rocsparseL44csr2gebsr_wavefront_per_row_multipass_kernelILi256ELi8ELi32ELi64EdEEv20rocsparse_direction_iiiiii21rocsparse_index_base_PKT3_PKiS7_S2_PS3_PiS9_.kd
    .uniform_work_group_size: 1
    .uses_dynamic_stack: false
    .vgpr_count:     40
    .vgpr_spill_count: 0
    .wavefront_size: 64
  - .agpr_count:     0
    .args:
      - .offset:         0
        .size:           4
        .value_kind:     by_value
      - .offset:         4
        .size:           4
        .value_kind:     by_value
      - .offset:         8
        .size:           4
        .value_kind:     by_value
      - .offset:         12
        .size:           4
        .value_kind:     by_value
      - .offset:         16
        .size:           4
        .value_kind:     by_value
      - .offset:         20
        .size:           4
        .value_kind:     by_value
      - .offset:         24
        .size:           4
        .value_kind:     by_value
      - .offset:         28
        .size:           4
        .value_kind:     by_value
      - .actual_access:  read_only
        .address_space:  global
        .offset:         32
        .size:           8
        .value_kind:     global_buffer
      - .actual_access:  read_only
        .address_space:  global
        .offset:         40
        .size:           8
        .value_kind:     global_buffer
      - .actual_access:  read_only
        .address_space:  global
        .offset:         48
        .size:           8
        .value_kind:     global_buffer
      - .offset:         56
        .size:           4
        .value_kind:     by_value
      - .actual_access:  write_only
        .address_space:  global
        .offset:         64
        .size:           8
        .value_kind:     global_buffer
      - .actual_access:  read_only
        .address_space:  global
        .offset:         72
        .size:           8
        .value_kind:     global_buffer
      - .actual_access:  write_only
        .address_space:  global
        .offset:         80
        .size:           8
        .value_kind:     global_buffer
    .group_segment_fixed_size: 16392
    .kernarg_segment_align: 8
    .kernarg_segment_size: 88
    .language:       OpenCL C
    .language_version:
      - 2
      - 0
    .max_flat_workgroup_size: 256
    .name:           _ZN9rocsparseL44csr2gebsr_wavefront_per_row_multipass_kernelILi256ELi8ELi32ELi32EdEEv20rocsparse_direction_iiiiii21rocsparse_index_base_PKT3_PKiS7_S2_PS3_PiS9_
    .private_segment_fixed_size: 0
    .sgpr_count:     52
    .sgpr_spill_count: 0
    .symbol:         _ZN9rocsparseL44csr2gebsr_wavefront_per_row_multipass_kernelILi256ELi8ELi32ELi32EdEEv20rocsparse_direction_iiiiii21rocsparse_index_base_PKT3_PKiS7_S2_PS3_PiS9_.kd
    .uniform_work_group_size: 1
    .uses_dynamic_stack: false
    .vgpr_count:     49
    .vgpr_spill_count: 0
    .wavefront_size: 64
  - .agpr_count:     0
    .args:
      - .offset:         0
        .size:           4
        .value_kind:     by_value
      - .offset:         4
        .size:           4
        .value_kind:     by_value
      - .offset:         8
        .size:           4
        .value_kind:     by_value
      - .offset:         12
        .size:           4
        .value_kind:     by_value
      - .offset:         16
        .size:           4
        .value_kind:     by_value
      - .offset:         20
        .size:           4
        .value_kind:     by_value
      - .offset:         24
        .size:           4
        .value_kind:     by_value
      - .offset:         28
        .size:           4
        .value_kind:     by_value
      - .actual_access:  read_only
        .address_space:  global
        .offset:         32
        .size:           8
        .value_kind:     global_buffer
      - .actual_access:  read_only
        .address_space:  global
        .offset:         40
        .size:           8
        .value_kind:     global_buffer
      - .actual_access:  read_only
        .address_space:  global
        .offset:         48
        .size:           8
        .value_kind:     global_buffer
      - .offset:         56
        .size:           4
        .value_kind:     by_value
      - .actual_access:  write_only
        .address_space:  global
        .offset:         64
        .size:           8
        .value_kind:     global_buffer
      - .actual_access:  read_only
        .address_space:  global
        .offset:         72
        .size:           8
        .value_kind:     global_buffer
      - .actual_access:  write_only
        .address_space:  global
        .offset:         80
        .size:           8
        .value_kind:     global_buffer
    .group_segment_fixed_size: 16392
    .kernarg_segment_align: 8
    .kernarg_segment_size: 88
    .language:       OpenCL C
    .language_version:
      - 2
      - 0
    .max_flat_workgroup_size: 256
    .name:           _ZN9rocsparseL44csr2gebsr_wavefront_per_row_multipass_kernelILi256ELi8ELi64ELi64EdEEv20rocsparse_direction_iiiiii21rocsparse_index_base_PKT3_PKiS7_S2_PS3_PiS9_
    .private_segment_fixed_size: 0
    .sgpr_count:     52
    .sgpr_spill_count: 0
    .symbol:         _ZN9rocsparseL44csr2gebsr_wavefront_per_row_multipass_kernelILi256ELi8ELi64ELi64EdEEv20rocsparse_direction_iiiiii21rocsparse_index_base_PKT3_PKiS7_S2_PS3_PiS9_.kd
    .uniform_work_group_size: 1
    .uses_dynamic_stack: false
    .vgpr_count:     49
    .vgpr_spill_count: 0
    .wavefront_size: 64
  - .agpr_count:     0
    .args:
      - .offset:         0
        .size:           4
        .value_kind:     by_value
      - .offset:         4
        .size:           4
        .value_kind:     by_value
      - .offset:         8
        .size:           4
        .value_kind:     by_value
      - .offset:         12
        .size:           4
        .value_kind:     by_value
      - .offset:         16
        .size:           4
        .value_kind:     by_value
      - .offset:         20
        .size:           4
        .value_kind:     by_value
      - .offset:         24
        .size:           4
        .value_kind:     by_value
      - .offset:         28
        .size:           4
        .value_kind:     by_value
      - .actual_access:  read_only
        .address_space:  global
        .offset:         32
        .size:           8
        .value_kind:     global_buffer
      - .actual_access:  read_only
        .address_space:  global
        .offset:         40
        .size:           8
        .value_kind:     global_buffer
      - .actual_access:  read_only
        .address_space:  global
        .offset:         48
        .size:           8
        .value_kind:     global_buffer
      - .offset:         56
        .size:           4
        .value_kind:     by_value
      - .actual_access:  write_only
        .address_space:  global
        .offset:         64
        .size:           8
        .value_kind:     global_buffer
      - .actual_access:  read_only
        .address_space:  global
        .offset:         72
        .size:           8
        .value_kind:     global_buffer
      - .actual_access:  write_only
        .address_space:  global
        .offset:         80
        .size:           8
        .value_kind:     global_buffer
    .group_segment_fixed_size: 16392
    .kernarg_segment_align: 8
    .kernarg_segment_size: 88
    .language:       OpenCL C
    .language_version:
      - 2
      - 0
    .max_flat_workgroup_size: 128
    .name:           _ZN9rocsparseL44csr2gebsr_wavefront_per_row_multipass_kernelILi128ELi8ELi64ELi32EdEEv20rocsparse_direction_iiiiii21rocsparse_index_base_PKT3_PKiS7_S2_PS3_PiS9_
    .private_segment_fixed_size: 0
    .sgpr_count:     68
    .sgpr_spill_count: 0
    .symbol:         _ZN9rocsparseL44csr2gebsr_wavefront_per_row_multipass_kernelILi128ELi8ELi64ELi32EdEEv20rocsparse_direction_iiiiii21rocsparse_index_base_PKT3_PKiS7_S2_PS3_PiS9_.kd
    .uniform_work_group_size: 1
    .uses_dynamic_stack: false
    .vgpr_count:     64
    .vgpr_spill_count: 0
    .wavefront_size: 64
  - .agpr_count:     0
    .args:
      - .offset:         0
        .size:           4
        .value_kind:     by_value
      - .offset:         4
        .size:           4
        .value_kind:     by_value
      - .offset:         8
        .size:           4
        .value_kind:     by_value
      - .offset:         12
        .size:           4
        .value_kind:     by_value
      - .offset:         16
        .size:           4
        .value_kind:     by_value
      - .offset:         20
        .size:           4
        .value_kind:     by_value
      - .offset:         24
        .size:           4
        .value_kind:     by_value
      - .offset:         28
        .size:           4
        .value_kind:     by_value
      - .actual_access:  read_only
        .address_space:  global
        .offset:         32
        .size:           8
        .value_kind:     global_buffer
      - .actual_access:  read_only
        .address_space:  global
        .offset:         40
        .size:           8
        .value_kind:     global_buffer
      - .actual_access:  read_only
        .address_space:  global
        .offset:         48
        .size:           8
        .value_kind:     global_buffer
      - .offset:         56
        .size:           4
        .value_kind:     by_value
      - .actual_access:  write_only
        .address_space:  global
        .offset:         64
        .size:           8
        .value_kind:     global_buffer
      - .actual_access:  read_only
        .address_space:  global
        .offset:         72
        .size:           8
        .value_kind:     global_buffer
      - .actual_access:  write_only
        .address_space:  global
        .offset:         80
        .size:           8
        .value_kind:     global_buffer
    .group_segment_fixed_size: 2056
    .kernarg_segment_align: 8
    .kernarg_segment_size: 88
    .language:       OpenCL C
    .language_version:
      - 2
      - 0
    .max_flat_workgroup_size: 256
    .name:           _ZN9rocsparseL44csr2gebsr_wavefront_per_row_multipass_kernelILi256ELi16ELi2ELi32EdEEv20rocsparse_direction_iiiiii21rocsparse_index_base_PKT3_PKiS7_S2_PS3_PiS9_
    .private_segment_fixed_size: 0
    .sgpr_count:     32
    .sgpr_spill_count: 0
    .symbol:         _ZN9rocsparseL44csr2gebsr_wavefront_per_row_multipass_kernelILi256ELi16ELi2ELi32EdEEv20rocsparse_direction_iiiiii21rocsparse_index_base_PKT3_PKiS7_S2_PS3_PiS9_.kd
    .uniform_work_group_size: 1
    .uses_dynamic_stack: false
    .vgpr_count:     30
    .vgpr_spill_count: 0
    .wavefront_size: 64
  - .agpr_count:     0
    .args:
      - .offset:         0
        .size:           4
        .value_kind:     by_value
      - .offset:         4
        .size:           4
        .value_kind:     by_value
      - .offset:         8
        .size:           4
        .value_kind:     by_value
      - .offset:         12
        .size:           4
        .value_kind:     by_value
      - .offset:         16
        .size:           4
        .value_kind:     by_value
      - .offset:         20
        .size:           4
        .value_kind:     by_value
      - .offset:         24
        .size:           4
        .value_kind:     by_value
      - .offset:         28
        .size:           4
        .value_kind:     by_value
      - .actual_access:  read_only
        .address_space:  global
        .offset:         32
        .size:           8
        .value_kind:     global_buffer
      - .actual_access:  read_only
        .address_space:  global
        .offset:         40
        .size:           8
        .value_kind:     global_buffer
      - .actual_access:  read_only
        .address_space:  global
        .offset:         48
        .size:           8
        .value_kind:     global_buffer
      - .offset:         56
        .size:           4
        .value_kind:     by_value
      - .actual_access:  write_only
        .address_space:  global
        .offset:         64
        .size:           8
        .value_kind:     global_buffer
      - .actual_access:  read_only
        .address_space:  global
        .offset:         72
        .size:           8
        .value_kind:     global_buffer
      - .actual_access:  write_only
        .address_space:  global
        .offset:         80
        .size:           8
        .value_kind:     global_buffer
    .group_segment_fixed_size: 2056
    .kernarg_segment_align: 8
    .kernarg_segment_size: 88
    .language:       OpenCL C
    .language_version:
      - 2
      - 0
    .max_flat_workgroup_size: 256
    .name:           _ZN9rocsparseL44csr2gebsr_wavefront_per_row_multipass_kernelILi256ELi16ELi4ELi64EdEEv20rocsparse_direction_iiiiii21rocsparse_index_base_PKT3_PKiS7_S2_PS3_PiS9_
    .private_segment_fixed_size: 0
    .sgpr_count:     32
    .sgpr_spill_count: 0
    .symbol:         _ZN9rocsparseL44csr2gebsr_wavefront_per_row_multipass_kernelILi256ELi16ELi4ELi64EdEEv20rocsparse_direction_iiiiii21rocsparse_index_base_PKT3_PKiS7_S2_PS3_PiS9_.kd
    .uniform_work_group_size: 1
    .uses_dynamic_stack: false
    .vgpr_count:     30
    .vgpr_spill_count: 0
    .wavefront_size: 64
  - .agpr_count:     0
    .args:
      - .offset:         0
        .size:           4
        .value_kind:     by_value
      - .offset:         4
        .size:           4
        .value_kind:     by_value
      - .offset:         8
        .size:           4
        .value_kind:     by_value
      - .offset:         12
        .size:           4
        .value_kind:     by_value
      - .offset:         16
        .size:           4
        .value_kind:     by_value
      - .offset:         20
        .size:           4
        .value_kind:     by_value
      - .offset:         24
        .size:           4
        .value_kind:     by_value
      - .offset:         28
        .size:           4
        .value_kind:     by_value
      - .actual_access:  read_only
        .address_space:  global
        .offset:         32
        .size:           8
        .value_kind:     global_buffer
      - .actual_access:  read_only
        .address_space:  global
        .offset:         40
        .size:           8
        .value_kind:     global_buffer
      - .actual_access:  read_only
        .address_space:  global
        .offset:         48
        .size:           8
        .value_kind:     global_buffer
      - .offset:         56
        .size:           4
        .value_kind:     by_value
      - .actual_access:  write_only
        .address_space:  global
        .offset:         64
        .size:           8
        .value_kind:     global_buffer
      - .actual_access:  read_only
        .address_space:  global
        .offset:         72
        .size:           8
        .value_kind:     global_buffer
      - .actual_access:  write_only
        .address_space:  global
        .offset:         80
        .size:           8
        .value_kind:     global_buffer
    .group_segment_fixed_size: 4104
    .kernarg_segment_align: 8
    .kernarg_segment_size: 88
    .language:       OpenCL C
    .language_version:
      - 2
      - 0
    .max_flat_workgroup_size: 256
    .name:           _ZN9rocsparseL44csr2gebsr_wavefront_per_row_multipass_kernelILi256ELi16ELi4ELi32EdEEv20rocsparse_direction_iiiiii21rocsparse_index_base_PKT3_PKiS7_S2_PS3_PiS9_
    .private_segment_fixed_size: 0
    .sgpr_count:     38
    .sgpr_spill_count: 0
    .symbol:         _ZN9rocsparseL44csr2gebsr_wavefront_per_row_multipass_kernelILi256ELi16ELi4ELi32EdEEv20rocsparse_direction_iiiiii21rocsparse_index_base_PKT3_PKiS7_S2_PS3_PiS9_.kd
    .uniform_work_group_size: 1
    .uses_dynamic_stack: false
    .vgpr_count:     36
    .vgpr_spill_count: 0
    .wavefront_size: 64
  - .agpr_count:     0
    .args:
      - .offset:         0
        .size:           4
        .value_kind:     by_value
      - .offset:         4
        .size:           4
        .value_kind:     by_value
      - .offset:         8
        .size:           4
        .value_kind:     by_value
      - .offset:         12
        .size:           4
        .value_kind:     by_value
      - .offset:         16
        .size:           4
        .value_kind:     by_value
      - .offset:         20
        .size:           4
        .value_kind:     by_value
      - .offset:         24
        .size:           4
        .value_kind:     by_value
      - .offset:         28
        .size:           4
        .value_kind:     by_value
      - .actual_access:  read_only
        .address_space:  global
        .offset:         32
        .size:           8
        .value_kind:     global_buffer
      - .actual_access:  read_only
        .address_space:  global
        .offset:         40
        .size:           8
        .value_kind:     global_buffer
      - .actual_access:  read_only
        .address_space:  global
        .offset:         48
        .size:           8
        .value_kind:     global_buffer
      - .offset:         56
        .size:           4
        .value_kind:     by_value
      - .actual_access:  write_only
        .address_space:  global
        .offset:         64
        .size:           8
        .value_kind:     global_buffer
      - .actual_access:  read_only
        .address_space:  global
        .offset:         72
        .size:           8
        .value_kind:     global_buffer
      - .actual_access:  write_only
        .address_space:  global
        .offset:         80
        .size:           8
        .value_kind:     global_buffer
    .group_segment_fixed_size: 4104
    .kernarg_segment_align: 8
    .kernarg_segment_size: 88
    .language:       OpenCL C
    .language_version:
      - 2
      - 0
    .max_flat_workgroup_size: 256
    .name:           _ZN9rocsparseL44csr2gebsr_wavefront_per_row_multipass_kernelILi256ELi16ELi8ELi64EdEEv20rocsparse_direction_iiiiii21rocsparse_index_base_PKT3_PKiS7_S2_PS3_PiS9_
    .private_segment_fixed_size: 0
    .sgpr_count:     38
    .sgpr_spill_count: 0
    .symbol:         _ZN9rocsparseL44csr2gebsr_wavefront_per_row_multipass_kernelILi256ELi16ELi8ELi64EdEEv20rocsparse_direction_iiiiii21rocsparse_index_base_PKT3_PKiS7_S2_PS3_PiS9_.kd
    .uniform_work_group_size: 1
    .uses_dynamic_stack: false
    .vgpr_count:     36
    .vgpr_spill_count: 0
    .wavefront_size: 64
  - .agpr_count:     0
    .args:
      - .offset:         0
        .size:           4
        .value_kind:     by_value
      - .offset:         4
        .size:           4
        .value_kind:     by_value
      - .offset:         8
        .size:           4
        .value_kind:     by_value
      - .offset:         12
        .size:           4
        .value_kind:     by_value
      - .offset:         16
        .size:           4
        .value_kind:     by_value
      - .offset:         20
        .size:           4
        .value_kind:     by_value
      - .offset:         24
        .size:           4
        .value_kind:     by_value
      - .offset:         28
        .size:           4
        .value_kind:     by_value
      - .actual_access:  read_only
        .address_space:  global
        .offset:         32
        .size:           8
        .value_kind:     global_buffer
      - .actual_access:  read_only
        .address_space:  global
        .offset:         40
        .size:           8
        .value_kind:     global_buffer
      - .actual_access:  read_only
        .address_space:  global
        .offset:         48
        .size:           8
        .value_kind:     global_buffer
      - .offset:         56
        .size:           4
        .value_kind:     by_value
      - .actual_access:  write_only
        .address_space:  global
        .offset:         64
        .size:           8
        .value_kind:     global_buffer
      - .actual_access:  read_only
        .address_space:  global
        .offset:         72
        .size:           8
        .value_kind:     global_buffer
      - .actual_access:  write_only
        .address_space:  global
        .offset:         80
        .size:           8
        .value_kind:     global_buffer
    .group_segment_fixed_size: 8200
    .kernarg_segment_align: 8
    .kernarg_segment_size: 88
    .language:       OpenCL C
    .language_version:
      - 2
      - 0
    .max_flat_workgroup_size: 256
    .name:           _ZN9rocsparseL44csr2gebsr_wavefront_per_row_multipass_kernelILi256ELi16ELi8ELi32EdEEv20rocsparse_direction_iiiiii21rocsparse_index_base_PKT3_PKiS7_S2_PS3_PiS9_
    .private_segment_fixed_size: 0
    .sgpr_count:     41
    .sgpr_spill_count: 0
    .symbol:         _ZN9rocsparseL44csr2gebsr_wavefront_per_row_multipass_kernelILi256ELi16ELi8ELi32EdEEv20rocsparse_direction_iiiiii21rocsparse_index_base_PKT3_PKiS7_S2_PS3_PiS9_.kd
    .uniform_work_group_size: 1
    .uses_dynamic_stack: false
    .vgpr_count:     40
    .vgpr_spill_count: 0
    .wavefront_size: 64
  - .agpr_count:     0
    .args:
      - .offset:         0
        .size:           4
        .value_kind:     by_value
      - .offset:         4
        .size:           4
        .value_kind:     by_value
      - .offset:         8
        .size:           4
        .value_kind:     by_value
      - .offset:         12
        .size:           4
        .value_kind:     by_value
      - .offset:         16
        .size:           4
        .value_kind:     by_value
      - .offset:         20
        .size:           4
        .value_kind:     by_value
      - .offset:         24
        .size:           4
        .value_kind:     by_value
      - .offset:         28
        .size:           4
        .value_kind:     by_value
      - .actual_access:  read_only
        .address_space:  global
        .offset:         32
        .size:           8
        .value_kind:     global_buffer
      - .actual_access:  read_only
        .address_space:  global
        .offset:         40
        .size:           8
        .value_kind:     global_buffer
      - .actual_access:  read_only
        .address_space:  global
        .offset:         48
        .size:           8
        .value_kind:     global_buffer
      - .offset:         56
        .size:           4
        .value_kind:     by_value
      - .actual_access:  write_only
        .address_space:  global
        .offset:         64
        .size:           8
        .value_kind:     global_buffer
      - .actual_access:  read_only
        .address_space:  global
        .offset:         72
        .size:           8
        .value_kind:     global_buffer
      - .actual_access:  write_only
        .address_space:  global
        .offset:         80
        .size:           8
        .value_kind:     global_buffer
    .group_segment_fixed_size: 8200
    .kernarg_segment_align: 8
    .kernarg_segment_size: 88
    .language:       OpenCL C
    .language_version:
      - 2
      - 0
    .max_flat_workgroup_size: 256
    .name:           _ZN9rocsparseL44csr2gebsr_wavefront_per_row_multipass_kernelILi256ELi16ELi16ELi64EdEEv20rocsparse_direction_iiiiii21rocsparse_index_base_PKT3_PKiS7_S2_PS3_PiS9_
    .private_segment_fixed_size: 0
    .sgpr_count:     41
    .sgpr_spill_count: 0
    .symbol:         _ZN9rocsparseL44csr2gebsr_wavefront_per_row_multipass_kernelILi256ELi16ELi16ELi64EdEEv20rocsparse_direction_iiiiii21rocsparse_index_base_PKT3_PKiS7_S2_PS3_PiS9_.kd
    .uniform_work_group_size: 1
    .uses_dynamic_stack: false
    .vgpr_count:     40
    .vgpr_spill_count: 0
    .wavefront_size: 64
  - .agpr_count:     0
    .args:
      - .offset:         0
        .size:           4
        .value_kind:     by_value
      - .offset:         4
        .size:           4
        .value_kind:     by_value
      - .offset:         8
        .size:           4
        .value_kind:     by_value
      - .offset:         12
        .size:           4
        .value_kind:     by_value
      - .offset:         16
        .size:           4
        .value_kind:     by_value
      - .offset:         20
        .size:           4
        .value_kind:     by_value
      - .offset:         24
        .size:           4
        .value_kind:     by_value
      - .offset:         28
        .size:           4
        .value_kind:     by_value
      - .actual_access:  read_only
        .address_space:  global
        .offset:         32
        .size:           8
        .value_kind:     global_buffer
      - .actual_access:  read_only
        .address_space:  global
        .offset:         40
        .size:           8
        .value_kind:     global_buffer
      - .actual_access:  read_only
        .address_space:  global
        .offset:         48
        .size:           8
        .value_kind:     global_buffer
      - .offset:         56
        .size:           4
        .value_kind:     by_value
      - .actual_access:  write_only
        .address_space:  global
        .offset:         64
        .size:           8
        .value_kind:     global_buffer
      - .actual_access:  read_only
        .address_space:  global
        .offset:         72
        .size:           8
        .value_kind:     global_buffer
      - .actual_access:  write_only
        .address_space:  global
        .offset:         80
        .size:           8
        .value_kind:     global_buffer
    .group_segment_fixed_size: 16392
    .kernarg_segment_align: 8
    .kernarg_segment_size: 88
    .language:       OpenCL C
    .language_version:
      - 2
      - 0
    .max_flat_workgroup_size: 256
    .name:           _ZN9rocsparseL44csr2gebsr_wavefront_per_row_multipass_kernelILi256ELi16ELi16ELi32EdEEv20rocsparse_direction_iiiiii21rocsparse_index_base_PKT3_PKiS7_S2_PS3_PiS9_
    .private_segment_fixed_size: 0
    .sgpr_count:     52
    .sgpr_spill_count: 0
    .symbol:         _ZN9rocsparseL44csr2gebsr_wavefront_per_row_multipass_kernelILi256ELi16ELi16ELi32EdEEv20rocsparse_direction_iiiiii21rocsparse_index_base_PKT3_PKiS7_S2_PS3_PiS9_.kd
    .uniform_work_group_size: 1
    .uses_dynamic_stack: false
    .vgpr_count:     49
    .vgpr_spill_count: 0
    .wavefront_size: 64
  - .agpr_count:     0
    .args:
      - .offset:         0
        .size:           4
        .value_kind:     by_value
      - .offset:         4
        .size:           4
        .value_kind:     by_value
      - .offset:         8
        .size:           4
        .value_kind:     by_value
      - .offset:         12
        .size:           4
        .value_kind:     by_value
      - .offset:         16
        .size:           4
        .value_kind:     by_value
      - .offset:         20
        .size:           4
        .value_kind:     by_value
      - .offset:         24
        .size:           4
        .value_kind:     by_value
      - .offset:         28
        .size:           4
        .value_kind:     by_value
      - .actual_access:  read_only
        .address_space:  global
        .offset:         32
        .size:           8
        .value_kind:     global_buffer
      - .actual_access:  read_only
        .address_space:  global
        .offset:         40
        .size:           8
        .value_kind:     global_buffer
      - .actual_access:  read_only
        .address_space:  global
        .offset:         48
        .size:           8
        .value_kind:     global_buffer
      - .offset:         56
        .size:           4
        .value_kind:     by_value
      - .actual_access:  write_only
        .address_space:  global
        .offset:         64
        .size:           8
        .value_kind:     global_buffer
      - .actual_access:  read_only
        .address_space:  global
        .offset:         72
        .size:           8
        .value_kind:     global_buffer
      - .actual_access:  write_only
        .address_space:  global
        .offset:         80
        .size:           8
        .value_kind:     global_buffer
    .group_segment_fixed_size: 4104
    .kernarg_segment_align: 8
    .kernarg_segment_size: 88
    .language:       OpenCL C
    .language_version:
      - 2
      - 0
    .max_flat_workgroup_size: 128
    .name:           _ZN9rocsparseL40csr2gebsr_block_per_row_multipass_kernelILj128ELj16ELj32EdEEv20rocsparse_direction_iiiiii21rocsparse_index_base_PKT2_PKiS7_S2_PS3_PiS9_
    .private_segment_fixed_size: 0
    .sgpr_count:     60
    .sgpr_spill_count: 0
    .symbol:         _ZN9rocsparseL40csr2gebsr_block_per_row_multipass_kernelILj128ELj16ELj32EdEEv20rocsparse_direction_iiiiii21rocsparse_index_base_PKT2_PKiS7_S2_PS3_PiS9_.kd
    .uniform_work_group_size: 1
    .uses_dynamic_stack: false
    .vgpr_count:     36
    .vgpr_spill_count: 0
    .wavefront_size: 64
  - .agpr_count:     0
    .args:
      - .offset:         0
        .size:           4
        .value_kind:     by_value
      - .offset:         4
        .size:           4
        .value_kind:     by_value
      - .offset:         8
        .size:           4
        .value_kind:     by_value
      - .offset:         12
        .size:           4
        .value_kind:     by_value
      - .offset:         16
        .size:           4
        .value_kind:     by_value
      - .offset:         20
        .size:           4
        .value_kind:     by_value
      - .offset:         24
        .size:           4
        .value_kind:     by_value
      - .offset:         28
        .size:           4
        .value_kind:     by_value
      - .actual_access:  read_only
        .address_space:  global
        .offset:         32
        .size:           8
        .value_kind:     global_buffer
      - .actual_access:  read_only
        .address_space:  global
        .offset:         40
        .size:           8
        .value_kind:     global_buffer
      - .actual_access:  read_only
        .address_space:  global
        .offset:         48
        .size:           8
        .value_kind:     global_buffer
      - .offset:         56
        .size:           4
        .value_kind:     by_value
      - .actual_access:  write_only
        .address_space:  global
        .offset:         64
        .size:           8
        .value_kind:     global_buffer
      - .actual_access:  read_only
        .address_space:  global
        .offset:         72
        .size:           8
        .value_kind:     global_buffer
      - .actual_access:  write_only
        .address_space:  global
        .offset:         80
        .size:           8
        .value_kind:     global_buffer
    .group_segment_fixed_size: 8200
    .kernarg_segment_align: 8
    .kernarg_segment_size: 88
    .language:       OpenCL C
    .language_version:
      - 2
      - 0
    .max_flat_workgroup_size: 128
    .name:           _ZN9rocsparseL40csr2gebsr_block_per_row_multipass_kernelILj128ELj16ELj64EdEEv20rocsparse_direction_iiiiii21rocsparse_index_base_PKT2_PKiS7_S2_PS3_PiS9_
    .private_segment_fixed_size: 0
    .sgpr_count:     76
    .sgpr_spill_count: 0
    .symbol:         _ZN9rocsparseL40csr2gebsr_block_per_row_multipass_kernelILj128ELj16ELj64EdEEv20rocsparse_direction_iiiiii21rocsparse_index_base_PKT2_PKiS7_S2_PS3_PiS9_.kd
    .uniform_work_group_size: 1
    .uses_dynamic_stack: false
    .vgpr_count:     44
    .vgpr_spill_count: 0
    .wavefront_size: 64
  - .agpr_count:     0
    .args:
      - .offset:         0
        .size:           4
        .value_kind:     by_value
      - .offset:         4
        .size:           4
        .value_kind:     by_value
      - .offset:         8
        .size:           4
        .value_kind:     by_value
      - .offset:         12
        .size:           4
        .value_kind:     by_value
      - .offset:         16
        .size:           4
        .value_kind:     by_value
      - .offset:         20
        .size:           4
        .value_kind:     by_value
      - .offset:         24
        .size:           4
        .value_kind:     by_value
      - .offset:         28
        .size:           4
        .value_kind:     by_value
      - .actual_access:  read_only
        .address_space:  global
        .offset:         32
        .size:           8
        .value_kind:     global_buffer
      - .actual_access:  read_only
        .address_space:  global
        .offset:         40
        .size:           8
        .value_kind:     global_buffer
      - .actual_access:  read_only
        .address_space:  global
        .offset:         48
        .size:           8
        .value_kind:     global_buffer
      - .offset:         56
        .size:           4
        .value_kind:     by_value
      - .actual_access:  write_only
        .address_space:  global
        .offset:         64
        .size:           8
        .value_kind:     global_buffer
      - .actual_access:  read_only
        .address_space:  global
        .offset:         72
        .size:           8
        .value_kind:     global_buffer
      - .actual_access:  write_only
        .address_space:  global
        .offset:         80
        .size:           8
        .value_kind:     global_buffer
    .group_segment_fixed_size: 2056
    .kernarg_segment_align: 8
    .kernarg_segment_size: 88
    .language:       OpenCL C
    .language_version:
      - 2
      - 0
    .max_flat_workgroup_size: 256
    .name:           _ZN9rocsparseL44csr2gebsr_wavefront_per_row_multipass_kernelILi256ELi32ELi2ELi64EdEEv20rocsparse_direction_iiiiii21rocsparse_index_base_PKT3_PKiS7_S2_PS3_PiS9_
    .private_segment_fixed_size: 0
    .sgpr_count:     32
    .sgpr_spill_count: 0
    .symbol:         _ZN9rocsparseL44csr2gebsr_wavefront_per_row_multipass_kernelILi256ELi32ELi2ELi64EdEEv20rocsparse_direction_iiiiii21rocsparse_index_base_PKT3_PKiS7_S2_PS3_PiS9_.kd
    .uniform_work_group_size: 1
    .uses_dynamic_stack: false
    .vgpr_count:     30
    .vgpr_spill_count: 0
    .wavefront_size: 64
  - .agpr_count:     0
    .args:
      - .offset:         0
        .size:           4
        .value_kind:     by_value
      - .offset:         4
        .size:           4
        .value_kind:     by_value
      - .offset:         8
        .size:           4
        .value_kind:     by_value
      - .offset:         12
        .size:           4
        .value_kind:     by_value
      - .offset:         16
        .size:           4
        .value_kind:     by_value
      - .offset:         20
        .size:           4
        .value_kind:     by_value
      - .offset:         24
        .size:           4
        .value_kind:     by_value
      - .offset:         28
        .size:           4
        .value_kind:     by_value
      - .actual_access:  read_only
        .address_space:  global
        .offset:         32
        .size:           8
        .value_kind:     global_buffer
      - .actual_access:  read_only
        .address_space:  global
        .offset:         40
        .size:           8
        .value_kind:     global_buffer
      - .actual_access:  read_only
        .address_space:  global
        .offset:         48
        .size:           8
        .value_kind:     global_buffer
      - .offset:         56
        .size:           4
        .value_kind:     by_value
      - .actual_access:  write_only
        .address_space:  global
        .offset:         64
        .size:           8
        .value_kind:     global_buffer
      - .actual_access:  read_only
        .address_space:  global
        .offset:         72
        .size:           8
        .value_kind:     global_buffer
      - .actual_access:  write_only
        .address_space:  global
        .offset:         80
        .size:           8
        .value_kind:     global_buffer
    .group_segment_fixed_size: 4104
    .kernarg_segment_align: 8
    .kernarg_segment_size: 88
    .language:       OpenCL C
    .language_version:
      - 2
      - 0
    .max_flat_workgroup_size: 256
    .name:           _ZN9rocsparseL44csr2gebsr_wavefront_per_row_multipass_kernelILi256ELi32ELi2ELi32EdEEv20rocsparse_direction_iiiiii21rocsparse_index_base_PKT3_PKiS7_S2_PS3_PiS9_
    .private_segment_fixed_size: 0
    .sgpr_count:     38
    .sgpr_spill_count: 0
    .symbol:         _ZN9rocsparseL44csr2gebsr_wavefront_per_row_multipass_kernelILi256ELi32ELi2ELi32EdEEv20rocsparse_direction_iiiiii21rocsparse_index_base_PKT3_PKiS7_S2_PS3_PiS9_.kd
    .uniform_work_group_size: 1
    .uses_dynamic_stack: false
    .vgpr_count:     31
    .vgpr_spill_count: 0
    .wavefront_size: 64
  - .agpr_count:     0
    .args:
      - .offset:         0
        .size:           4
        .value_kind:     by_value
      - .offset:         4
        .size:           4
        .value_kind:     by_value
      - .offset:         8
        .size:           4
        .value_kind:     by_value
      - .offset:         12
        .size:           4
        .value_kind:     by_value
      - .offset:         16
        .size:           4
        .value_kind:     by_value
      - .offset:         20
        .size:           4
        .value_kind:     by_value
      - .offset:         24
        .size:           4
        .value_kind:     by_value
      - .offset:         28
        .size:           4
        .value_kind:     by_value
      - .actual_access:  read_only
        .address_space:  global
        .offset:         32
        .size:           8
        .value_kind:     global_buffer
      - .actual_access:  read_only
        .address_space:  global
        .offset:         40
        .size:           8
        .value_kind:     global_buffer
      - .actual_access:  read_only
        .address_space:  global
        .offset:         48
        .size:           8
        .value_kind:     global_buffer
      - .offset:         56
        .size:           4
        .value_kind:     by_value
      - .actual_access:  write_only
        .address_space:  global
        .offset:         64
        .size:           8
        .value_kind:     global_buffer
      - .actual_access:  read_only
        .address_space:  global
        .offset:         72
        .size:           8
        .value_kind:     global_buffer
      - .actual_access:  write_only
        .address_space:  global
        .offset:         80
        .size:           8
        .value_kind:     global_buffer
    .group_segment_fixed_size: 4104
    .kernarg_segment_align: 8
    .kernarg_segment_size: 88
    .language:       OpenCL C
    .language_version:
      - 2
      - 0
    .max_flat_workgroup_size: 256
    .name:           _ZN9rocsparseL44csr2gebsr_wavefront_per_row_multipass_kernelILi256ELi32ELi4ELi64EdEEv20rocsparse_direction_iiiiii21rocsparse_index_base_PKT3_PKiS7_S2_PS3_PiS9_
    .private_segment_fixed_size: 0
    .sgpr_count:     38
    .sgpr_spill_count: 0
    .symbol:         _ZN9rocsparseL44csr2gebsr_wavefront_per_row_multipass_kernelILi256ELi32ELi4ELi64EdEEv20rocsparse_direction_iiiiii21rocsparse_index_base_PKT3_PKiS7_S2_PS3_PiS9_.kd
    .uniform_work_group_size: 1
    .uses_dynamic_stack: false
    .vgpr_count:     36
    .vgpr_spill_count: 0
    .wavefront_size: 64
  - .agpr_count:     0
    .args:
      - .offset:         0
        .size:           4
        .value_kind:     by_value
      - .offset:         4
        .size:           4
        .value_kind:     by_value
      - .offset:         8
        .size:           4
        .value_kind:     by_value
      - .offset:         12
        .size:           4
        .value_kind:     by_value
      - .offset:         16
        .size:           4
        .value_kind:     by_value
      - .offset:         20
        .size:           4
        .value_kind:     by_value
      - .offset:         24
        .size:           4
        .value_kind:     by_value
      - .offset:         28
        .size:           4
        .value_kind:     by_value
      - .actual_access:  read_only
        .address_space:  global
        .offset:         32
        .size:           8
        .value_kind:     global_buffer
      - .actual_access:  read_only
        .address_space:  global
        .offset:         40
        .size:           8
        .value_kind:     global_buffer
      - .actual_access:  read_only
        .address_space:  global
        .offset:         48
        .size:           8
        .value_kind:     global_buffer
      - .offset:         56
        .size:           4
        .value_kind:     by_value
      - .actual_access:  write_only
        .address_space:  global
        .offset:         64
        .size:           8
        .value_kind:     global_buffer
      - .actual_access:  read_only
        .address_space:  global
        .offset:         72
        .size:           8
        .value_kind:     global_buffer
      - .actual_access:  write_only
        .address_space:  global
        .offset:         80
        .size:           8
        .value_kind:     global_buffer
    .group_segment_fixed_size: 8200
    .kernarg_segment_align: 8
    .kernarg_segment_size: 88
    .language:       OpenCL C
    .language_version:
      - 2
      - 0
    .max_flat_workgroup_size: 256
    .name:           _ZN9rocsparseL44csr2gebsr_wavefront_per_row_multipass_kernelILi256ELi32ELi4ELi32EdEEv20rocsparse_direction_iiiiii21rocsparse_index_base_PKT3_PKiS7_S2_PS3_PiS9_
    .private_segment_fixed_size: 0
    .sgpr_count:     48
    .sgpr_spill_count: 0
    .symbol:         _ZN9rocsparseL44csr2gebsr_wavefront_per_row_multipass_kernelILi256ELi32ELi4ELi32EdEEv20rocsparse_direction_iiiiii21rocsparse_index_base_PKT3_PKiS7_S2_PS3_PiS9_.kd
    .uniform_work_group_size: 1
    .uses_dynamic_stack: false
    .vgpr_count:     32
    .vgpr_spill_count: 0
    .wavefront_size: 64
  - .agpr_count:     0
    .args:
      - .offset:         0
        .size:           4
        .value_kind:     by_value
      - .offset:         4
        .size:           4
        .value_kind:     by_value
      - .offset:         8
        .size:           4
        .value_kind:     by_value
      - .offset:         12
        .size:           4
        .value_kind:     by_value
      - .offset:         16
        .size:           4
        .value_kind:     by_value
      - .offset:         20
        .size:           4
        .value_kind:     by_value
      - .offset:         24
        .size:           4
        .value_kind:     by_value
      - .offset:         28
        .size:           4
        .value_kind:     by_value
      - .actual_access:  read_only
        .address_space:  global
        .offset:         32
        .size:           8
        .value_kind:     global_buffer
      - .actual_access:  read_only
        .address_space:  global
        .offset:         40
        .size:           8
        .value_kind:     global_buffer
      - .actual_access:  read_only
        .address_space:  global
        .offset:         48
        .size:           8
        .value_kind:     global_buffer
      - .offset:         56
        .size:           4
        .value_kind:     by_value
      - .actual_access:  write_only
        .address_space:  global
        .offset:         64
        .size:           8
        .value_kind:     global_buffer
      - .actual_access:  read_only
        .address_space:  global
        .offset:         72
        .size:           8
        .value_kind:     global_buffer
      - .actual_access:  write_only
        .address_space:  global
        .offset:         80
        .size:           8
        .value_kind:     global_buffer
    .group_segment_fixed_size: 8200
    .kernarg_segment_align: 8
    .kernarg_segment_size: 88
    .language:       OpenCL C
    .language_version:
      - 2
      - 0
    .max_flat_workgroup_size: 256
    .name:           _ZN9rocsparseL44csr2gebsr_wavefront_per_row_multipass_kernelILi256ELi32ELi8ELi64EdEEv20rocsparse_direction_iiiiii21rocsparse_index_base_PKT3_PKiS7_S2_PS3_PiS9_
    .private_segment_fixed_size: 0
    .sgpr_count:     41
    .sgpr_spill_count: 0
    .symbol:         _ZN9rocsparseL44csr2gebsr_wavefront_per_row_multipass_kernelILi256ELi32ELi8ELi64EdEEv20rocsparse_direction_iiiiii21rocsparse_index_base_PKT3_PKiS7_S2_PS3_PiS9_.kd
    .uniform_work_group_size: 1
    .uses_dynamic_stack: false
    .vgpr_count:     40
    .vgpr_spill_count: 0
    .wavefront_size: 64
  - .agpr_count:     0
    .args:
      - .offset:         0
        .size:           4
        .value_kind:     by_value
      - .offset:         4
        .size:           4
        .value_kind:     by_value
      - .offset:         8
        .size:           4
        .value_kind:     by_value
      - .offset:         12
        .size:           4
        .value_kind:     by_value
      - .offset:         16
        .size:           4
        .value_kind:     by_value
      - .offset:         20
        .size:           4
        .value_kind:     by_value
      - .offset:         24
        .size:           4
        .value_kind:     by_value
      - .offset:         28
        .size:           4
        .value_kind:     by_value
      - .actual_access:  read_only
        .address_space:  global
        .offset:         32
        .size:           8
        .value_kind:     global_buffer
      - .actual_access:  read_only
        .address_space:  global
        .offset:         40
        .size:           8
        .value_kind:     global_buffer
      - .actual_access:  read_only
        .address_space:  global
        .offset:         48
        .size:           8
        .value_kind:     global_buffer
      - .offset:         56
        .size:           4
        .value_kind:     by_value
      - .actual_access:  write_only
        .address_space:  global
        .offset:         64
        .size:           8
        .value_kind:     global_buffer
      - .actual_access:  read_only
        .address_space:  global
        .offset:         72
        .size:           8
        .value_kind:     global_buffer
      - .actual_access:  write_only
        .address_space:  global
        .offset:         80
        .size:           8
        .value_kind:     global_buffer
    .group_segment_fixed_size: 16392
    .kernarg_segment_align: 8
    .kernarg_segment_size: 88
    .language:       OpenCL C
    .language_version:
      - 2
      - 0
    .max_flat_workgroup_size: 256
    .name:           _ZN9rocsparseL44csr2gebsr_wavefront_per_row_multipass_kernelILi256ELi32ELi8ELi32EdEEv20rocsparse_direction_iiiiii21rocsparse_index_base_PKT3_PKiS7_S2_PS3_PiS9_
    .private_segment_fixed_size: 0
    .sgpr_count:     64
    .sgpr_spill_count: 0
    .symbol:         _ZN9rocsparseL44csr2gebsr_wavefront_per_row_multipass_kernelILi256ELi32ELi8ELi32EdEEv20rocsparse_direction_iiiiii21rocsparse_index_base_PKT3_PKiS7_S2_PS3_PiS9_.kd
    .uniform_work_group_size: 1
    .uses_dynamic_stack: false
    .vgpr_count:     32
    .vgpr_spill_count: 0
    .wavefront_size: 64
  - .agpr_count:     0
    .args:
      - .offset:         0
        .size:           4
        .value_kind:     by_value
      - .offset:         4
        .size:           4
        .value_kind:     by_value
      - .offset:         8
        .size:           4
        .value_kind:     by_value
      - .offset:         12
        .size:           4
        .value_kind:     by_value
      - .offset:         16
        .size:           4
        .value_kind:     by_value
      - .offset:         20
        .size:           4
        .value_kind:     by_value
      - .offset:         24
        .size:           4
        .value_kind:     by_value
      - .offset:         28
        .size:           4
        .value_kind:     by_value
      - .actual_access:  read_only
        .address_space:  global
        .offset:         32
        .size:           8
        .value_kind:     global_buffer
      - .actual_access:  read_only
        .address_space:  global
        .offset:         40
        .size:           8
        .value_kind:     global_buffer
      - .actual_access:  read_only
        .address_space:  global
        .offset:         48
        .size:           8
        .value_kind:     global_buffer
      - .offset:         56
        .size:           4
        .value_kind:     by_value
      - .actual_access:  write_only
        .address_space:  global
        .offset:         64
        .size:           8
        .value_kind:     global_buffer
      - .actual_access:  read_only
        .address_space:  global
        .offset:         72
        .size:           8
        .value_kind:     global_buffer
      - .actual_access:  write_only
        .address_space:  global
        .offset:         80
        .size:           8
        .value_kind:     global_buffer
    .group_segment_fixed_size: 4104
    .kernarg_segment_align: 8
    .kernarg_segment_size: 88
    .language:       OpenCL C
    .language_version:
      - 2
      - 0
    .max_flat_workgroup_size: 256
    .name:           _ZN9rocsparseL40csr2gebsr_block_per_row_multipass_kernelILj256ELj32ELj16EdEEv20rocsparse_direction_iiiiii21rocsparse_index_base_PKT2_PKiS7_S2_PS3_PiS9_
    .private_segment_fixed_size: 0
    .sgpr_count:     54
    .sgpr_spill_count: 0
    .symbol:         _ZN9rocsparseL40csr2gebsr_block_per_row_multipass_kernelILj256ELj32ELj16EdEEv20rocsparse_direction_iiiiii21rocsparse_index_base_PKT2_PKiS7_S2_PS3_PiS9_.kd
    .uniform_work_group_size: 1
    .uses_dynamic_stack: false
    .vgpr_count:     31
    .vgpr_spill_count: 0
    .wavefront_size: 64
  - .agpr_count:     0
    .args:
      - .offset:         0
        .size:           4
        .value_kind:     by_value
      - .offset:         4
        .size:           4
        .value_kind:     by_value
      - .offset:         8
        .size:           4
        .value_kind:     by_value
      - .offset:         12
        .size:           4
        .value_kind:     by_value
      - .offset:         16
        .size:           4
        .value_kind:     by_value
      - .offset:         20
        .size:           4
        .value_kind:     by_value
      - .offset:         24
        .size:           4
        .value_kind:     by_value
      - .offset:         28
        .size:           4
        .value_kind:     by_value
      - .actual_access:  read_only
        .address_space:  global
        .offset:         32
        .size:           8
        .value_kind:     global_buffer
      - .actual_access:  read_only
        .address_space:  global
        .offset:         40
        .size:           8
        .value_kind:     global_buffer
      - .actual_access:  read_only
        .address_space:  global
        .offset:         48
        .size:           8
        .value_kind:     global_buffer
      - .offset:         56
        .size:           4
        .value_kind:     by_value
      - .actual_access:  write_only
        .address_space:  global
        .offset:         64
        .size:           8
        .value_kind:     global_buffer
      - .actual_access:  read_only
        .address_space:  global
        .offset:         72
        .size:           8
        .value_kind:     global_buffer
      - .actual_access:  write_only
        .address_space:  global
        .offset:         80
        .size:           8
        .value_kind:     global_buffer
    .group_segment_fixed_size: 8200
    .kernarg_segment_align: 8
    .kernarg_segment_size: 88
    .language:       OpenCL C
    .language_version:
      - 2
      - 0
    .max_flat_workgroup_size: 256
    .name:           _ZN9rocsparseL40csr2gebsr_block_per_row_multipass_kernelILj256ELj32ELj32EdEEv20rocsparse_direction_iiiiii21rocsparse_index_base_PKT2_PKiS7_S2_PS3_PiS9_
    .private_segment_fixed_size: 0
    .sgpr_count:     62
    .sgpr_spill_count: 0
    .symbol:         _ZN9rocsparseL40csr2gebsr_block_per_row_multipass_kernelILj256ELj32ELj32EdEEv20rocsparse_direction_iiiiii21rocsparse_index_base_PKT2_PKiS7_S2_PS3_PiS9_.kd
    .uniform_work_group_size: 1
    .uses_dynamic_stack: false
    .vgpr_count:     36
    .vgpr_spill_count: 0
    .wavefront_size: 64
  - .agpr_count:     0
    .args:
      - .offset:         0
        .size:           4
        .value_kind:     by_value
      - .offset:         4
        .size:           4
        .value_kind:     by_value
      - .offset:         8
        .size:           4
        .value_kind:     by_value
      - .offset:         12
        .size:           4
        .value_kind:     by_value
      - .offset:         16
        .size:           4
        .value_kind:     by_value
      - .offset:         20
        .size:           4
        .value_kind:     by_value
      - .offset:         24
        .size:           4
        .value_kind:     by_value
      - .offset:         28
        .size:           4
        .value_kind:     by_value
      - .actual_access:  read_only
        .address_space:  global
        .offset:         32
        .size:           8
        .value_kind:     global_buffer
      - .actual_access:  read_only
        .address_space:  global
        .offset:         40
        .size:           8
        .value_kind:     global_buffer
      - .actual_access:  read_only
        .address_space:  global
        .offset:         48
        .size:           8
        .value_kind:     global_buffer
      - .offset:         56
        .size:           4
        .value_kind:     by_value
      - .actual_access:  write_only
        .address_space:  global
        .offset:         64
        .size:           8
        .value_kind:     global_buffer
      - .actual_access:  read_only
        .address_space:  global
        .offset:         72
        .size:           8
        .value_kind:     global_buffer
      - .actual_access:  write_only
        .address_space:  global
        .offset:         80
        .size:           8
        .value_kind:     global_buffer
    .group_segment_fixed_size: 16392
    .kernarg_segment_align: 8
    .kernarg_segment_size: 88
    .language:       OpenCL C
    .language_version:
      - 2
      - 0
    .max_flat_workgroup_size: 256
    .name:           _ZN9rocsparseL40csr2gebsr_block_per_row_multipass_kernelILj256ELj32ELj64EdEEv20rocsparse_direction_iiiiii21rocsparse_index_base_PKT2_PKiS7_S2_PS3_PiS9_
    .private_segment_fixed_size: 0
    .sgpr_count:     78
    .sgpr_spill_count: 0
    .symbol:         _ZN9rocsparseL40csr2gebsr_block_per_row_multipass_kernelILj256ELj32ELj64EdEEv20rocsparse_direction_iiiiii21rocsparse_index_base_PKT2_PKiS7_S2_PS3_PiS9_.kd
    .uniform_work_group_size: 1
    .uses_dynamic_stack: false
    .vgpr_count:     44
    .vgpr_spill_count: 0
    .wavefront_size: 64
  - .agpr_count:     0
    .args:
      - .offset:         0
        .size:           4
        .value_kind:     by_value
      - .offset:         4
        .size:           4
        .value_kind:     by_value
      - .offset:         8
        .size:           4
        .value_kind:     by_value
      - .offset:         12
        .size:           4
        .value_kind:     by_value
      - .offset:         16
        .size:           4
        .value_kind:     by_value
      - .offset:         20
        .size:           4
        .value_kind:     by_value
      - .offset:         24
        .size:           4
        .value_kind:     by_value
      - .offset:         28
        .size:           4
        .value_kind:     by_value
      - .actual_access:  read_only
        .address_space:  global
        .offset:         32
        .size:           8
        .value_kind:     global_buffer
      - .actual_access:  read_only
        .address_space:  global
        .offset:         40
        .size:           8
        .value_kind:     global_buffer
      - .actual_access:  read_only
        .address_space:  global
        .offset:         48
        .size:           8
        .value_kind:     global_buffer
      - .offset:         56
        .size:           4
        .value_kind:     by_value
      - .actual_access:  write_only
        .address_space:  global
        .offset:         64
        .size:           8
        .value_kind:     global_buffer
      - .actual_access:  read_only
        .address_space:  global
        .offset:         72
        .size:           8
        .value_kind:     global_buffer
      - .actual_access:  write_only
        .address_space:  global
        .offset:         80
        .size:           8
        .value_kind:     global_buffer
    .group_segment_fixed_size: 1032
    .kernarg_segment_align: 8
    .kernarg_segment_size: 88
    .language:       OpenCL C
    .language_version:
      - 2
      - 0
    .max_flat_workgroup_size: 128
    .name:           _ZN9rocsparseL40csr2gebsr_block_per_row_multipass_kernelILj128ELj64ELj2EdEEv20rocsparse_direction_iiiiii21rocsparse_index_base_PKT2_PKiS7_S2_PS3_PiS9_
    .private_segment_fixed_size: 0
    .sgpr_count:     48
    .sgpr_spill_count: 0
    .symbol:         _ZN9rocsparseL40csr2gebsr_block_per_row_multipass_kernelILj128ELj64ELj2EdEEv20rocsparse_direction_iiiiii21rocsparse_index_base_PKT2_PKiS7_S2_PS3_PiS9_.kd
    .uniform_work_group_size: 1
    .uses_dynamic_stack: false
    .vgpr_count:     24
    .vgpr_spill_count: 0
    .wavefront_size: 64
  - .agpr_count:     0
    .args:
      - .offset:         0
        .size:           4
        .value_kind:     by_value
      - .offset:         4
        .size:           4
        .value_kind:     by_value
      - .offset:         8
        .size:           4
        .value_kind:     by_value
      - .offset:         12
        .size:           4
        .value_kind:     by_value
      - .offset:         16
        .size:           4
        .value_kind:     by_value
      - .offset:         20
        .size:           4
        .value_kind:     by_value
      - .offset:         24
        .size:           4
        .value_kind:     by_value
      - .offset:         28
        .size:           4
        .value_kind:     by_value
      - .actual_access:  read_only
        .address_space:  global
        .offset:         32
        .size:           8
        .value_kind:     global_buffer
      - .actual_access:  read_only
        .address_space:  global
        .offset:         40
        .size:           8
        .value_kind:     global_buffer
      - .actual_access:  read_only
        .address_space:  global
        .offset:         48
        .size:           8
        .value_kind:     global_buffer
      - .offset:         56
        .size:           4
        .value_kind:     by_value
      - .actual_access:  write_only
        .address_space:  global
        .offset:         64
        .size:           8
        .value_kind:     global_buffer
      - .actual_access:  read_only
        .address_space:  global
        .offset:         72
        .size:           8
        .value_kind:     global_buffer
      - .actual_access:  write_only
        .address_space:  global
        .offset:         80
        .size:           8
        .value_kind:     global_buffer
    .group_segment_fixed_size: 2056
    .kernarg_segment_align: 8
    .kernarg_segment_size: 88
    .language:       OpenCL C
    .language_version:
      - 2
      - 0
    .max_flat_workgroup_size: 256
    .name:           _ZN9rocsparseL40csr2gebsr_block_per_row_multipass_kernelILj256ELj64ELj4EdEEv20rocsparse_direction_iiiiii21rocsparse_index_base_PKT2_PKiS7_S2_PS3_PiS9_
    .private_segment_fixed_size: 0
    .sgpr_count:     50
    .sgpr_spill_count: 0
    .symbol:         _ZN9rocsparseL40csr2gebsr_block_per_row_multipass_kernelILj256ELj64ELj4EdEEv20rocsparse_direction_iiiiii21rocsparse_index_base_PKT2_PKiS7_S2_PS3_PiS9_.kd
    .uniform_work_group_size: 1
    .uses_dynamic_stack: false
    .vgpr_count:     24
    .vgpr_spill_count: 0
    .wavefront_size: 64
  - .agpr_count:     0
    .args:
      - .offset:         0
        .size:           4
        .value_kind:     by_value
      - .offset:         4
        .size:           4
        .value_kind:     by_value
      - .offset:         8
        .size:           4
        .value_kind:     by_value
      - .offset:         12
        .size:           4
        .value_kind:     by_value
      - .offset:         16
        .size:           4
        .value_kind:     by_value
      - .offset:         20
        .size:           4
        .value_kind:     by_value
      - .offset:         24
        .size:           4
        .value_kind:     by_value
      - .offset:         28
        .size:           4
        .value_kind:     by_value
      - .actual_access:  read_only
        .address_space:  global
        .offset:         32
        .size:           8
        .value_kind:     global_buffer
      - .actual_access:  read_only
        .address_space:  global
        .offset:         40
        .size:           8
        .value_kind:     global_buffer
      - .actual_access:  read_only
        .address_space:  global
        .offset:         48
        .size:           8
        .value_kind:     global_buffer
      - .offset:         56
        .size:           4
        .value_kind:     by_value
      - .actual_access:  write_only
        .address_space:  global
        .offset:         64
        .size:           8
        .value_kind:     global_buffer
      - .actual_access:  read_only
        .address_space:  global
        .offset:         72
        .size:           8
        .value_kind:     global_buffer
      - .actual_access:  write_only
        .address_space:  global
        .offset:         80
        .size:           8
        .value_kind:     global_buffer
    .group_segment_fixed_size: 4104
    .kernarg_segment_align: 8
    .kernarg_segment_size: 88
    .language:       OpenCL C
    .language_version:
      - 2
      - 0
    .max_flat_workgroup_size: 256
    .name:           _ZN9rocsparseL40csr2gebsr_block_per_row_multipass_kernelILj256ELj64ELj8EdEEv20rocsparse_direction_iiiiii21rocsparse_index_base_PKT2_PKiS7_S2_PS3_PiS9_
    .private_segment_fixed_size: 0
    .sgpr_count:     54
    .sgpr_spill_count: 0
    .symbol:         _ZN9rocsparseL40csr2gebsr_block_per_row_multipass_kernelILj256ELj64ELj8EdEEv20rocsparse_direction_iiiiii21rocsparse_index_base_PKT2_PKiS7_S2_PS3_PiS9_.kd
    .uniform_work_group_size: 1
    .uses_dynamic_stack: false
    .vgpr_count:     31
    .vgpr_spill_count: 0
    .wavefront_size: 64
  - .agpr_count:     0
    .args:
      - .offset:         0
        .size:           4
        .value_kind:     by_value
      - .offset:         4
        .size:           4
        .value_kind:     by_value
      - .offset:         8
        .size:           4
        .value_kind:     by_value
      - .offset:         12
        .size:           4
        .value_kind:     by_value
      - .offset:         16
        .size:           4
        .value_kind:     by_value
      - .offset:         20
        .size:           4
        .value_kind:     by_value
      - .offset:         24
        .size:           4
        .value_kind:     by_value
      - .offset:         28
        .size:           4
        .value_kind:     by_value
      - .actual_access:  read_only
        .address_space:  global
        .offset:         32
        .size:           8
        .value_kind:     global_buffer
      - .actual_access:  read_only
        .address_space:  global
        .offset:         40
        .size:           8
        .value_kind:     global_buffer
      - .actual_access:  read_only
        .address_space:  global
        .offset:         48
        .size:           8
        .value_kind:     global_buffer
      - .offset:         56
        .size:           4
        .value_kind:     by_value
      - .actual_access:  write_only
        .address_space:  global
        .offset:         64
        .size:           8
        .value_kind:     global_buffer
      - .actual_access:  read_only
        .address_space:  global
        .offset:         72
        .size:           8
        .value_kind:     global_buffer
      - .actual_access:  write_only
        .address_space:  global
        .offset:         80
        .size:           8
        .value_kind:     global_buffer
    .group_segment_fixed_size: 8200
    .kernarg_segment_align: 8
    .kernarg_segment_size: 88
    .language:       OpenCL C
    .language_version:
      - 2
      - 0
    .max_flat_workgroup_size: 256
    .name:           _ZN9rocsparseL40csr2gebsr_block_per_row_multipass_kernelILj256ELj64ELj16EdEEv20rocsparse_direction_iiiiii21rocsparse_index_base_PKT2_PKiS7_S2_PS3_PiS9_
    .private_segment_fixed_size: 0
    .sgpr_count:     60
    .sgpr_spill_count: 0
    .symbol:         _ZN9rocsparseL40csr2gebsr_block_per_row_multipass_kernelILj256ELj64ELj16EdEEv20rocsparse_direction_iiiiii21rocsparse_index_base_PKT2_PKiS7_S2_PS3_PiS9_.kd
    .uniform_work_group_size: 1
    .uses_dynamic_stack: false
    .vgpr_count:     36
    .vgpr_spill_count: 0
    .wavefront_size: 64
  - .agpr_count:     0
    .args:
      - .offset:         0
        .size:           4
        .value_kind:     by_value
      - .offset:         4
        .size:           4
        .value_kind:     by_value
      - .offset:         8
        .size:           4
        .value_kind:     by_value
      - .offset:         12
        .size:           4
        .value_kind:     by_value
      - .offset:         16
        .size:           4
        .value_kind:     by_value
      - .offset:         20
        .size:           4
        .value_kind:     by_value
      - .offset:         24
        .size:           4
        .value_kind:     by_value
      - .offset:         28
        .size:           4
        .value_kind:     by_value
      - .actual_access:  read_only
        .address_space:  global
        .offset:         32
        .size:           8
        .value_kind:     global_buffer
      - .actual_access:  read_only
        .address_space:  global
        .offset:         40
        .size:           8
        .value_kind:     global_buffer
      - .actual_access:  read_only
        .address_space:  global
        .offset:         48
        .size:           8
        .value_kind:     global_buffer
      - .offset:         56
        .size:           4
        .value_kind:     by_value
      - .actual_access:  write_only
        .address_space:  global
        .offset:         64
        .size:           8
        .value_kind:     global_buffer
      - .actual_access:  read_only
        .address_space:  global
        .offset:         72
        .size:           8
        .value_kind:     global_buffer
      - .actual_access:  write_only
        .address_space:  global
        .offset:         80
        .size:           8
        .value_kind:     global_buffer
    .group_segment_fixed_size: 16392
    .kernarg_segment_align: 8
    .kernarg_segment_size: 88
    .language:       OpenCL C
    .language_version:
      - 2
      - 0
    .max_flat_workgroup_size: 256
    .name:           _ZN9rocsparseL40csr2gebsr_block_per_row_multipass_kernelILj256ELj64ELj32EdEEv20rocsparse_direction_iiiiii21rocsparse_index_base_PKT2_PKiS7_S2_PS3_PiS9_
    .private_segment_fixed_size: 0
    .sgpr_count:     76
    .sgpr_spill_count: 0
    .symbol:         _ZN9rocsparseL40csr2gebsr_block_per_row_multipass_kernelILj256ELj64ELj32EdEEv20rocsparse_direction_iiiiii21rocsparse_index_base_PKT2_PKiS7_S2_PS3_PiS9_.kd
    .uniform_work_group_size: 1
    .uses_dynamic_stack: false
    .vgpr_count:     44
    .vgpr_spill_count: 0
    .wavefront_size: 64
  - .agpr_count:     0
    .args:
      - .offset:         0
        .size:           4
        .value_kind:     by_value
      - .offset:         4
        .size:           4
        .value_kind:     by_value
      - .offset:         8
        .size:           4
        .value_kind:     by_value
      - .offset:         12
        .size:           4
        .value_kind:     by_value
      - .offset:         16
        .size:           4
        .value_kind:     by_value
      - .offset:         20
        .size:           4
        .value_kind:     by_value
      - .offset:         24
        .size:           4
        .value_kind:     by_value
      - .offset:         28
        .size:           4
        .value_kind:     by_value
      - .actual_access:  read_only
        .address_space:  global
        .offset:         32
        .size:           8
        .value_kind:     global_buffer
      - .actual_access:  read_only
        .address_space:  global
        .offset:         40
        .size:           8
        .value_kind:     global_buffer
      - .actual_access:  read_only
        .address_space:  global
        .offset:         48
        .size:           8
        .value_kind:     global_buffer
      - .offset:         56
        .size:           4
        .value_kind:     by_value
      - .actual_access:  write_only
        .address_space:  global
        .offset:         64
        .size:           8
        .value_kind:     global_buffer
      - .actual_access:  read_only
        .address_space:  global
        .offset:         72
        .size:           8
        .value_kind:     global_buffer
      - .actual_access:  write_only
        .address_space:  global
        .offset:         80
        .size:           8
        .value_kind:     global_buffer
    .group_segment_fixed_size: 32776
    .kernarg_segment_align: 8
    .kernarg_segment_size: 88
    .language:       OpenCL C
    .language_version:
      - 2
      - 0
    .max_flat_workgroup_size: 256
    .name:           _ZN9rocsparseL40csr2gebsr_block_per_row_multipass_kernelILj256ELj64ELj64EdEEv20rocsparse_direction_iiiiii21rocsparse_index_base_PKT2_PKiS7_S2_PS3_PiS9_
    .private_segment_fixed_size: 0
    .sgpr_count:     105
    .sgpr_spill_count: 0
    .symbol:         _ZN9rocsparseL40csr2gebsr_block_per_row_multipass_kernelILj256ELj64ELj64EdEEv20rocsparse_direction_iiiiii21rocsparse_index_base_PKT2_PKiS7_S2_PS3_PiS9_.kd
    .uniform_work_group_size: 1
    .uses_dynamic_stack: false
    .vgpr_count:     60
    .vgpr_spill_count: 0
    .wavefront_size: 64
  - .agpr_count:     0
    .args:
      - .offset:         0
        .size:           4
        .value_kind:     by_value
      - .offset:         4
        .size:           4
        .value_kind:     by_value
      - .offset:         8
        .size:           4
        .value_kind:     by_value
      - .offset:         12
        .size:           4
        .value_kind:     by_value
      - .offset:         16
        .size:           4
        .value_kind:     by_value
      - .offset:         20
        .size:           4
        .value_kind:     by_value
      - .offset:         24
        .size:           4
        .value_kind:     by_value
      - .offset:         28
        .size:           4
        .value_kind:     by_value
      - .offset:         32
        .size:           4
        .value_kind:     by_value
      - .actual_access:  read_only
        .address_space:  global
        .offset:         40
        .size:           8
        .value_kind:     global_buffer
      - .actual_access:  read_only
        .address_space:  global
        .offset:         48
        .size:           8
        .value_kind:     global_buffer
      - .actual_access:  read_only
        .address_space:  global
        .offset:         56
        .size:           8
        .value_kind:     global_buffer
      - .offset:         64
        .size:           4
        .value_kind:     by_value
      - .actual_access:  write_only
        .address_space:  global
        .offset:         72
        .size:           8
        .value_kind:     global_buffer
      - .actual_access:  read_only
        .address_space:  global
        .offset:         80
        .size:           8
        .value_kind:     global_buffer
      - .actual_access:  write_only
        .address_space:  global
        .offset:         88
        .size:           8
        .value_kind:     global_buffer
      - .address_space:  global
        .offset:         96
        .size:           8
        .value_kind:     global_buffer
      - .address_space:  global
        .offset:         104
        .size:           8
        .value_kind:     global_buffer
    .group_segment_fixed_size: 0
    .kernarg_segment_align: 8
    .kernarg_segment_size: 112
    .language:       OpenCL C
    .language_version:
      - 2
      - 0
    .max_flat_workgroup_size: 32
    .name:           _ZN9rocsparseL23csr2gebsr_65_inf_kernelILi32EdEEv20rocsparse_direction_iiiiiii21rocsparse_index_base_PKT0_PKiS7_S2_PS3_PiS9_S9_S8_
    .private_segment_fixed_size: 0
    .sgpr_count:     52
    .sgpr_spill_count: 0
    .symbol:         _ZN9rocsparseL23csr2gebsr_65_inf_kernelILi32EdEEv20rocsparse_direction_iiiiiii21rocsparse_index_base_PKT0_PKiS7_S2_PS3_PiS9_S9_S8_.kd
    .uniform_work_group_size: 1
    .uses_dynamic_stack: false
    .vgpr_count:     34
    .vgpr_spill_count: 0
    .wavefront_size: 64
  - .agpr_count:     0
    .args:
      - .offset:         0
        .size:           4
        .value_kind:     by_value
      - .offset:         4
        .size:           4
        .value_kind:     by_value
      - .offset:         8
        .size:           4
        .value_kind:     by_value
      - .offset:         12
        .size:           4
        .value_kind:     by_value
      - .offset:         16
        .size:           4
        .value_kind:     by_value
      - .address_space:  global
        .offset:         24
        .size:           8
        .value_kind:     global_buffer
      - .address_space:  global
        .offset:         32
        .size:           8
        .value_kind:     global_buffer
      - .address_space:  global
        .offset:         40
        .size:           8
        .value_kind:     global_buffer
      - .offset:         48
        .size:           4
        .value_kind:     by_value
      - .offset:         52
        .size:           4
        .value_kind:     by_value
      - .address_space:  global
        .offset:         56
        .size:           8
        .value_kind:     global_buffer
      - .address_space:  global
        .offset:         64
        .size:           8
        .value_kind:     global_buffer
      - .address_space:  global
        .offset:         72
        .size:           8
        .value_kind:     global_buffer
      - .offset:         80
        .size:           4
        .value_kind:     by_value
      - .offset:         84
        .size:           4
        .value_kind:     by_value
    .group_segment_fixed_size: 0
    .kernarg_segment_align: 8
    .kernarg_segment_size: 88
    .language:       OpenCL C
    .language_version:
      - 2
      - 0
    .max_flat_workgroup_size: 256
    .name:           _ZN9rocsparseL20csr2gebsr_kernel_bm1ILi256E21rocsparse_complex_numIfEEEviiii21rocsparse_index_base_PKT0_PKiS8_20rocsparse_direction_S3_PS4_S8_Piii
    .private_segment_fixed_size: 0
    .sgpr_count:     26
    .sgpr_spill_count: 0
    .symbol:         _ZN9rocsparseL20csr2gebsr_kernel_bm1ILi256E21rocsparse_complex_numIfEEEviiii21rocsparse_index_base_PKT0_PKiS8_20rocsparse_direction_S3_PS4_S8_Piii.kd
    .uniform_work_group_size: 1
    .uses_dynamic_stack: false
    .vgpr_count:     19
    .vgpr_spill_count: 0
    .wavefront_size: 64
  - .agpr_count:     0
    .args:
      - .offset:         0
        .size:           4
        .value_kind:     by_value
      - .offset:         4
        .size:           4
        .value_kind:     by_value
      - .offset:         8
        .size:           4
        .value_kind:     by_value
      - .offset:         12
        .size:           4
        .value_kind:     by_value
      - .offset:         16
        .size:           4
        .value_kind:     by_value
      - .offset:         20
        .size:           4
        .value_kind:     by_value
      - .offset:         24
        .size:           4
        .value_kind:     by_value
      - .offset:         28
        .size:           4
        .value_kind:     by_value
      - .actual_access:  read_only
        .address_space:  global
        .offset:         32
        .size:           8
        .value_kind:     global_buffer
      - .actual_access:  read_only
        .address_space:  global
        .offset:         40
        .size:           8
        .value_kind:     global_buffer
      - .actual_access:  read_only
        .address_space:  global
        .offset:         48
        .size:           8
        .value_kind:     global_buffer
      - .offset:         56
        .size:           4
        .value_kind:     by_value
      - .actual_access:  write_only
        .address_space:  global
        .offset:         64
        .size:           8
        .value_kind:     global_buffer
      - .actual_access:  read_only
        .address_space:  global
        .offset:         72
        .size:           8
        .value_kind:     global_buffer
      - .actual_access:  write_only
        .address_space:  global
        .offset:         80
        .size:           8
        .value_kind:     global_buffer
    .group_segment_fixed_size: 2112
    .kernarg_segment_align: 8
    .kernarg_segment_size: 88
    .language:       OpenCL C
    .language_version:
      - 2
      - 0
    .max_flat_workgroup_size: 256
    .name:           _ZN9rocsparseL44csr2gebsr_wavefront_per_row_multipass_kernelILi256ELi2ELi2ELi4E21rocsparse_complex_numIfEEEv20rocsparse_direction_iiiiii21rocsparse_index_base_PKT3_PKiS9_S4_PS5_PiSB_
    .private_segment_fixed_size: 0
    .sgpr_count:     32
    .sgpr_spill_count: 0
    .symbol:         _ZN9rocsparseL44csr2gebsr_wavefront_per_row_multipass_kernelILi256ELi2ELi2ELi4E21rocsparse_complex_numIfEEEv20rocsparse_direction_iiiiii21rocsparse_index_base_PKT3_PKiS9_S4_PS5_PiSB_.kd
    .uniform_work_group_size: 1
    .uses_dynamic_stack: false
    .vgpr_count:     30
    .vgpr_spill_count: 0
    .wavefront_size: 64
  - .agpr_count:     0
    .args:
      - .offset:         0
        .size:           4
        .value_kind:     by_value
      - .offset:         4
        .size:           4
        .value_kind:     by_value
      - .offset:         8
        .size:           4
        .value_kind:     by_value
      - .offset:         12
        .size:           4
        .value_kind:     by_value
      - .offset:         16
        .size:           4
        .value_kind:     by_value
      - .offset:         20
        .size:           4
        .value_kind:     by_value
      - .offset:         24
        .size:           4
        .value_kind:     by_value
      - .offset:         28
        .size:           4
        .value_kind:     by_value
      - .actual_access:  read_only
        .address_space:  global
        .offset:         32
        .size:           8
        .value_kind:     global_buffer
      - .actual_access:  read_only
        .address_space:  global
        .offset:         40
        .size:           8
        .value_kind:     global_buffer
      - .actual_access:  read_only
        .address_space:  global
        .offset:         48
        .size:           8
        .value_kind:     global_buffer
      - .offset:         56
        .size:           4
        .value_kind:     by_value
      - .actual_access:  write_only
        .address_space:  global
        .offset:         64
        .size:           8
        .value_kind:     global_buffer
      - .actual_access:  read_only
        .address_space:  global
        .offset:         72
        .size:           8
        .value_kind:     global_buffer
      - .actual_access:  write_only
        .address_space:  global
        .offset:         80
        .size:           8
        .value_kind:     global_buffer
    .group_segment_fixed_size: 2080
    .kernarg_segment_align: 8
    .kernarg_segment_size: 88
    .language:       OpenCL C
    .language_version:
      - 2
      - 0
    .max_flat_workgroup_size: 256
    .name:           _ZN9rocsparseL44csr2gebsr_wavefront_per_row_multipass_kernelILi256ELi2ELi4ELi8E21rocsparse_complex_numIfEEEv20rocsparse_direction_iiiiii21rocsparse_index_base_PKT3_PKiS9_S4_PS5_PiSB_
    .private_segment_fixed_size: 0
    .sgpr_count:     32
    .sgpr_spill_count: 0
    .symbol:         _ZN9rocsparseL44csr2gebsr_wavefront_per_row_multipass_kernelILi256ELi2ELi4ELi8E21rocsparse_complex_numIfEEEv20rocsparse_direction_iiiiii21rocsparse_index_base_PKT3_PKiS9_S4_PS5_PiSB_.kd
    .uniform_work_group_size: 1
    .uses_dynamic_stack: false
    .vgpr_count:     30
    .vgpr_spill_count: 0
    .wavefront_size: 64
  - .agpr_count:     0
    .args:
      - .offset:         0
        .size:           4
        .value_kind:     by_value
      - .offset:         4
        .size:           4
        .value_kind:     by_value
      - .offset:         8
        .size:           4
        .value_kind:     by_value
      - .offset:         12
        .size:           4
        .value_kind:     by_value
      - .offset:         16
        .size:           4
        .value_kind:     by_value
      - .offset:         20
        .size:           4
        .value_kind:     by_value
      - .offset:         24
        .size:           4
        .value_kind:     by_value
      - .offset:         28
        .size:           4
        .value_kind:     by_value
      - .actual_access:  read_only
        .address_space:  global
        .offset:         32
        .size:           8
        .value_kind:     global_buffer
      - .actual_access:  read_only
        .address_space:  global
        .offset:         40
        .size:           8
        .value_kind:     global_buffer
      - .actual_access:  read_only
        .address_space:  global
        .offset:         48
        .size:           8
        .value_kind:     global_buffer
      - .offset:         56
        .size:           4
        .value_kind:     by_value
      - .actual_access:  write_only
        .address_space:  global
        .offset:         64
        .size:           8
        .value_kind:     global_buffer
      - .actual_access:  read_only
        .address_space:  global
        .offset:         72
        .size:           8
        .value_kind:     global_buffer
      - .actual_access:  write_only
        .address_space:  global
        .offset:         80
        .size:           8
        .value_kind:     global_buffer
    .group_segment_fixed_size: 2064
    .kernarg_segment_align: 8
    .kernarg_segment_size: 88
    .language:       OpenCL C
    .language_version:
      - 2
      - 0
    .max_flat_workgroup_size: 256
    .name:           _ZN9rocsparseL44csr2gebsr_wavefront_per_row_multipass_kernelILi256ELi2ELi8ELi16E21rocsparse_complex_numIfEEEv20rocsparse_direction_iiiiii21rocsparse_index_base_PKT3_PKiS9_S4_PS5_PiSB_
    .private_segment_fixed_size: 0
    .sgpr_count:     32
    .sgpr_spill_count: 0
    .symbol:         _ZN9rocsparseL44csr2gebsr_wavefront_per_row_multipass_kernelILi256ELi2ELi8ELi16E21rocsparse_complex_numIfEEEv20rocsparse_direction_iiiiii21rocsparse_index_base_PKT3_PKiS9_S4_PS5_PiSB_.kd
    .uniform_work_group_size: 1
    .uses_dynamic_stack: false
    .vgpr_count:     30
    .vgpr_spill_count: 0
    .wavefront_size: 64
  - .agpr_count:     0
    .args:
      - .offset:         0
        .size:           4
        .value_kind:     by_value
      - .offset:         4
        .size:           4
        .value_kind:     by_value
      - .offset:         8
        .size:           4
        .value_kind:     by_value
      - .offset:         12
        .size:           4
        .value_kind:     by_value
      - .offset:         16
        .size:           4
        .value_kind:     by_value
      - .offset:         20
        .size:           4
        .value_kind:     by_value
      - .offset:         24
        .size:           4
        .value_kind:     by_value
      - .offset:         28
        .size:           4
        .value_kind:     by_value
      - .actual_access:  read_only
        .address_space:  global
        .offset:         32
        .size:           8
        .value_kind:     global_buffer
      - .actual_access:  read_only
        .address_space:  global
        .offset:         40
        .size:           8
        .value_kind:     global_buffer
      - .actual_access:  read_only
        .address_space:  global
        .offset:         48
        .size:           8
        .value_kind:     global_buffer
      - .offset:         56
        .size:           4
        .value_kind:     by_value
      - .actual_access:  write_only
        .address_space:  global
        .offset:         64
        .size:           8
        .value_kind:     global_buffer
      - .actual_access:  read_only
        .address_space:  global
        .offset:         72
        .size:           8
        .value_kind:     global_buffer
      - .actual_access:  write_only
        .address_space:  global
        .offset:         80
        .size:           8
        .value_kind:     global_buffer
    .group_segment_fixed_size: 2056
    .kernarg_segment_align: 8
    .kernarg_segment_size: 88
    .language:       OpenCL C
    .language_version:
      - 2
      - 0
    .max_flat_workgroup_size: 256
    .name:           _ZN9rocsparseL44csr2gebsr_wavefront_per_row_multipass_kernelILi256ELi2ELi16ELi32E21rocsparse_complex_numIfEEEv20rocsparse_direction_iiiiii21rocsparse_index_base_PKT3_PKiS9_S4_PS5_PiSB_
    .private_segment_fixed_size: 0
    .sgpr_count:     34
    .sgpr_spill_count: 0
    .symbol:         _ZN9rocsparseL44csr2gebsr_wavefront_per_row_multipass_kernelILi256ELi2ELi16ELi32E21rocsparse_complex_numIfEEEv20rocsparse_direction_iiiiii21rocsparse_index_base_PKT3_PKiS9_S4_PS5_PiSB_.kd
    .uniform_work_group_size: 1
    .uses_dynamic_stack: false
    .vgpr_count:     30
    .vgpr_spill_count: 0
    .wavefront_size: 64
  - .agpr_count:     0
    .args:
      - .offset:         0
        .size:           4
        .value_kind:     by_value
      - .offset:         4
        .size:           4
        .value_kind:     by_value
      - .offset:         8
        .size:           4
        .value_kind:     by_value
      - .offset:         12
        .size:           4
        .value_kind:     by_value
      - .offset:         16
        .size:           4
        .value_kind:     by_value
      - .offset:         20
        .size:           4
        .value_kind:     by_value
      - .offset:         24
        .size:           4
        .value_kind:     by_value
      - .offset:         28
        .size:           4
        .value_kind:     by_value
      - .actual_access:  read_only
        .address_space:  global
        .offset:         32
        .size:           8
        .value_kind:     global_buffer
      - .actual_access:  read_only
        .address_space:  global
        .offset:         40
        .size:           8
        .value_kind:     global_buffer
      - .actual_access:  read_only
        .address_space:  global
        .offset:         48
        .size:           8
        .value_kind:     global_buffer
      - .offset:         56
        .size:           4
        .value_kind:     by_value
      - .actual_access:  write_only
        .address_space:  global
        .offset:         64
        .size:           8
        .value_kind:     global_buffer
      - .actual_access:  read_only
        .address_space:  global
        .offset:         72
        .size:           8
        .value_kind:     global_buffer
      - .actual_access:  write_only
        .address_space:  global
        .offset:         80
        .size:           8
        .value_kind:     global_buffer
    .group_segment_fixed_size: 2052
    .kernarg_segment_align: 8
    .kernarg_segment_size: 88
    .language:       OpenCL C
    .language_version:
      - 2
      - 0
    .max_flat_workgroup_size: 256
    .name:           _ZN9rocsparseL44csr2gebsr_wavefront_per_row_multipass_kernelILi256ELi2ELi32ELi64E21rocsparse_complex_numIfEEEv20rocsparse_direction_iiiiii21rocsparse_index_base_PKT3_PKiS9_S4_PS5_PiSB_
    .private_segment_fixed_size: 0
    .sgpr_count:     36
    .sgpr_spill_count: 0
    .symbol:         _ZN9rocsparseL44csr2gebsr_wavefront_per_row_multipass_kernelILi256ELi2ELi32ELi64E21rocsparse_complex_numIfEEEv20rocsparse_direction_iiiiii21rocsparse_index_base_PKT3_PKiS9_S4_PS5_PiSB_.kd
    .uniform_work_group_size: 1
    .uses_dynamic_stack: false
    .vgpr_count:     30
    .vgpr_spill_count: 0
    .wavefront_size: 64
  - .agpr_count:     0
    .args:
      - .offset:         0
        .size:           4
        .value_kind:     by_value
      - .offset:         4
        .size:           4
        .value_kind:     by_value
      - .offset:         8
        .size:           4
        .value_kind:     by_value
      - .offset:         12
        .size:           4
        .value_kind:     by_value
      - .offset:         16
        .size:           4
        .value_kind:     by_value
      - .offset:         20
        .size:           4
        .value_kind:     by_value
      - .offset:         24
        .size:           4
        .value_kind:     by_value
      - .offset:         28
        .size:           4
        .value_kind:     by_value
      - .actual_access:  read_only
        .address_space:  global
        .offset:         32
        .size:           8
        .value_kind:     global_buffer
      - .actual_access:  read_only
        .address_space:  global
        .offset:         40
        .size:           8
        .value_kind:     global_buffer
      - .actual_access:  read_only
        .address_space:  global
        .offset:         48
        .size:           8
        .value_kind:     global_buffer
      - .offset:         56
        .size:           4
        .value_kind:     by_value
      - .actual_access:  write_only
        .address_space:  global
        .offset:         64
        .size:           8
        .value_kind:     global_buffer
      - .actual_access:  read_only
        .address_space:  global
        .offset:         72
        .size:           8
        .value_kind:     global_buffer
      - .actual_access:  write_only
        .address_space:  global
        .offset:         80
        .size:           8
        .value_kind:     global_buffer
    .group_segment_fixed_size: 4104
    .kernarg_segment_align: 8
    .kernarg_segment_size: 88
    .language:       OpenCL C
    .language_version:
      - 2
      - 0
    .max_flat_workgroup_size: 256
    .name:           _ZN9rocsparseL44csr2gebsr_wavefront_per_row_multipass_kernelILi256ELi2ELi32ELi32E21rocsparse_complex_numIfEEEv20rocsparse_direction_iiiiii21rocsparse_index_base_PKT3_PKiS9_S4_PS5_PiSB_
    .private_segment_fixed_size: 0
    .sgpr_count:     42
    .sgpr_spill_count: 0
    .symbol:         _ZN9rocsparseL44csr2gebsr_wavefront_per_row_multipass_kernelILi256ELi2ELi32ELi32E21rocsparse_complex_numIfEEEv20rocsparse_direction_iiiiii21rocsparse_index_base_PKT3_PKiS9_S4_PS5_PiSB_.kd
    .uniform_work_group_size: 1
    .uses_dynamic_stack: false
    .vgpr_count:     36
    .vgpr_spill_count: 0
    .wavefront_size: 64
  - .agpr_count:     0
    .args:
      - .offset:         0
        .size:           4
        .value_kind:     by_value
      - .offset:         4
        .size:           4
        .value_kind:     by_value
      - .offset:         8
        .size:           4
        .value_kind:     by_value
      - .offset:         12
        .size:           4
        .value_kind:     by_value
      - .offset:         16
        .size:           4
        .value_kind:     by_value
      - .offset:         20
        .size:           4
        .value_kind:     by_value
      - .offset:         24
        .size:           4
        .value_kind:     by_value
      - .offset:         28
        .size:           4
        .value_kind:     by_value
      - .actual_access:  read_only
        .address_space:  global
        .offset:         32
        .size:           8
        .value_kind:     global_buffer
      - .actual_access:  read_only
        .address_space:  global
        .offset:         40
        .size:           8
        .value_kind:     global_buffer
      - .actual_access:  read_only
        .address_space:  global
        .offset:         48
        .size:           8
        .value_kind:     global_buffer
      - .offset:         56
        .size:           4
        .value_kind:     by_value
      - .actual_access:  write_only
        .address_space:  global
        .offset:         64
        .size:           8
        .value_kind:     global_buffer
      - .actual_access:  read_only
        .address_space:  global
        .offset:         72
        .size:           8
        .value_kind:     global_buffer
      - .actual_access:  write_only
        .address_space:  global
        .offset:         80
        .size:           8
        .value_kind:     global_buffer
    .group_segment_fixed_size: 4100
    .kernarg_segment_align: 8
    .kernarg_segment_size: 88
    .language:       OpenCL C
    .language_version:
      - 2
      - 0
    .max_flat_workgroup_size: 256
    .name:           _ZN9rocsparseL44csr2gebsr_wavefront_per_row_multipass_kernelILi256ELi2ELi64ELi64E21rocsparse_complex_numIfEEEv20rocsparse_direction_iiiiii21rocsparse_index_base_PKT3_PKiS9_S4_PS5_PiSB_
    .private_segment_fixed_size: 0
    .sgpr_count:     42
    .sgpr_spill_count: 0
    .symbol:         _ZN9rocsparseL44csr2gebsr_wavefront_per_row_multipass_kernelILi256ELi2ELi64ELi64E21rocsparse_complex_numIfEEEv20rocsparse_direction_iiiiii21rocsparse_index_base_PKT3_PKiS9_S4_PS5_PiSB_.kd
    .uniform_work_group_size: 1
    .uses_dynamic_stack: false
    .vgpr_count:     36
    .vgpr_spill_count: 0
    .wavefront_size: 64
  - .agpr_count:     0
    .args:
      - .offset:         0
        .size:           4
        .value_kind:     by_value
      - .offset:         4
        .size:           4
        .value_kind:     by_value
      - .offset:         8
        .size:           4
        .value_kind:     by_value
      - .offset:         12
        .size:           4
        .value_kind:     by_value
      - .offset:         16
        .size:           4
        .value_kind:     by_value
      - .offset:         20
        .size:           4
        .value_kind:     by_value
      - .offset:         24
        .size:           4
        .value_kind:     by_value
      - .offset:         28
        .size:           4
        .value_kind:     by_value
      - .actual_access:  read_only
        .address_space:  global
        .offset:         32
        .size:           8
        .value_kind:     global_buffer
      - .actual_access:  read_only
        .address_space:  global
        .offset:         40
        .size:           8
        .value_kind:     global_buffer
      - .actual_access:  read_only
        .address_space:  global
        .offset:         48
        .size:           8
        .value_kind:     global_buffer
      - .offset:         56
        .size:           4
        .value_kind:     by_value
      - .actual_access:  write_only
        .address_space:  global
        .offset:         64
        .size:           8
        .value_kind:     global_buffer
      - .actual_access:  read_only
        .address_space:  global
        .offset:         72
        .size:           8
        .value_kind:     global_buffer
      - .actual_access:  write_only
        .address_space:  global
        .offset:         80
        .size:           8
        .value_kind:     global_buffer
    .group_segment_fixed_size: 8200
    .kernarg_segment_align: 8
    .kernarg_segment_size: 88
    .language:       OpenCL C
    .language_version:
      - 2
      - 0
    .max_flat_workgroup_size: 256
    .name:           _ZN9rocsparseL44csr2gebsr_wavefront_per_row_multipass_kernelILi256ELi2ELi64ELi32E21rocsparse_complex_numIfEEEv20rocsparse_direction_iiiiii21rocsparse_index_base_PKT3_PKiS9_S4_PS5_PiSB_
    .private_segment_fixed_size: 0
    .sgpr_count:     48
    .sgpr_spill_count: 0
    .symbol:         _ZN9rocsparseL44csr2gebsr_wavefront_per_row_multipass_kernelILi256ELi2ELi64ELi32E21rocsparse_complex_numIfEEEv20rocsparse_direction_iiiiii21rocsparse_index_base_PKT3_PKiS9_S4_PS5_PiSB_.kd
    .uniform_work_group_size: 1
    .uses_dynamic_stack: false
    .vgpr_count:     40
    .vgpr_spill_count: 0
    .wavefront_size: 64
  - .agpr_count:     0
    .args:
      - .offset:         0
        .size:           4
        .value_kind:     by_value
      - .offset:         4
        .size:           4
        .value_kind:     by_value
      - .offset:         8
        .size:           4
        .value_kind:     by_value
      - .offset:         12
        .size:           4
        .value_kind:     by_value
      - .offset:         16
        .size:           4
        .value_kind:     by_value
      - .offset:         20
        .size:           4
        .value_kind:     by_value
      - .offset:         24
        .size:           4
        .value_kind:     by_value
      - .offset:         28
        .size:           4
        .value_kind:     by_value
      - .actual_access:  read_only
        .address_space:  global
        .offset:         32
        .size:           8
        .value_kind:     global_buffer
      - .actual_access:  read_only
        .address_space:  global
        .offset:         40
        .size:           8
        .value_kind:     global_buffer
      - .actual_access:  read_only
        .address_space:  global
        .offset:         48
        .size:           8
        .value_kind:     global_buffer
      - .offset:         56
        .size:           4
        .value_kind:     by_value
      - .actual_access:  write_only
        .address_space:  global
        .offset:         64
        .size:           8
        .value_kind:     global_buffer
      - .actual_access:  read_only
        .address_space:  global
        .offset:         72
        .size:           8
        .value_kind:     global_buffer
      - .actual_access:  write_only
        .address_space:  global
        .offset:         80
        .size:           8
        .value_kind:     global_buffer
    .group_segment_fixed_size: 2080
    .kernarg_segment_align: 8
    .kernarg_segment_size: 88
    .language:       OpenCL C
    .language_version:
      - 2
      - 0
    .max_flat_workgroup_size: 256
    .name:           _ZN9rocsparseL44csr2gebsr_wavefront_per_row_multipass_kernelILi256ELi4ELi2ELi8E21rocsparse_complex_numIfEEEv20rocsparse_direction_iiiiii21rocsparse_index_base_PKT3_PKiS9_S4_PS5_PiSB_
    .private_segment_fixed_size: 0
    .sgpr_count:     32
    .sgpr_spill_count: 0
    .symbol:         _ZN9rocsparseL44csr2gebsr_wavefront_per_row_multipass_kernelILi256ELi4ELi2ELi8E21rocsparse_complex_numIfEEEv20rocsparse_direction_iiiiii21rocsparse_index_base_PKT3_PKiS9_S4_PS5_PiSB_.kd
    .uniform_work_group_size: 1
    .uses_dynamic_stack: false
    .vgpr_count:     30
    .vgpr_spill_count: 0
    .wavefront_size: 64
  - .agpr_count:     0
    .args:
      - .offset:         0
        .size:           4
        .value_kind:     by_value
      - .offset:         4
        .size:           4
        .value_kind:     by_value
      - .offset:         8
        .size:           4
        .value_kind:     by_value
      - .offset:         12
        .size:           4
        .value_kind:     by_value
      - .offset:         16
        .size:           4
        .value_kind:     by_value
      - .offset:         20
        .size:           4
        .value_kind:     by_value
      - .offset:         24
        .size:           4
        .value_kind:     by_value
      - .offset:         28
        .size:           4
        .value_kind:     by_value
      - .actual_access:  read_only
        .address_space:  global
        .offset:         32
        .size:           8
        .value_kind:     global_buffer
      - .actual_access:  read_only
        .address_space:  global
        .offset:         40
        .size:           8
        .value_kind:     global_buffer
      - .actual_access:  read_only
        .address_space:  global
        .offset:         48
        .size:           8
        .value_kind:     global_buffer
      - .offset:         56
        .size:           4
        .value_kind:     by_value
      - .actual_access:  write_only
        .address_space:  global
        .offset:         64
        .size:           8
        .value_kind:     global_buffer
      - .actual_access:  read_only
        .address_space:  global
        .offset:         72
        .size:           8
        .value_kind:     global_buffer
      - .actual_access:  write_only
        .address_space:  global
        .offset:         80
        .size:           8
        .value_kind:     global_buffer
    .group_segment_fixed_size: 2064
    .kernarg_segment_align: 8
    .kernarg_segment_size: 88
    .language:       OpenCL C
    .language_version:
      - 2
      - 0
    .max_flat_workgroup_size: 256
    .name:           _ZN9rocsparseL44csr2gebsr_wavefront_per_row_multipass_kernelILi256ELi4ELi4ELi16E21rocsparse_complex_numIfEEEv20rocsparse_direction_iiiiii21rocsparse_index_base_PKT3_PKiS9_S4_PS5_PiSB_
    .private_segment_fixed_size: 0
    .sgpr_count:     32
    .sgpr_spill_count: 0
    .symbol:         _ZN9rocsparseL44csr2gebsr_wavefront_per_row_multipass_kernelILi256ELi4ELi4ELi16E21rocsparse_complex_numIfEEEv20rocsparse_direction_iiiiii21rocsparse_index_base_PKT3_PKiS9_S4_PS5_PiSB_.kd
    .uniform_work_group_size: 1
    .uses_dynamic_stack: false
    .vgpr_count:     30
    .vgpr_spill_count: 0
    .wavefront_size: 64
  - .agpr_count:     0
    .args:
      - .offset:         0
        .size:           4
        .value_kind:     by_value
      - .offset:         4
        .size:           4
        .value_kind:     by_value
      - .offset:         8
        .size:           4
        .value_kind:     by_value
      - .offset:         12
        .size:           4
        .value_kind:     by_value
      - .offset:         16
        .size:           4
        .value_kind:     by_value
      - .offset:         20
        .size:           4
        .value_kind:     by_value
      - .offset:         24
        .size:           4
        .value_kind:     by_value
      - .offset:         28
        .size:           4
        .value_kind:     by_value
      - .actual_access:  read_only
        .address_space:  global
        .offset:         32
        .size:           8
        .value_kind:     global_buffer
      - .actual_access:  read_only
        .address_space:  global
        .offset:         40
        .size:           8
        .value_kind:     global_buffer
      - .actual_access:  read_only
        .address_space:  global
        .offset:         48
        .size:           8
        .value_kind:     global_buffer
      - .offset:         56
        .size:           4
        .value_kind:     by_value
      - .actual_access:  write_only
        .address_space:  global
        .offset:         64
        .size:           8
        .value_kind:     global_buffer
      - .actual_access:  read_only
        .address_space:  global
        .offset:         72
        .size:           8
        .value_kind:     global_buffer
      - .actual_access:  write_only
        .address_space:  global
        .offset:         80
        .size:           8
        .value_kind:     global_buffer
    .group_segment_fixed_size: 2056
    .kernarg_segment_align: 8
    .kernarg_segment_size: 88
    .language:       OpenCL C
    .language_version:
      - 2
      - 0
    .max_flat_workgroup_size: 256
    .name:           _ZN9rocsparseL44csr2gebsr_wavefront_per_row_multipass_kernelILi256ELi4ELi8ELi32E21rocsparse_complex_numIfEEEv20rocsparse_direction_iiiiii21rocsparse_index_base_PKT3_PKiS9_S4_PS5_PiSB_
    .private_segment_fixed_size: 0
    .sgpr_count:     32
    .sgpr_spill_count: 0
    .symbol:         _ZN9rocsparseL44csr2gebsr_wavefront_per_row_multipass_kernelILi256ELi4ELi8ELi32E21rocsparse_complex_numIfEEEv20rocsparse_direction_iiiiii21rocsparse_index_base_PKT3_PKiS9_S4_PS5_PiSB_.kd
    .uniform_work_group_size: 1
    .uses_dynamic_stack: false
    .vgpr_count:     30
    .vgpr_spill_count: 0
    .wavefront_size: 64
  - .agpr_count:     0
    .args:
      - .offset:         0
        .size:           4
        .value_kind:     by_value
      - .offset:         4
        .size:           4
        .value_kind:     by_value
      - .offset:         8
        .size:           4
        .value_kind:     by_value
      - .offset:         12
        .size:           4
        .value_kind:     by_value
      - .offset:         16
        .size:           4
        .value_kind:     by_value
      - .offset:         20
        .size:           4
        .value_kind:     by_value
      - .offset:         24
        .size:           4
        .value_kind:     by_value
      - .offset:         28
        .size:           4
        .value_kind:     by_value
      - .actual_access:  read_only
        .address_space:  global
        .offset:         32
        .size:           8
        .value_kind:     global_buffer
      - .actual_access:  read_only
        .address_space:  global
        .offset:         40
        .size:           8
        .value_kind:     global_buffer
      - .actual_access:  read_only
        .address_space:  global
        .offset:         48
        .size:           8
        .value_kind:     global_buffer
      - .offset:         56
        .size:           4
        .value_kind:     by_value
      - .actual_access:  write_only
        .address_space:  global
        .offset:         64
        .size:           8
        .value_kind:     global_buffer
      - .actual_access:  read_only
        .address_space:  global
        .offset:         72
        .size:           8
        .value_kind:     global_buffer
      - .actual_access:  write_only
        .address_space:  global
        .offset:         80
        .size:           8
        .value_kind:     global_buffer
    .group_segment_fixed_size: 2052
    .kernarg_segment_align: 8
    .kernarg_segment_size: 88
    .language:       OpenCL C
    .language_version:
      - 2
      - 0
    .max_flat_workgroup_size: 256
    .name:           _ZN9rocsparseL44csr2gebsr_wavefront_per_row_multipass_kernelILi256ELi4ELi16ELi64E21rocsparse_complex_numIfEEEv20rocsparse_direction_iiiiii21rocsparse_index_base_PKT3_PKiS9_S4_PS5_PiSB_
    .private_segment_fixed_size: 0
    .sgpr_count:     34
    .sgpr_spill_count: 0
    .symbol:         _ZN9rocsparseL44csr2gebsr_wavefront_per_row_multipass_kernelILi256ELi4ELi16ELi64E21rocsparse_complex_numIfEEEv20rocsparse_direction_iiiiii21rocsparse_index_base_PKT3_PKiS9_S4_PS5_PiSB_.kd
    .uniform_work_group_size: 1
    .uses_dynamic_stack: false
    .vgpr_count:     30
    .vgpr_spill_count: 0
    .wavefront_size: 64
  - .agpr_count:     0
    .args:
      - .offset:         0
        .size:           4
        .value_kind:     by_value
      - .offset:         4
        .size:           4
        .value_kind:     by_value
      - .offset:         8
        .size:           4
        .value_kind:     by_value
      - .offset:         12
        .size:           4
        .value_kind:     by_value
      - .offset:         16
        .size:           4
        .value_kind:     by_value
      - .offset:         20
        .size:           4
        .value_kind:     by_value
      - .offset:         24
        .size:           4
        .value_kind:     by_value
      - .offset:         28
        .size:           4
        .value_kind:     by_value
      - .actual_access:  read_only
        .address_space:  global
        .offset:         32
        .size:           8
        .value_kind:     global_buffer
      - .actual_access:  read_only
        .address_space:  global
        .offset:         40
        .size:           8
        .value_kind:     global_buffer
      - .actual_access:  read_only
        .address_space:  global
        .offset:         48
        .size:           8
        .value_kind:     global_buffer
      - .offset:         56
        .size:           4
        .value_kind:     by_value
      - .actual_access:  write_only
        .address_space:  global
        .offset:         64
        .size:           8
        .value_kind:     global_buffer
      - .actual_access:  read_only
        .address_space:  global
        .offset:         72
        .size:           8
        .value_kind:     global_buffer
      - .actual_access:  write_only
        .address_space:  global
        .offset:         80
        .size:           8
        .value_kind:     global_buffer
    .group_segment_fixed_size: 4104
    .kernarg_segment_align: 8
    .kernarg_segment_size: 88
    .language:       OpenCL C
    .language_version:
      - 2
      - 0
    .max_flat_workgroup_size: 256
    .name:           _ZN9rocsparseL44csr2gebsr_wavefront_per_row_multipass_kernelILi256ELi4ELi16ELi32E21rocsparse_complex_numIfEEEv20rocsparse_direction_iiiiii21rocsparse_index_base_PKT3_PKiS9_S4_PS5_PiSB_
    .private_segment_fixed_size: 0
    .sgpr_count:     38
    .sgpr_spill_count: 0
    .symbol:         _ZN9rocsparseL44csr2gebsr_wavefront_per_row_multipass_kernelILi256ELi4ELi16ELi32E21rocsparse_complex_numIfEEEv20rocsparse_direction_iiiiii21rocsparse_index_base_PKT3_PKiS9_S4_PS5_PiSB_.kd
    .uniform_work_group_size: 1
    .uses_dynamic_stack: false
    .vgpr_count:     36
    .vgpr_spill_count: 0
    .wavefront_size: 64
  - .agpr_count:     0
    .args:
      - .offset:         0
        .size:           4
        .value_kind:     by_value
      - .offset:         4
        .size:           4
        .value_kind:     by_value
      - .offset:         8
        .size:           4
        .value_kind:     by_value
      - .offset:         12
        .size:           4
        .value_kind:     by_value
      - .offset:         16
        .size:           4
        .value_kind:     by_value
      - .offset:         20
        .size:           4
        .value_kind:     by_value
      - .offset:         24
        .size:           4
        .value_kind:     by_value
      - .offset:         28
        .size:           4
        .value_kind:     by_value
      - .actual_access:  read_only
        .address_space:  global
        .offset:         32
        .size:           8
        .value_kind:     global_buffer
      - .actual_access:  read_only
        .address_space:  global
        .offset:         40
        .size:           8
        .value_kind:     global_buffer
      - .actual_access:  read_only
        .address_space:  global
        .offset:         48
        .size:           8
        .value_kind:     global_buffer
      - .offset:         56
        .size:           4
        .value_kind:     by_value
      - .actual_access:  write_only
        .address_space:  global
        .offset:         64
        .size:           8
        .value_kind:     global_buffer
      - .actual_access:  read_only
        .address_space:  global
        .offset:         72
        .size:           8
        .value_kind:     global_buffer
      - .actual_access:  write_only
        .address_space:  global
        .offset:         80
        .size:           8
        .value_kind:     global_buffer
    .group_segment_fixed_size: 4100
    .kernarg_segment_align: 8
    .kernarg_segment_size: 88
    .language:       OpenCL C
    .language_version:
      - 2
      - 0
    .max_flat_workgroup_size: 256
    .name:           _ZN9rocsparseL44csr2gebsr_wavefront_per_row_multipass_kernelILi256ELi4ELi32ELi64E21rocsparse_complex_numIfEEEv20rocsparse_direction_iiiiii21rocsparse_index_base_PKT3_PKiS9_S4_PS5_PiSB_
    .private_segment_fixed_size: 0
    .sgpr_count:     42
    .sgpr_spill_count: 0
    .symbol:         _ZN9rocsparseL44csr2gebsr_wavefront_per_row_multipass_kernelILi256ELi4ELi32ELi64E21rocsparse_complex_numIfEEEv20rocsparse_direction_iiiiii21rocsparse_index_base_PKT3_PKiS9_S4_PS5_PiSB_.kd
    .uniform_work_group_size: 1
    .uses_dynamic_stack: false
    .vgpr_count:     36
    .vgpr_spill_count: 0
    .wavefront_size: 64
  - .agpr_count:     0
    .args:
      - .offset:         0
        .size:           4
        .value_kind:     by_value
      - .offset:         4
        .size:           4
        .value_kind:     by_value
      - .offset:         8
        .size:           4
        .value_kind:     by_value
      - .offset:         12
        .size:           4
        .value_kind:     by_value
      - .offset:         16
        .size:           4
        .value_kind:     by_value
      - .offset:         20
        .size:           4
        .value_kind:     by_value
      - .offset:         24
        .size:           4
        .value_kind:     by_value
      - .offset:         28
        .size:           4
        .value_kind:     by_value
      - .actual_access:  read_only
        .address_space:  global
        .offset:         32
        .size:           8
        .value_kind:     global_buffer
      - .actual_access:  read_only
        .address_space:  global
        .offset:         40
        .size:           8
        .value_kind:     global_buffer
      - .actual_access:  read_only
        .address_space:  global
        .offset:         48
        .size:           8
        .value_kind:     global_buffer
      - .offset:         56
        .size:           4
        .value_kind:     by_value
      - .actual_access:  write_only
        .address_space:  global
        .offset:         64
        .size:           8
        .value_kind:     global_buffer
      - .actual_access:  read_only
        .address_space:  global
        .offset:         72
        .size:           8
        .value_kind:     global_buffer
      - .actual_access:  write_only
        .address_space:  global
        .offset:         80
        .size:           8
        .value_kind:     global_buffer
    .group_segment_fixed_size: 8200
    .kernarg_segment_align: 8
    .kernarg_segment_size: 88
    .language:       OpenCL C
    .language_version:
      - 2
      - 0
    .max_flat_workgroup_size: 256
    .name:           _ZN9rocsparseL44csr2gebsr_wavefront_per_row_multipass_kernelILi256ELi4ELi32ELi32E21rocsparse_complex_numIfEEEv20rocsparse_direction_iiiiii21rocsparse_index_base_PKT3_PKiS9_S4_PS5_PiSB_
    .private_segment_fixed_size: 0
    .sgpr_count:     46
    .sgpr_spill_count: 0
    .symbol:         _ZN9rocsparseL44csr2gebsr_wavefront_per_row_multipass_kernelILi256ELi4ELi32ELi32E21rocsparse_complex_numIfEEEv20rocsparse_direction_iiiiii21rocsparse_index_base_PKT3_PKiS9_S4_PS5_PiSB_.kd
    .uniform_work_group_size: 1
    .uses_dynamic_stack: false
    .vgpr_count:     40
    .vgpr_spill_count: 0
    .wavefront_size: 64
  - .agpr_count:     0
    .args:
      - .offset:         0
        .size:           4
        .value_kind:     by_value
      - .offset:         4
        .size:           4
        .value_kind:     by_value
      - .offset:         8
        .size:           4
        .value_kind:     by_value
      - .offset:         12
        .size:           4
        .value_kind:     by_value
      - .offset:         16
        .size:           4
        .value_kind:     by_value
      - .offset:         20
        .size:           4
        .value_kind:     by_value
      - .offset:         24
        .size:           4
        .value_kind:     by_value
      - .offset:         28
        .size:           4
        .value_kind:     by_value
      - .actual_access:  read_only
        .address_space:  global
        .offset:         32
        .size:           8
        .value_kind:     global_buffer
      - .actual_access:  read_only
        .address_space:  global
        .offset:         40
        .size:           8
        .value_kind:     global_buffer
      - .actual_access:  read_only
        .address_space:  global
        .offset:         48
        .size:           8
        .value_kind:     global_buffer
      - .offset:         56
        .size:           4
        .value_kind:     by_value
      - .actual_access:  write_only
        .address_space:  global
        .offset:         64
        .size:           8
        .value_kind:     global_buffer
      - .actual_access:  read_only
        .address_space:  global
        .offset:         72
        .size:           8
        .value_kind:     global_buffer
      - .actual_access:  write_only
        .address_space:  global
        .offset:         80
        .size:           8
        .value_kind:     global_buffer
    .group_segment_fixed_size: 8196
    .kernarg_segment_align: 8
    .kernarg_segment_size: 88
    .language:       OpenCL C
    .language_version:
      - 2
      - 0
    .max_flat_workgroup_size: 256
    .name:           _ZN9rocsparseL44csr2gebsr_wavefront_per_row_multipass_kernelILi256ELi4ELi64ELi64E21rocsparse_complex_numIfEEEv20rocsparse_direction_iiiiii21rocsparse_index_base_PKT3_PKiS9_S4_PS5_PiSB_
    .private_segment_fixed_size: 0
    .sgpr_count:     48
    .sgpr_spill_count: 0
    .symbol:         _ZN9rocsparseL44csr2gebsr_wavefront_per_row_multipass_kernelILi256ELi4ELi64ELi64E21rocsparse_complex_numIfEEEv20rocsparse_direction_iiiiii21rocsparse_index_base_PKT3_PKiS9_S4_PS5_PiSB_.kd
    .uniform_work_group_size: 1
    .uses_dynamic_stack: false
    .vgpr_count:     40
    .vgpr_spill_count: 0
    .wavefront_size: 64
  - .agpr_count:     0
    .args:
      - .offset:         0
        .size:           4
        .value_kind:     by_value
      - .offset:         4
        .size:           4
        .value_kind:     by_value
      - .offset:         8
        .size:           4
        .value_kind:     by_value
      - .offset:         12
        .size:           4
        .value_kind:     by_value
      - .offset:         16
        .size:           4
        .value_kind:     by_value
      - .offset:         20
        .size:           4
        .value_kind:     by_value
      - .offset:         24
        .size:           4
        .value_kind:     by_value
      - .offset:         28
        .size:           4
        .value_kind:     by_value
      - .actual_access:  read_only
        .address_space:  global
        .offset:         32
        .size:           8
        .value_kind:     global_buffer
      - .actual_access:  read_only
        .address_space:  global
        .offset:         40
        .size:           8
        .value_kind:     global_buffer
      - .actual_access:  read_only
        .address_space:  global
        .offset:         48
        .size:           8
        .value_kind:     global_buffer
      - .offset:         56
        .size:           4
        .value_kind:     by_value
      - .actual_access:  write_only
        .address_space:  global
        .offset:         64
        .size:           8
        .value_kind:     global_buffer
      - .actual_access:  read_only
        .address_space:  global
        .offset:         72
        .size:           8
        .value_kind:     global_buffer
      - .actual_access:  write_only
        .address_space:  global
        .offset:         80
        .size:           8
        .value_kind:     global_buffer
    .group_segment_fixed_size: 16392
    .kernarg_segment_align: 8
    .kernarg_segment_size: 88
    .language:       OpenCL C
    .language_version:
      - 2
      - 0
    .max_flat_workgroup_size: 256
    .name:           _ZN9rocsparseL44csr2gebsr_wavefront_per_row_multipass_kernelILi256ELi4ELi64ELi32E21rocsparse_complex_numIfEEEv20rocsparse_direction_iiiiii21rocsparse_index_base_PKT3_PKiS9_S4_PS5_PiSB_
    .private_segment_fixed_size: 0
    .sgpr_count:     62
    .sgpr_spill_count: 0
    .symbol:         _ZN9rocsparseL44csr2gebsr_wavefront_per_row_multipass_kernelILi256ELi4ELi64ELi32E21rocsparse_complex_numIfEEEv20rocsparse_direction_iiiiii21rocsparse_index_base_PKT3_PKiS9_S4_PS5_PiSB_.kd
    .uniform_work_group_size: 1
    .uses_dynamic_stack: false
    .vgpr_count:     49
    .vgpr_spill_count: 0
    .wavefront_size: 64
  - .agpr_count:     0
    .args:
      - .offset:         0
        .size:           4
        .value_kind:     by_value
      - .offset:         4
        .size:           4
        .value_kind:     by_value
      - .offset:         8
        .size:           4
        .value_kind:     by_value
      - .offset:         12
        .size:           4
        .value_kind:     by_value
      - .offset:         16
        .size:           4
        .value_kind:     by_value
      - .offset:         20
        .size:           4
        .value_kind:     by_value
      - .offset:         24
        .size:           4
        .value_kind:     by_value
      - .offset:         28
        .size:           4
        .value_kind:     by_value
      - .actual_access:  read_only
        .address_space:  global
        .offset:         32
        .size:           8
        .value_kind:     global_buffer
      - .actual_access:  read_only
        .address_space:  global
        .offset:         40
        .size:           8
        .value_kind:     global_buffer
      - .actual_access:  read_only
        .address_space:  global
        .offset:         48
        .size:           8
        .value_kind:     global_buffer
      - .offset:         56
        .size:           4
        .value_kind:     by_value
      - .actual_access:  write_only
        .address_space:  global
        .offset:         64
        .size:           8
        .value_kind:     global_buffer
      - .actual_access:  read_only
        .address_space:  global
        .offset:         72
        .size:           8
        .value_kind:     global_buffer
      - .actual_access:  write_only
        .address_space:  global
        .offset:         80
        .size:           8
        .value_kind:     global_buffer
    .group_segment_fixed_size: 2064
    .kernarg_segment_align: 8
    .kernarg_segment_size: 88
    .language:       OpenCL C
    .language_version:
      - 2
      - 0
    .max_flat_workgroup_size: 256
    .name:           _ZN9rocsparseL44csr2gebsr_wavefront_per_row_multipass_kernelILi256ELi8ELi2ELi16E21rocsparse_complex_numIfEEEv20rocsparse_direction_iiiiii21rocsparse_index_base_PKT3_PKiS9_S4_PS5_PiSB_
    .private_segment_fixed_size: 0
    .sgpr_count:     32
    .sgpr_spill_count: 0
    .symbol:         _ZN9rocsparseL44csr2gebsr_wavefront_per_row_multipass_kernelILi256ELi8ELi2ELi16E21rocsparse_complex_numIfEEEv20rocsparse_direction_iiiiii21rocsparse_index_base_PKT3_PKiS9_S4_PS5_PiSB_.kd
    .uniform_work_group_size: 1
    .uses_dynamic_stack: false
    .vgpr_count:     30
    .vgpr_spill_count: 0
    .wavefront_size: 64
  - .agpr_count:     0
    .args:
      - .offset:         0
        .size:           4
        .value_kind:     by_value
      - .offset:         4
        .size:           4
        .value_kind:     by_value
      - .offset:         8
        .size:           4
        .value_kind:     by_value
      - .offset:         12
        .size:           4
        .value_kind:     by_value
      - .offset:         16
        .size:           4
        .value_kind:     by_value
      - .offset:         20
        .size:           4
        .value_kind:     by_value
      - .offset:         24
        .size:           4
        .value_kind:     by_value
      - .offset:         28
        .size:           4
        .value_kind:     by_value
      - .actual_access:  read_only
        .address_space:  global
        .offset:         32
        .size:           8
        .value_kind:     global_buffer
      - .actual_access:  read_only
        .address_space:  global
        .offset:         40
        .size:           8
        .value_kind:     global_buffer
      - .actual_access:  read_only
        .address_space:  global
        .offset:         48
        .size:           8
        .value_kind:     global_buffer
      - .offset:         56
        .size:           4
        .value_kind:     by_value
      - .actual_access:  write_only
        .address_space:  global
        .offset:         64
        .size:           8
        .value_kind:     global_buffer
      - .actual_access:  read_only
        .address_space:  global
        .offset:         72
        .size:           8
        .value_kind:     global_buffer
      - .actual_access:  write_only
        .address_space:  global
        .offset:         80
        .size:           8
        .value_kind:     global_buffer
    .group_segment_fixed_size: 2056
    .kernarg_segment_align: 8
    .kernarg_segment_size: 88
    .language:       OpenCL C
    .language_version:
      - 2
      - 0
    .max_flat_workgroup_size: 256
    .name:           _ZN9rocsparseL44csr2gebsr_wavefront_per_row_multipass_kernelILi256ELi8ELi4ELi32E21rocsparse_complex_numIfEEEv20rocsparse_direction_iiiiii21rocsparse_index_base_PKT3_PKiS9_S4_PS5_PiSB_
    .private_segment_fixed_size: 0
    .sgpr_count:     32
    .sgpr_spill_count: 0
    .symbol:         _ZN9rocsparseL44csr2gebsr_wavefront_per_row_multipass_kernelILi256ELi8ELi4ELi32E21rocsparse_complex_numIfEEEv20rocsparse_direction_iiiiii21rocsparse_index_base_PKT3_PKiS9_S4_PS5_PiSB_.kd
    .uniform_work_group_size: 1
    .uses_dynamic_stack: false
    .vgpr_count:     30
    .vgpr_spill_count: 0
    .wavefront_size: 64
  - .agpr_count:     0
    .args:
      - .offset:         0
        .size:           4
        .value_kind:     by_value
      - .offset:         4
        .size:           4
        .value_kind:     by_value
      - .offset:         8
        .size:           4
        .value_kind:     by_value
      - .offset:         12
        .size:           4
        .value_kind:     by_value
      - .offset:         16
        .size:           4
        .value_kind:     by_value
      - .offset:         20
        .size:           4
        .value_kind:     by_value
      - .offset:         24
        .size:           4
        .value_kind:     by_value
      - .offset:         28
        .size:           4
        .value_kind:     by_value
      - .actual_access:  read_only
        .address_space:  global
        .offset:         32
        .size:           8
        .value_kind:     global_buffer
      - .actual_access:  read_only
        .address_space:  global
        .offset:         40
        .size:           8
        .value_kind:     global_buffer
      - .actual_access:  read_only
        .address_space:  global
        .offset:         48
        .size:           8
        .value_kind:     global_buffer
      - .offset:         56
        .size:           4
        .value_kind:     by_value
      - .actual_access:  write_only
        .address_space:  global
        .offset:         64
        .size:           8
        .value_kind:     global_buffer
      - .actual_access:  read_only
        .address_space:  global
        .offset:         72
        .size:           8
        .value_kind:     global_buffer
      - .actual_access:  write_only
        .address_space:  global
        .offset:         80
        .size:           8
        .value_kind:     global_buffer
    .group_segment_fixed_size: 2052
    .kernarg_segment_align: 8
    .kernarg_segment_size: 88
    .language:       OpenCL C
    .language_version:
      - 2
      - 0
    .max_flat_workgroup_size: 256
    .name:           _ZN9rocsparseL44csr2gebsr_wavefront_per_row_multipass_kernelILi256ELi8ELi8ELi64E21rocsparse_complex_numIfEEEv20rocsparse_direction_iiiiii21rocsparse_index_base_PKT3_PKiS9_S4_PS5_PiSB_
    .private_segment_fixed_size: 0
    .sgpr_count:     32
    .sgpr_spill_count: 0
    .symbol:         _ZN9rocsparseL44csr2gebsr_wavefront_per_row_multipass_kernelILi256ELi8ELi8ELi64E21rocsparse_complex_numIfEEEv20rocsparse_direction_iiiiii21rocsparse_index_base_PKT3_PKiS9_S4_PS5_PiSB_.kd
    .uniform_work_group_size: 1
    .uses_dynamic_stack: false
    .vgpr_count:     30
    .vgpr_spill_count: 0
    .wavefront_size: 64
  - .agpr_count:     0
    .args:
      - .offset:         0
        .size:           4
        .value_kind:     by_value
      - .offset:         4
        .size:           4
        .value_kind:     by_value
      - .offset:         8
        .size:           4
        .value_kind:     by_value
      - .offset:         12
        .size:           4
        .value_kind:     by_value
      - .offset:         16
        .size:           4
        .value_kind:     by_value
      - .offset:         20
        .size:           4
        .value_kind:     by_value
      - .offset:         24
        .size:           4
        .value_kind:     by_value
      - .offset:         28
        .size:           4
        .value_kind:     by_value
      - .actual_access:  read_only
        .address_space:  global
        .offset:         32
        .size:           8
        .value_kind:     global_buffer
      - .actual_access:  read_only
        .address_space:  global
        .offset:         40
        .size:           8
        .value_kind:     global_buffer
      - .actual_access:  read_only
        .address_space:  global
        .offset:         48
        .size:           8
        .value_kind:     global_buffer
      - .offset:         56
        .size:           4
        .value_kind:     by_value
      - .actual_access:  write_only
        .address_space:  global
        .offset:         64
        .size:           8
        .value_kind:     global_buffer
      - .actual_access:  read_only
        .address_space:  global
        .offset:         72
        .size:           8
        .value_kind:     global_buffer
      - .actual_access:  write_only
        .address_space:  global
        .offset:         80
        .size:           8
        .value_kind:     global_buffer
    .group_segment_fixed_size: 4104
    .kernarg_segment_align: 8
    .kernarg_segment_size: 88
    .language:       OpenCL C
    .language_version:
      - 2
      - 0
    .max_flat_workgroup_size: 256
    .name:           _ZN9rocsparseL44csr2gebsr_wavefront_per_row_multipass_kernelILi256ELi8ELi8ELi32E21rocsparse_complex_numIfEEEv20rocsparse_direction_iiiiii21rocsparse_index_base_PKT3_PKiS9_S4_PS5_PiSB_
    .private_segment_fixed_size: 0
    .sgpr_count:     38
    .sgpr_spill_count: 0
    .symbol:         _ZN9rocsparseL44csr2gebsr_wavefront_per_row_multipass_kernelILi256ELi8ELi8ELi32E21rocsparse_complex_numIfEEEv20rocsparse_direction_iiiiii21rocsparse_index_base_PKT3_PKiS9_S4_PS5_PiSB_.kd
    .uniform_work_group_size: 1
    .uses_dynamic_stack: false
    .vgpr_count:     36
    .vgpr_spill_count: 0
    .wavefront_size: 64
  - .agpr_count:     0
    .args:
      - .offset:         0
        .size:           4
        .value_kind:     by_value
      - .offset:         4
        .size:           4
        .value_kind:     by_value
      - .offset:         8
        .size:           4
        .value_kind:     by_value
      - .offset:         12
        .size:           4
        .value_kind:     by_value
      - .offset:         16
        .size:           4
        .value_kind:     by_value
      - .offset:         20
        .size:           4
        .value_kind:     by_value
      - .offset:         24
        .size:           4
        .value_kind:     by_value
      - .offset:         28
        .size:           4
        .value_kind:     by_value
      - .actual_access:  read_only
        .address_space:  global
        .offset:         32
        .size:           8
        .value_kind:     global_buffer
      - .actual_access:  read_only
        .address_space:  global
        .offset:         40
        .size:           8
        .value_kind:     global_buffer
      - .actual_access:  read_only
        .address_space:  global
        .offset:         48
        .size:           8
        .value_kind:     global_buffer
      - .offset:         56
        .size:           4
        .value_kind:     by_value
      - .actual_access:  write_only
        .address_space:  global
        .offset:         64
        .size:           8
        .value_kind:     global_buffer
      - .actual_access:  read_only
        .address_space:  global
        .offset:         72
        .size:           8
        .value_kind:     global_buffer
      - .actual_access:  write_only
        .address_space:  global
        .offset:         80
        .size:           8
        .value_kind:     global_buffer
    .group_segment_fixed_size: 4100
    .kernarg_segment_align: 8
    .kernarg_segment_size: 88
    .language:       OpenCL C
    .language_version:
      - 2
      - 0
    .max_flat_workgroup_size: 256
    .name:           _ZN9rocsparseL44csr2gebsr_wavefront_per_row_multipass_kernelILi256ELi8ELi16ELi64E21rocsparse_complex_numIfEEEv20rocsparse_direction_iiiiii21rocsparse_index_base_PKT3_PKiS9_S4_PS5_PiSB_
    .private_segment_fixed_size: 0
    .sgpr_count:     38
    .sgpr_spill_count: 0
    .symbol:         _ZN9rocsparseL44csr2gebsr_wavefront_per_row_multipass_kernelILi256ELi8ELi16ELi64E21rocsparse_complex_numIfEEEv20rocsparse_direction_iiiiii21rocsparse_index_base_PKT3_PKiS9_S4_PS5_PiSB_.kd
    .uniform_work_group_size: 1
    .uses_dynamic_stack: false
    .vgpr_count:     36
    .vgpr_spill_count: 0
    .wavefront_size: 64
  - .agpr_count:     0
    .args:
      - .offset:         0
        .size:           4
        .value_kind:     by_value
      - .offset:         4
        .size:           4
        .value_kind:     by_value
      - .offset:         8
        .size:           4
        .value_kind:     by_value
      - .offset:         12
        .size:           4
        .value_kind:     by_value
      - .offset:         16
        .size:           4
        .value_kind:     by_value
      - .offset:         20
        .size:           4
        .value_kind:     by_value
      - .offset:         24
        .size:           4
        .value_kind:     by_value
      - .offset:         28
        .size:           4
        .value_kind:     by_value
      - .actual_access:  read_only
        .address_space:  global
        .offset:         32
        .size:           8
        .value_kind:     global_buffer
      - .actual_access:  read_only
        .address_space:  global
        .offset:         40
        .size:           8
        .value_kind:     global_buffer
      - .actual_access:  read_only
        .address_space:  global
        .offset:         48
        .size:           8
        .value_kind:     global_buffer
      - .offset:         56
        .size:           4
        .value_kind:     by_value
      - .actual_access:  write_only
        .address_space:  global
        .offset:         64
        .size:           8
        .value_kind:     global_buffer
      - .actual_access:  read_only
        .address_space:  global
        .offset:         72
        .size:           8
        .value_kind:     global_buffer
      - .actual_access:  write_only
        .address_space:  global
        .offset:         80
        .size:           8
        .value_kind:     global_buffer
    .group_segment_fixed_size: 8200
    .kernarg_segment_align: 8
    .kernarg_segment_size: 88
    .language:       OpenCL C
    .language_version:
      - 2
      - 0
    .max_flat_workgroup_size: 256
    .name:           _ZN9rocsparseL44csr2gebsr_wavefront_per_row_multipass_kernelILi256ELi8ELi16ELi32E21rocsparse_complex_numIfEEEv20rocsparse_direction_iiiiii21rocsparse_index_base_PKT3_PKiS9_S4_PS5_PiSB_
    .private_segment_fixed_size: 0
    .sgpr_count:     44
    .sgpr_spill_count: 0
    .symbol:         _ZN9rocsparseL44csr2gebsr_wavefront_per_row_multipass_kernelILi256ELi8ELi16ELi32E21rocsparse_complex_numIfEEEv20rocsparse_direction_iiiiii21rocsparse_index_base_PKT3_PKiS9_S4_PS5_PiSB_.kd
    .uniform_work_group_size: 1
    .uses_dynamic_stack: false
    .vgpr_count:     40
    .vgpr_spill_count: 0
    .wavefront_size: 64
  - .agpr_count:     0
    .args:
      - .offset:         0
        .size:           4
        .value_kind:     by_value
      - .offset:         4
        .size:           4
        .value_kind:     by_value
      - .offset:         8
        .size:           4
        .value_kind:     by_value
      - .offset:         12
        .size:           4
        .value_kind:     by_value
      - .offset:         16
        .size:           4
        .value_kind:     by_value
      - .offset:         20
        .size:           4
        .value_kind:     by_value
      - .offset:         24
        .size:           4
        .value_kind:     by_value
      - .offset:         28
        .size:           4
        .value_kind:     by_value
      - .actual_access:  read_only
        .address_space:  global
        .offset:         32
        .size:           8
        .value_kind:     global_buffer
      - .actual_access:  read_only
        .address_space:  global
        .offset:         40
        .size:           8
        .value_kind:     global_buffer
      - .actual_access:  read_only
        .address_space:  global
        .offset:         48
        .size:           8
        .value_kind:     global_buffer
      - .offset:         56
        .size:           4
        .value_kind:     by_value
      - .actual_access:  write_only
        .address_space:  global
        .offset:         64
        .size:           8
        .value_kind:     global_buffer
      - .actual_access:  read_only
        .address_space:  global
        .offset:         72
        .size:           8
        .value_kind:     global_buffer
      - .actual_access:  write_only
        .address_space:  global
        .offset:         80
        .size:           8
        .value_kind:     global_buffer
    .group_segment_fixed_size: 8196
    .kernarg_segment_align: 8
    .kernarg_segment_size: 88
    .language:       OpenCL C
    .language_version:
      - 2
      - 0
    .max_flat_workgroup_size: 256
    .name:           _ZN9rocsparseL44csr2gebsr_wavefront_per_row_multipass_kernelILi256ELi8ELi32ELi64E21rocsparse_complex_numIfEEEv20rocsparse_direction_iiiiii21rocsparse_index_base_PKT3_PKiS9_S4_PS5_PiSB_
    .private_segment_fixed_size: 0
    .sgpr_count:     46
    .sgpr_spill_count: 0
    .symbol:         _ZN9rocsparseL44csr2gebsr_wavefront_per_row_multipass_kernelILi256ELi8ELi32ELi64E21rocsparse_complex_numIfEEEv20rocsparse_direction_iiiiii21rocsparse_index_base_PKT3_PKiS9_S4_PS5_PiSB_.kd
    .uniform_work_group_size: 1
    .uses_dynamic_stack: false
    .vgpr_count:     40
    .vgpr_spill_count: 0
    .wavefront_size: 64
  - .agpr_count:     0
    .args:
      - .offset:         0
        .size:           4
        .value_kind:     by_value
      - .offset:         4
        .size:           4
        .value_kind:     by_value
      - .offset:         8
        .size:           4
        .value_kind:     by_value
      - .offset:         12
        .size:           4
        .value_kind:     by_value
      - .offset:         16
        .size:           4
        .value_kind:     by_value
      - .offset:         20
        .size:           4
        .value_kind:     by_value
      - .offset:         24
        .size:           4
        .value_kind:     by_value
      - .offset:         28
        .size:           4
        .value_kind:     by_value
      - .actual_access:  read_only
        .address_space:  global
        .offset:         32
        .size:           8
        .value_kind:     global_buffer
      - .actual_access:  read_only
        .address_space:  global
        .offset:         40
        .size:           8
        .value_kind:     global_buffer
      - .actual_access:  read_only
        .address_space:  global
        .offset:         48
        .size:           8
        .value_kind:     global_buffer
      - .offset:         56
        .size:           4
        .value_kind:     by_value
      - .actual_access:  write_only
        .address_space:  global
        .offset:         64
        .size:           8
        .value_kind:     global_buffer
      - .actual_access:  read_only
        .address_space:  global
        .offset:         72
        .size:           8
        .value_kind:     global_buffer
      - .actual_access:  write_only
        .address_space:  global
        .offset:         80
        .size:           8
        .value_kind:     global_buffer
    .group_segment_fixed_size: 16392
    .kernarg_segment_align: 8
    .kernarg_segment_size: 88
    .language:       OpenCL C
    .language_version:
      - 2
      - 0
    .max_flat_workgroup_size: 256
    .name:           _ZN9rocsparseL44csr2gebsr_wavefront_per_row_multipass_kernelILi256ELi8ELi32ELi32E21rocsparse_complex_numIfEEEv20rocsparse_direction_iiiiii21rocsparse_index_base_PKT3_PKiS9_S4_PS5_PiSB_
    .private_segment_fixed_size: 0
    .sgpr_count:     60
    .sgpr_spill_count: 0
    .symbol:         _ZN9rocsparseL44csr2gebsr_wavefront_per_row_multipass_kernelILi256ELi8ELi32ELi32E21rocsparse_complex_numIfEEEv20rocsparse_direction_iiiiii21rocsparse_index_base_PKT3_PKiS9_S4_PS5_PiSB_.kd
    .uniform_work_group_size: 1
    .uses_dynamic_stack: false
    .vgpr_count:     49
    .vgpr_spill_count: 0
    .wavefront_size: 64
  - .agpr_count:     0
    .args:
      - .offset:         0
        .size:           4
        .value_kind:     by_value
      - .offset:         4
        .size:           4
        .value_kind:     by_value
      - .offset:         8
        .size:           4
        .value_kind:     by_value
      - .offset:         12
        .size:           4
        .value_kind:     by_value
      - .offset:         16
        .size:           4
        .value_kind:     by_value
      - .offset:         20
        .size:           4
        .value_kind:     by_value
      - .offset:         24
        .size:           4
        .value_kind:     by_value
      - .offset:         28
        .size:           4
        .value_kind:     by_value
      - .actual_access:  read_only
        .address_space:  global
        .offset:         32
        .size:           8
        .value_kind:     global_buffer
      - .actual_access:  read_only
        .address_space:  global
        .offset:         40
        .size:           8
        .value_kind:     global_buffer
      - .actual_access:  read_only
        .address_space:  global
        .offset:         48
        .size:           8
        .value_kind:     global_buffer
      - .offset:         56
        .size:           4
        .value_kind:     by_value
      - .actual_access:  write_only
        .address_space:  global
        .offset:         64
        .size:           8
        .value_kind:     global_buffer
      - .actual_access:  read_only
        .address_space:  global
        .offset:         72
        .size:           8
        .value_kind:     global_buffer
      - .actual_access:  write_only
        .address_space:  global
        .offset:         80
        .size:           8
        .value_kind:     global_buffer
    .group_segment_fixed_size: 16388
    .kernarg_segment_align: 8
    .kernarg_segment_size: 88
    .language:       OpenCL C
    .language_version:
      - 2
      - 0
    .max_flat_workgroup_size: 256
    .name:           _ZN9rocsparseL44csr2gebsr_wavefront_per_row_multipass_kernelILi256ELi8ELi64ELi64E21rocsparse_complex_numIfEEEv20rocsparse_direction_iiiiii21rocsparse_index_base_PKT3_PKiS9_S4_PS5_PiSB_
    .private_segment_fixed_size: 0
    .sgpr_count:     62
    .sgpr_spill_count: 0
    .symbol:         _ZN9rocsparseL44csr2gebsr_wavefront_per_row_multipass_kernelILi256ELi8ELi64ELi64E21rocsparse_complex_numIfEEEv20rocsparse_direction_iiiiii21rocsparse_index_base_PKT3_PKiS9_S4_PS5_PiSB_.kd
    .uniform_work_group_size: 1
    .uses_dynamic_stack: false
    .vgpr_count:     49
    .vgpr_spill_count: 0
    .wavefront_size: 64
  - .agpr_count:     0
    .args:
      - .offset:         0
        .size:           4
        .value_kind:     by_value
      - .offset:         4
        .size:           4
        .value_kind:     by_value
      - .offset:         8
        .size:           4
        .value_kind:     by_value
      - .offset:         12
        .size:           4
        .value_kind:     by_value
      - .offset:         16
        .size:           4
        .value_kind:     by_value
      - .offset:         20
        .size:           4
        .value_kind:     by_value
      - .offset:         24
        .size:           4
        .value_kind:     by_value
      - .offset:         28
        .size:           4
        .value_kind:     by_value
      - .actual_access:  read_only
        .address_space:  global
        .offset:         32
        .size:           8
        .value_kind:     global_buffer
      - .actual_access:  read_only
        .address_space:  global
        .offset:         40
        .size:           8
        .value_kind:     global_buffer
      - .actual_access:  read_only
        .address_space:  global
        .offset:         48
        .size:           8
        .value_kind:     global_buffer
      - .offset:         56
        .size:           4
        .value_kind:     by_value
      - .actual_access:  write_only
        .address_space:  global
        .offset:         64
        .size:           8
        .value_kind:     global_buffer
      - .actual_access:  read_only
        .address_space:  global
        .offset:         72
        .size:           8
        .value_kind:     global_buffer
      - .actual_access:  write_only
        .address_space:  global
        .offset:         80
        .size:           8
        .value_kind:     global_buffer
    .group_segment_fixed_size: 16388
    .kernarg_segment_align: 8
    .kernarg_segment_size: 88
    .language:       OpenCL C
    .language_version:
      - 2
      - 0
    .max_flat_workgroup_size: 128
    .name:           _ZN9rocsparseL44csr2gebsr_wavefront_per_row_multipass_kernelILi128ELi8ELi64ELi32E21rocsparse_complex_numIfEEEv20rocsparse_direction_iiiiii21rocsparse_index_base_PKT3_PKiS9_S4_PS5_PiSB_
    .private_segment_fixed_size: 0
    .sgpr_count:     92
    .sgpr_spill_count: 0
    .symbol:         _ZN9rocsparseL44csr2gebsr_wavefront_per_row_multipass_kernelILi128ELi8ELi64ELi32E21rocsparse_complex_numIfEEEv20rocsparse_direction_iiiiii21rocsparse_index_base_PKT3_PKiS9_S4_PS5_PiSB_.kd
    .uniform_work_group_size: 1
    .uses_dynamic_stack: false
    .vgpr_count:     64
    .vgpr_spill_count: 0
    .wavefront_size: 64
  - .agpr_count:     0
    .args:
      - .offset:         0
        .size:           4
        .value_kind:     by_value
      - .offset:         4
        .size:           4
        .value_kind:     by_value
      - .offset:         8
        .size:           4
        .value_kind:     by_value
      - .offset:         12
        .size:           4
        .value_kind:     by_value
      - .offset:         16
        .size:           4
        .value_kind:     by_value
      - .offset:         20
        .size:           4
        .value_kind:     by_value
      - .offset:         24
        .size:           4
        .value_kind:     by_value
      - .offset:         28
        .size:           4
        .value_kind:     by_value
      - .actual_access:  read_only
        .address_space:  global
        .offset:         32
        .size:           8
        .value_kind:     global_buffer
      - .actual_access:  read_only
        .address_space:  global
        .offset:         40
        .size:           8
        .value_kind:     global_buffer
      - .actual_access:  read_only
        .address_space:  global
        .offset:         48
        .size:           8
        .value_kind:     global_buffer
      - .offset:         56
        .size:           4
        .value_kind:     by_value
      - .actual_access:  write_only
        .address_space:  global
        .offset:         64
        .size:           8
        .value_kind:     global_buffer
      - .actual_access:  read_only
        .address_space:  global
        .offset:         72
        .size:           8
        .value_kind:     global_buffer
      - .actual_access:  write_only
        .address_space:  global
        .offset:         80
        .size:           8
        .value_kind:     global_buffer
    .group_segment_fixed_size: 2056
    .kernarg_segment_align: 8
    .kernarg_segment_size: 88
    .language:       OpenCL C
    .language_version:
      - 2
      - 0
    .max_flat_workgroup_size: 256
    .name:           _ZN9rocsparseL44csr2gebsr_wavefront_per_row_multipass_kernelILi256ELi16ELi2ELi32E21rocsparse_complex_numIfEEEv20rocsparse_direction_iiiiii21rocsparse_index_base_PKT3_PKiS9_S4_PS5_PiSB_
    .private_segment_fixed_size: 0
    .sgpr_count:     32
    .sgpr_spill_count: 0
    .symbol:         _ZN9rocsparseL44csr2gebsr_wavefront_per_row_multipass_kernelILi256ELi16ELi2ELi32E21rocsparse_complex_numIfEEEv20rocsparse_direction_iiiiii21rocsparse_index_base_PKT3_PKiS9_S4_PS5_PiSB_.kd
    .uniform_work_group_size: 1
    .uses_dynamic_stack: false
    .vgpr_count:     30
    .vgpr_spill_count: 0
    .wavefront_size: 64
  - .agpr_count:     0
    .args:
      - .offset:         0
        .size:           4
        .value_kind:     by_value
      - .offset:         4
        .size:           4
        .value_kind:     by_value
      - .offset:         8
        .size:           4
        .value_kind:     by_value
      - .offset:         12
        .size:           4
        .value_kind:     by_value
      - .offset:         16
        .size:           4
        .value_kind:     by_value
      - .offset:         20
        .size:           4
        .value_kind:     by_value
      - .offset:         24
        .size:           4
        .value_kind:     by_value
      - .offset:         28
        .size:           4
        .value_kind:     by_value
      - .actual_access:  read_only
        .address_space:  global
        .offset:         32
        .size:           8
        .value_kind:     global_buffer
      - .actual_access:  read_only
        .address_space:  global
        .offset:         40
        .size:           8
        .value_kind:     global_buffer
      - .actual_access:  read_only
        .address_space:  global
        .offset:         48
        .size:           8
        .value_kind:     global_buffer
      - .offset:         56
        .size:           4
        .value_kind:     by_value
      - .actual_access:  write_only
        .address_space:  global
        .offset:         64
        .size:           8
        .value_kind:     global_buffer
      - .actual_access:  read_only
        .address_space:  global
        .offset:         72
        .size:           8
        .value_kind:     global_buffer
      - .actual_access:  write_only
        .address_space:  global
        .offset:         80
        .size:           8
        .value_kind:     global_buffer
    .group_segment_fixed_size: 2052
    .kernarg_segment_align: 8
    .kernarg_segment_size: 88
    .language:       OpenCL C
    .language_version:
      - 2
      - 0
    .max_flat_workgroup_size: 256
    .name:           _ZN9rocsparseL44csr2gebsr_wavefront_per_row_multipass_kernelILi256ELi16ELi4ELi64E21rocsparse_complex_numIfEEEv20rocsparse_direction_iiiiii21rocsparse_index_base_PKT3_PKiS9_S4_PS5_PiSB_
    .private_segment_fixed_size: 0
    .sgpr_count:     32
    .sgpr_spill_count: 0
    .symbol:         _ZN9rocsparseL44csr2gebsr_wavefront_per_row_multipass_kernelILi256ELi16ELi4ELi64E21rocsparse_complex_numIfEEEv20rocsparse_direction_iiiiii21rocsparse_index_base_PKT3_PKiS9_S4_PS5_PiSB_.kd
    .uniform_work_group_size: 1
    .uses_dynamic_stack: false
    .vgpr_count:     30
    .vgpr_spill_count: 0
    .wavefront_size: 64
  - .agpr_count:     0
    .args:
      - .offset:         0
        .size:           4
        .value_kind:     by_value
      - .offset:         4
        .size:           4
        .value_kind:     by_value
      - .offset:         8
        .size:           4
        .value_kind:     by_value
      - .offset:         12
        .size:           4
        .value_kind:     by_value
      - .offset:         16
        .size:           4
        .value_kind:     by_value
      - .offset:         20
        .size:           4
        .value_kind:     by_value
      - .offset:         24
        .size:           4
        .value_kind:     by_value
      - .offset:         28
        .size:           4
        .value_kind:     by_value
      - .actual_access:  read_only
        .address_space:  global
        .offset:         32
        .size:           8
        .value_kind:     global_buffer
      - .actual_access:  read_only
        .address_space:  global
        .offset:         40
        .size:           8
        .value_kind:     global_buffer
      - .actual_access:  read_only
        .address_space:  global
        .offset:         48
        .size:           8
        .value_kind:     global_buffer
      - .offset:         56
        .size:           4
        .value_kind:     by_value
      - .actual_access:  write_only
        .address_space:  global
        .offset:         64
        .size:           8
        .value_kind:     global_buffer
      - .actual_access:  read_only
        .address_space:  global
        .offset:         72
        .size:           8
        .value_kind:     global_buffer
      - .actual_access:  write_only
        .address_space:  global
        .offset:         80
        .size:           8
        .value_kind:     global_buffer
    .group_segment_fixed_size: 4104
    .kernarg_segment_align: 8
    .kernarg_segment_size: 88
    .language:       OpenCL C
    .language_version:
      - 2
      - 0
    .max_flat_workgroup_size: 256
    .name:           _ZN9rocsparseL44csr2gebsr_wavefront_per_row_multipass_kernelILi256ELi16ELi4ELi32E21rocsparse_complex_numIfEEEv20rocsparse_direction_iiiiii21rocsparse_index_base_PKT3_PKiS9_S4_PS5_PiSB_
    .private_segment_fixed_size: 0
    .sgpr_count:     38
    .sgpr_spill_count: 0
    .symbol:         _ZN9rocsparseL44csr2gebsr_wavefront_per_row_multipass_kernelILi256ELi16ELi4ELi32E21rocsparse_complex_numIfEEEv20rocsparse_direction_iiiiii21rocsparse_index_base_PKT3_PKiS9_S4_PS5_PiSB_.kd
    .uniform_work_group_size: 1
    .uses_dynamic_stack: false
    .vgpr_count:     36
    .vgpr_spill_count: 0
    .wavefront_size: 64
  - .agpr_count:     0
    .args:
      - .offset:         0
        .size:           4
        .value_kind:     by_value
      - .offset:         4
        .size:           4
        .value_kind:     by_value
      - .offset:         8
        .size:           4
        .value_kind:     by_value
      - .offset:         12
        .size:           4
        .value_kind:     by_value
      - .offset:         16
        .size:           4
        .value_kind:     by_value
      - .offset:         20
        .size:           4
        .value_kind:     by_value
      - .offset:         24
        .size:           4
        .value_kind:     by_value
      - .offset:         28
        .size:           4
        .value_kind:     by_value
      - .actual_access:  read_only
        .address_space:  global
        .offset:         32
        .size:           8
        .value_kind:     global_buffer
      - .actual_access:  read_only
        .address_space:  global
        .offset:         40
        .size:           8
        .value_kind:     global_buffer
      - .actual_access:  read_only
        .address_space:  global
        .offset:         48
        .size:           8
        .value_kind:     global_buffer
      - .offset:         56
        .size:           4
        .value_kind:     by_value
      - .actual_access:  write_only
        .address_space:  global
        .offset:         64
        .size:           8
        .value_kind:     global_buffer
      - .actual_access:  read_only
        .address_space:  global
        .offset:         72
        .size:           8
        .value_kind:     global_buffer
      - .actual_access:  write_only
        .address_space:  global
        .offset:         80
        .size:           8
        .value_kind:     global_buffer
    .group_segment_fixed_size: 4100
    .kernarg_segment_align: 8
    .kernarg_segment_size: 88
    .language:       OpenCL C
    .language_version:
      - 2
      - 0
    .max_flat_workgroup_size: 256
    .name:           _ZN9rocsparseL44csr2gebsr_wavefront_per_row_multipass_kernelILi256ELi16ELi8ELi64E21rocsparse_complex_numIfEEEv20rocsparse_direction_iiiiii21rocsparse_index_base_PKT3_PKiS9_S4_PS5_PiSB_
    .private_segment_fixed_size: 0
    .sgpr_count:     38
    .sgpr_spill_count: 0
    .symbol:         _ZN9rocsparseL44csr2gebsr_wavefront_per_row_multipass_kernelILi256ELi16ELi8ELi64E21rocsparse_complex_numIfEEEv20rocsparse_direction_iiiiii21rocsparse_index_base_PKT3_PKiS9_S4_PS5_PiSB_.kd
    .uniform_work_group_size: 1
    .uses_dynamic_stack: false
    .vgpr_count:     36
    .vgpr_spill_count: 0
    .wavefront_size: 64
  - .agpr_count:     0
    .args:
      - .offset:         0
        .size:           4
        .value_kind:     by_value
      - .offset:         4
        .size:           4
        .value_kind:     by_value
      - .offset:         8
        .size:           4
        .value_kind:     by_value
      - .offset:         12
        .size:           4
        .value_kind:     by_value
      - .offset:         16
        .size:           4
        .value_kind:     by_value
      - .offset:         20
        .size:           4
        .value_kind:     by_value
      - .offset:         24
        .size:           4
        .value_kind:     by_value
      - .offset:         28
        .size:           4
        .value_kind:     by_value
      - .actual_access:  read_only
        .address_space:  global
        .offset:         32
        .size:           8
        .value_kind:     global_buffer
      - .actual_access:  read_only
        .address_space:  global
        .offset:         40
        .size:           8
        .value_kind:     global_buffer
      - .actual_access:  read_only
        .address_space:  global
        .offset:         48
        .size:           8
        .value_kind:     global_buffer
      - .offset:         56
        .size:           4
        .value_kind:     by_value
      - .actual_access:  write_only
        .address_space:  global
        .offset:         64
        .size:           8
        .value_kind:     global_buffer
      - .actual_access:  read_only
        .address_space:  global
        .offset:         72
        .size:           8
        .value_kind:     global_buffer
      - .actual_access:  write_only
        .address_space:  global
        .offset:         80
        .size:           8
        .value_kind:     global_buffer
    .group_segment_fixed_size: 8200
    .kernarg_segment_align: 8
    .kernarg_segment_size: 88
    .language:       OpenCL C
    .language_version:
      - 2
      - 0
    .max_flat_workgroup_size: 256
    .name:           _ZN9rocsparseL44csr2gebsr_wavefront_per_row_multipass_kernelILi256ELi16ELi8ELi32E21rocsparse_complex_numIfEEEv20rocsparse_direction_iiiiii21rocsparse_index_base_PKT3_PKiS9_S4_PS5_PiSB_
    .private_segment_fixed_size: 0
    .sgpr_count:     42
    .sgpr_spill_count: 0
    .symbol:         _ZN9rocsparseL44csr2gebsr_wavefront_per_row_multipass_kernelILi256ELi16ELi8ELi32E21rocsparse_complex_numIfEEEv20rocsparse_direction_iiiiii21rocsparse_index_base_PKT3_PKiS9_S4_PS5_PiSB_.kd
    .uniform_work_group_size: 1
    .uses_dynamic_stack: false
    .vgpr_count:     40
    .vgpr_spill_count: 0
    .wavefront_size: 64
  - .agpr_count:     0
    .args:
      - .offset:         0
        .size:           4
        .value_kind:     by_value
      - .offset:         4
        .size:           4
        .value_kind:     by_value
      - .offset:         8
        .size:           4
        .value_kind:     by_value
      - .offset:         12
        .size:           4
        .value_kind:     by_value
      - .offset:         16
        .size:           4
        .value_kind:     by_value
      - .offset:         20
        .size:           4
        .value_kind:     by_value
      - .offset:         24
        .size:           4
        .value_kind:     by_value
      - .offset:         28
        .size:           4
        .value_kind:     by_value
      - .actual_access:  read_only
        .address_space:  global
        .offset:         32
        .size:           8
        .value_kind:     global_buffer
      - .actual_access:  read_only
        .address_space:  global
        .offset:         40
        .size:           8
        .value_kind:     global_buffer
      - .actual_access:  read_only
        .address_space:  global
        .offset:         48
        .size:           8
        .value_kind:     global_buffer
      - .offset:         56
        .size:           4
        .value_kind:     by_value
      - .actual_access:  write_only
        .address_space:  global
        .offset:         64
        .size:           8
        .value_kind:     global_buffer
      - .actual_access:  read_only
        .address_space:  global
        .offset:         72
        .size:           8
        .value_kind:     global_buffer
      - .actual_access:  write_only
        .address_space:  global
        .offset:         80
        .size:           8
        .value_kind:     global_buffer
    .group_segment_fixed_size: 8196
    .kernarg_segment_align: 8
    .kernarg_segment_size: 88
    .language:       OpenCL C
    .language_version:
      - 2
      - 0
    .max_flat_workgroup_size: 256
    .name:           _ZN9rocsparseL44csr2gebsr_wavefront_per_row_multipass_kernelILi256ELi16ELi16ELi64E21rocsparse_complex_numIfEEEv20rocsparse_direction_iiiiii21rocsparse_index_base_PKT3_PKiS9_S4_PS5_PiSB_
    .private_segment_fixed_size: 0
    .sgpr_count:     44
    .sgpr_spill_count: 0
    .symbol:         _ZN9rocsparseL44csr2gebsr_wavefront_per_row_multipass_kernelILi256ELi16ELi16ELi64E21rocsparse_complex_numIfEEEv20rocsparse_direction_iiiiii21rocsparse_index_base_PKT3_PKiS9_S4_PS5_PiSB_.kd
    .uniform_work_group_size: 1
    .uses_dynamic_stack: false
    .vgpr_count:     40
    .vgpr_spill_count: 0
    .wavefront_size: 64
  - .agpr_count:     0
    .args:
      - .offset:         0
        .size:           4
        .value_kind:     by_value
      - .offset:         4
        .size:           4
        .value_kind:     by_value
      - .offset:         8
        .size:           4
        .value_kind:     by_value
      - .offset:         12
        .size:           4
        .value_kind:     by_value
      - .offset:         16
        .size:           4
        .value_kind:     by_value
      - .offset:         20
        .size:           4
        .value_kind:     by_value
      - .offset:         24
        .size:           4
        .value_kind:     by_value
      - .offset:         28
        .size:           4
        .value_kind:     by_value
      - .actual_access:  read_only
        .address_space:  global
        .offset:         32
        .size:           8
        .value_kind:     global_buffer
      - .actual_access:  read_only
        .address_space:  global
        .offset:         40
        .size:           8
        .value_kind:     global_buffer
      - .actual_access:  read_only
        .address_space:  global
        .offset:         48
        .size:           8
        .value_kind:     global_buffer
      - .offset:         56
        .size:           4
        .value_kind:     by_value
      - .actual_access:  write_only
        .address_space:  global
        .offset:         64
        .size:           8
        .value_kind:     global_buffer
      - .actual_access:  read_only
        .address_space:  global
        .offset:         72
        .size:           8
        .value_kind:     global_buffer
      - .actual_access:  write_only
        .address_space:  global
        .offset:         80
        .size:           8
        .value_kind:     global_buffer
    .group_segment_fixed_size: 16392
    .kernarg_segment_align: 8
    .kernarg_segment_size: 88
    .language:       OpenCL C
    .language_version:
      - 2
      - 0
    .max_flat_workgroup_size: 256
    .name:           _ZN9rocsparseL44csr2gebsr_wavefront_per_row_multipass_kernelILi256ELi16ELi16ELi32E21rocsparse_complex_numIfEEEv20rocsparse_direction_iiiiii21rocsparse_index_base_PKT3_PKiS9_S4_PS5_PiSB_
    .private_segment_fixed_size: 0
    .sgpr_count:     56
    .sgpr_spill_count: 0
    .symbol:         _ZN9rocsparseL44csr2gebsr_wavefront_per_row_multipass_kernelILi256ELi16ELi16ELi32E21rocsparse_complex_numIfEEEv20rocsparse_direction_iiiiii21rocsparse_index_base_PKT3_PKiS9_S4_PS5_PiSB_.kd
    .uniform_work_group_size: 1
    .uses_dynamic_stack: false
    .vgpr_count:     49
    .vgpr_spill_count: 0
    .wavefront_size: 64
  - .agpr_count:     0
    .args:
      - .offset:         0
        .size:           4
        .value_kind:     by_value
      - .offset:         4
        .size:           4
        .value_kind:     by_value
      - .offset:         8
        .size:           4
        .value_kind:     by_value
      - .offset:         12
        .size:           4
        .value_kind:     by_value
      - .offset:         16
        .size:           4
        .value_kind:     by_value
      - .offset:         20
        .size:           4
        .value_kind:     by_value
      - .offset:         24
        .size:           4
        .value_kind:     by_value
      - .offset:         28
        .size:           4
        .value_kind:     by_value
      - .actual_access:  read_only
        .address_space:  global
        .offset:         32
        .size:           8
        .value_kind:     global_buffer
      - .actual_access:  read_only
        .address_space:  global
        .offset:         40
        .size:           8
        .value_kind:     global_buffer
      - .actual_access:  read_only
        .address_space:  global
        .offset:         48
        .size:           8
        .value_kind:     global_buffer
      - .offset:         56
        .size:           4
        .value_kind:     by_value
      - .actual_access:  write_only
        .address_space:  global
        .offset:         64
        .size:           8
        .value_kind:     global_buffer
      - .actual_access:  read_only
        .address_space:  global
        .offset:         72
        .size:           8
        .value_kind:     global_buffer
      - .actual_access:  write_only
        .address_space:  global
        .offset:         80
        .size:           8
        .value_kind:     global_buffer
    .group_segment_fixed_size: 4100
    .kernarg_segment_align: 8
    .kernarg_segment_size: 88
    .language:       OpenCL C
    .language_version:
      - 2
      - 0
    .max_flat_workgroup_size: 128
    .name:           _ZN9rocsparseL40csr2gebsr_block_per_row_multipass_kernelILj128ELj16ELj32E21rocsparse_complex_numIfEEEv20rocsparse_direction_iiiiii21rocsparse_index_base_PKT2_PKiS9_S4_PS5_PiSB_
    .private_segment_fixed_size: 0
    .sgpr_count:     60
    .sgpr_spill_count: 0
    .symbol:         _ZN9rocsparseL40csr2gebsr_block_per_row_multipass_kernelILj128ELj16ELj32E21rocsparse_complex_numIfEEEv20rocsparse_direction_iiiiii21rocsparse_index_base_PKT2_PKiS9_S4_PS5_PiSB_.kd
    .uniform_work_group_size: 1
    .uses_dynamic_stack: false
    .vgpr_count:     36
    .vgpr_spill_count: 0
    .wavefront_size: 64
  - .agpr_count:     0
    .args:
      - .offset:         0
        .size:           4
        .value_kind:     by_value
      - .offset:         4
        .size:           4
        .value_kind:     by_value
      - .offset:         8
        .size:           4
        .value_kind:     by_value
      - .offset:         12
        .size:           4
        .value_kind:     by_value
      - .offset:         16
        .size:           4
        .value_kind:     by_value
      - .offset:         20
        .size:           4
        .value_kind:     by_value
      - .offset:         24
        .size:           4
        .value_kind:     by_value
      - .offset:         28
        .size:           4
        .value_kind:     by_value
      - .actual_access:  read_only
        .address_space:  global
        .offset:         32
        .size:           8
        .value_kind:     global_buffer
      - .actual_access:  read_only
        .address_space:  global
        .offset:         40
        .size:           8
        .value_kind:     global_buffer
      - .actual_access:  read_only
        .address_space:  global
        .offset:         48
        .size:           8
        .value_kind:     global_buffer
      - .offset:         56
        .size:           4
        .value_kind:     by_value
      - .actual_access:  write_only
        .address_space:  global
        .offset:         64
        .size:           8
        .value_kind:     global_buffer
      - .actual_access:  read_only
        .address_space:  global
        .offset:         72
        .size:           8
        .value_kind:     global_buffer
      - .actual_access:  write_only
        .address_space:  global
        .offset:         80
        .size:           8
        .value_kind:     global_buffer
    .group_segment_fixed_size: 8196
    .kernarg_segment_align: 8
    .kernarg_segment_size: 88
    .language:       OpenCL C
    .language_version:
      - 2
      - 0
    .max_flat_workgroup_size: 128
    .name:           _ZN9rocsparseL40csr2gebsr_block_per_row_multipass_kernelILj128ELj16ELj64E21rocsparse_complex_numIfEEEv20rocsparse_direction_iiiiii21rocsparse_index_base_PKT2_PKiS9_S4_PS5_PiSB_
    .private_segment_fixed_size: 0
    .sgpr_count:     76
    .sgpr_spill_count: 0
    .symbol:         _ZN9rocsparseL40csr2gebsr_block_per_row_multipass_kernelILj128ELj16ELj64E21rocsparse_complex_numIfEEEv20rocsparse_direction_iiiiii21rocsparse_index_base_PKT2_PKiS9_S4_PS5_PiSB_.kd
    .uniform_work_group_size: 1
    .uses_dynamic_stack: false
    .vgpr_count:     44
    .vgpr_spill_count: 0
    .wavefront_size: 64
  - .agpr_count:     0
    .args:
      - .offset:         0
        .size:           4
        .value_kind:     by_value
      - .offset:         4
        .size:           4
        .value_kind:     by_value
      - .offset:         8
        .size:           4
        .value_kind:     by_value
      - .offset:         12
        .size:           4
        .value_kind:     by_value
      - .offset:         16
        .size:           4
        .value_kind:     by_value
      - .offset:         20
        .size:           4
        .value_kind:     by_value
      - .offset:         24
        .size:           4
        .value_kind:     by_value
      - .offset:         28
        .size:           4
        .value_kind:     by_value
      - .actual_access:  read_only
        .address_space:  global
        .offset:         32
        .size:           8
        .value_kind:     global_buffer
      - .actual_access:  read_only
        .address_space:  global
        .offset:         40
        .size:           8
        .value_kind:     global_buffer
      - .actual_access:  read_only
        .address_space:  global
        .offset:         48
        .size:           8
        .value_kind:     global_buffer
      - .offset:         56
        .size:           4
        .value_kind:     by_value
      - .actual_access:  write_only
        .address_space:  global
        .offset:         64
        .size:           8
        .value_kind:     global_buffer
      - .actual_access:  read_only
        .address_space:  global
        .offset:         72
        .size:           8
        .value_kind:     global_buffer
      - .actual_access:  write_only
        .address_space:  global
        .offset:         80
        .size:           8
        .value_kind:     global_buffer
    .group_segment_fixed_size: 2052
    .kernarg_segment_align: 8
    .kernarg_segment_size: 88
    .language:       OpenCL C
    .language_version:
      - 2
      - 0
    .max_flat_workgroup_size: 256
    .name:           _ZN9rocsparseL44csr2gebsr_wavefront_per_row_multipass_kernelILi256ELi32ELi2ELi64E21rocsparse_complex_numIfEEEv20rocsparse_direction_iiiiii21rocsparse_index_base_PKT3_PKiS9_S4_PS5_PiSB_
    .private_segment_fixed_size: 0
    .sgpr_count:     32
    .sgpr_spill_count: 0
    .symbol:         _ZN9rocsparseL44csr2gebsr_wavefront_per_row_multipass_kernelILi256ELi32ELi2ELi64E21rocsparse_complex_numIfEEEv20rocsparse_direction_iiiiii21rocsparse_index_base_PKT3_PKiS9_S4_PS5_PiSB_.kd
    .uniform_work_group_size: 1
    .uses_dynamic_stack: false
    .vgpr_count:     30
    .vgpr_spill_count: 0
    .wavefront_size: 64
  - .agpr_count:     0
    .args:
      - .offset:         0
        .size:           4
        .value_kind:     by_value
      - .offset:         4
        .size:           4
        .value_kind:     by_value
      - .offset:         8
        .size:           4
        .value_kind:     by_value
      - .offset:         12
        .size:           4
        .value_kind:     by_value
      - .offset:         16
        .size:           4
        .value_kind:     by_value
      - .offset:         20
        .size:           4
        .value_kind:     by_value
      - .offset:         24
        .size:           4
        .value_kind:     by_value
      - .offset:         28
        .size:           4
        .value_kind:     by_value
      - .actual_access:  read_only
        .address_space:  global
        .offset:         32
        .size:           8
        .value_kind:     global_buffer
      - .actual_access:  read_only
        .address_space:  global
        .offset:         40
        .size:           8
        .value_kind:     global_buffer
      - .actual_access:  read_only
        .address_space:  global
        .offset:         48
        .size:           8
        .value_kind:     global_buffer
      - .offset:         56
        .size:           4
        .value_kind:     by_value
      - .actual_access:  write_only
        .address_space:  global
        .offset:         64
        .size:           8
        .value_kind:     global_buffer
      - .actual_access:  read_only
        .address_space:  global
        .offset:         72
        .size:           8
        .value_kind:     global_buffer
      - .actual_access:  write_only
        .address_space:  global
        .offset:         80
        .size:           8
        .value_kind:     global_buffer
    .group_segment_fixed_size: 4104
    .kernarg_segment_align: 8
    .kernarg_segment_size: 88
    .language:       OpenCL C
    .language_version:
      - 2
      - 0
    .max_flat_workgroup_size: 256
    .name:           _ZN9rocsparseL44csr2gebsr_wavefront_per_row_multipass_kernelILi256ELi32ELi2ELi32E21rocsparse_complex_numIfEEEv20rocsparse_direction_iiiiii21rocsparse_index_base_PKT3_PKiS9_S4_PS5_PiSB_
    .private_segment_fixed_size: 0
    .sgpr_count:     38
    .sgpr_spill_count: 0
    .symbol:         _ZN9rocsparseL44csr2gebsr_wavefront_per_row_multipass_kernelILi256ELi32ELi2ELi32E21rocsparse_complex_numIfEEEv20rocsparse_direction_iiiiii21rocsparse_index_base_PKT3_PKiS9_S4_PS5_PiSB_.kd
    .uniform_work_group_size: 1
    .uses_dynamic_stack: false
    .vgpr_count:     31
    .vgpr_spill_count: 0
    .wavefront_size: 64
  - .agpr_count:     0
    .args:
      - .offset:         0
        .size:           4
        .value_kind:     by_value
      - .offset:         4
        .size:           4
        .value_kind:     by_value
      - .offset:         8
        .size:           4
        .value_kind:     by_value
      - .offset:         12
        .size:           4
        .value_kind:     by_value
      - .offset:         16
        .size:           4
        .value_kind:     by_value
      - .offset:         20
        .size:           4
        .value_kind:     by_value
      - .offset:         24
        .size:           4
        .value_kind:     by_value
      - .offset:         28
        .size:           4
        .value_kind:     by_value
      - .actual_access:  read_only
        .address_space:  global
        .offset:         32
        .size:           8
        .value_kind:     global_buffer
      - .actual_access:  read_only
        .address_space:  global
        .offset:         40
        .size:           8
        .value_kind:     global_buffer
      - .actual_access:  read_only
        .address_space:  global
        .offset:         48
        .size:           8
        .value_kind:     global_buffer
      - .offset:         56
        .size:           4
        .value_kind:     by_value
      - .actual_access:  write_only
        .address_space:  global
        .offset:         64
        .size:           8
        .value_kind:     global_buffer
      - .actual_access:  read_only
        .address_space:  global
        .offset:         72
        .size:           8
        .value_kind:     global_buffer
      - .actual_access:  write_only
        .address_space:  global
        .offset:         80
        .size:           8
        .value_kind:     global_buffer
    .group_segment_fixed_size: 4100
    .kernarg_segment_align: 8
    .kernarg_segment_size: 88
    .language:       OpenCL C
    .language_version:
      - 2
      - 0
    .max_flat_workgroup_size: 256
    .name:           _ZN9rocsparseL44csr2gebsr_wavefront_per_row_multipass_kernelILi256ELi32ELi4ELi64E21rocsparse_complex_numIfEEEv20rocsparse_direction_iiiiii21rocsparse_index_base_PKT3_PKiS9_S4_PS5_PiSB_
    .private_segment_fixed_size: 0
    .sgpr_count:     38
    .sgpr_spill_count: 0
    .symbol:         _ZN9rocsparseL44csr2gebsr_wavefront_per_row_multipass_kernelILi256ELi32ELi4ELi64E21rocsparse_complex_numIfEEEv20rocsparse_direction_iiiiii21rocsparse_index_base_PKT3_PKiS9_S4_PS5_PiSB_.kd
    .uniform_work_group_size: 1
    .uses_dynamic_stack: false
    .vgpr_count:     36
    .vgpr_spill_count: 0
    .wavefront_size: 64
  - .agpr_count:     0
    .args:
      - .offset:         0
        .size:           4
        .value_kind:     by_value
      - .offset:         4
        .size:           4
        .value_kind:     by_value
      - .offset:         8
        .size:           4
        .value_kind:     by_value
      - .offset:         12
        .size:           4
        .value_kind:     by_value
      - .offset:         16
        .size:           4
        .value_kind:     by_value
      - .offset:         20
        .size:           4
        .value_kind:     by_value
      - .offset:         24
        .size:           4
        .value_kind:     by_value
      - .offset:         28
        .size:           4
        .value_kind:     by_value
      - .actual_access:  read_only
        .address_space:  global
        .offset:         32
        .size:           8
        .value_kind:     global_buffer
      - .actual_access:  read_only
        .address_space:  global
        .offset:         40
        .size:           8
        .value_kind:     global_buffer
      - .actual_access:  read_only
        .address_space:  global
        .offset:         48
        .size:           8
        .value_kind:     global_buffer
      - .offset:         56
        .size:           4
        .value_kind:     by_value
      - .actual_access:  write_only
        .address_space:  global
        .offset:         64
        .size:           8
        .value_kind:     global_buffer
      - .actual_access:  read_only
        .address_space:  global
        .offset:         72
        .size:           8
        .value_kind:     global_buffer
      - .actual_access:  write_only
        .address_space:  global
        .offset:         80
        .size:           8
        .value_kind:     global_buffer
    .group_segment_fixed_size: 8200
    .kernarg_segment_align: 8
    .kernarg_segment_size: 88
    .language:       OpenCL C
    .language_version:
      - 2
      - 0
    .max_flat_workgroup_size: 256
    .name:           _ZN9rocsparseL44csr2gebsr_wavefront_per_row_multipass_kernelILi256ELi32ELi4ELi32E21rocsparse_complex_numIfEEEv20rocsparse_direction_iiiiii21rocsparse_index_base_PKT3_PKiS9_S4_PS5_PiSB_
    .private_segment_fixed_size: 0
    .sgpr_count:     48
    .sgpr_spill_count: 0
    .symbol:         _ZN9rocsparseL44csr2gebsr_wavefront_per_row_multipass_kernelILi256ELi32ELi4ELi32E21rocsparse_complex_numIfEEEv20rocsparse_direction_iiiiii21rocsparse_index_base_PKT3_PKiS9_S4_PS5_PiSB_.kd
    .uniform_work_group_size: 1
    .uses_dynamic_stack: false
    .vgpr_count:     32
    .vgpr_spill_count: 0
    .wavefront_size: 64
  - .agpr_count:     0
    .args:
      - .offset:         0
        .size:           4
        .value_kind:     by_value
      - .offset:         4
        .size:           4
        .value_kind:     by_value
      - .offset:         8
        .size:           4
        .value_kind:     by_value
      - .offset:         12
        .size:           4
        .value_kind:     by_value
      - .offset:         16
        .size:           4
        .value_kind:     by_value
      - .offset:         20
        .size:           4
        .value_kind:     by_value
      - .offset:         24
        .size:           4
        .value_kind:     by_value
      - .offset:         28
        .size:           4
        .value_kind:     by_value
      - .actual_access:  read_only
        .address_space:  global
        .offset:         32
        .size:           8
        .value_kind:     global_buffer
      - .actual_access:  read_only
        .address_space:  global
        .offset:         40
        .size:           8
        .value_kind:     global_buffer
      - .actual_access:  read_only
        .address_space:  global
        .offset:         48
        .size:           8
        .value_kind:     global_buffer
      - .offset:         56
        .size:           4
        .value_kind:     by_value
      - .actual_access:  write_only
        .address_space:  global
        .offset:         64
        .size:           8
        .value_kind:     global_buffer
      - .actual_access:  read_only
        .address_space:  global
        .offset:         72
        .size:           8
        .value_kind:     global_buffer
      - .actual_access:  write_only
        .address_space:  global
        .offset:         80
        .size:           8
        .value_kind:     global_buffer
    .group_segment_fixed_size: 8196
    .kernarg_segment_align: 8
    .kernarg_segment_size: 88
    .language:       OpenCL C
    .language_version:
      - 2
      - 0
    .max_flat_workgroup_size: 256
    .name:           _ZN9rocsparseL44csr2gebsr_wavefront_per_row_multipass_kernelILi256ELi32ELi8ELi64E21rocsparse_complex_numIfEEEv20rocsparse_direction_iiiiii21rocsparse_index_base_PKT3_PKiS9_S4_PS5_PiSB_
    .private_segment_fixed_size: 0
    .sgpr_count:     42
    .sgpr_spill_count: 0
    .symbol:         _ZN9rocsparseL44csr2gebsr_wavefront_per_row_multipass_kernelILi256ELi32ELi8ELi64E21rocsparse_complex_numIfEEEv20rocsparse_direction_iiiiii21rocsparse_index_base_PKT3_PKiS9_S4_PS5_PiSB_.kd
    .uniform_work_group_size: 1
    .uses_dynamic_stack: false
    .vgpr_count:     40
    .vgpr_spill_count: 0
    .wavefront_size: 64
  - .agpr_count:     0
    .args:
      - .offset:         0
        .size:           4
        .value_kind:     by_value
      - .offset:         4
        .size:           4
        .value_kind:     by_value
      - .offset:         8
        .size:           4
        .value_kind:     by_value
      - .offset:         12
        .size:           4
        .value_kind:     by_value
      - .offset:         16
        .size:           4
        .value_kind:     by_value
      - .offset:         20
        .size:           4
        .value_kind:     by_value
      - .offset:         24
        .size:           4
        .value_kind:     by_value
      - .offset:         28
        .size:           4
        .value_kind:     by_value
      - .actual_access:  read_only
        .address_space:  global
        .offset:         32
        .size:           8
        .value_kind:     global_buffer
      - .actual_access:  read_only
        .address_space:  global
        .offset:         40
        .size:           8
        .value_kind:     global_buffer
      - .actual_access:  read_only
        .address_space:  global
        .offset:         48
        .size:           8
        .value_kind:     global_buffer
      - .offset:         56
        .size:           4
        .value_kind:     by_value
      - .actual_access:  write_only
        .address_space:  global
        .offset:         64
        .size:           8
        .value_kind:     global_buffer
      - .actual_access:  read_only
        .address_space:  global
        .offset:         72
        .size:           8
        .value_kind:     global_buffer
      - .actual_access:  write_only
        .address_space:  global
        .offset:         80
        .size:           8
        .value_kind:     global_buffer
    .group_segment_fixed_size: 16392
    .kernarg_segment_align: 8
    .kernarg_segment_size: 88
    .language:       OpenCL C
    .language_version:
      - 2
      - 0
    .max_flat_workgroup_size: 256
    .name:           _ZN9rocsparseL44csr2gebsr_wavefront_per_row_multipass_kernelILi256ELi32ELi8ELi32E21rocsparse_complex_numIfEEEv20rocsparse_direction_iiiiii21rocsparse_index_base_PKT3_PKiS9_S4_PS5_PiSB_
    .private_segment_fixed_size: 0
    .sgpr_count:     64
    .sgpr_spill_count: 0
    .symbol:         _ZN9rocsparseL44csr2gebsr_wavefront_per_row_multipass_kernelILi256ELi32ELi8ELi32E21rocsparse_complex_numIfEEEv20rocsparse_direction_iiiiii21rocsparse_index_base_PKT3_PKiS9_S4_PS5_PiSB_.kd
    .uniform_work_group_size: 1
    .uses_dynamic_stack: false
    .vgpr_count:     32
    .vgpr_spill_count: 0
    .wavefront_size: 64
  - .agpr_count:     0
    .args:
      - .offset:         0
        .size:           4
        .value_kind:     by_value
      - .offset:         4
        .size:           4
        .value_kind:     by_value
      - .offset:         8
        .size:           4
        .value_kind:     by_value
      - .offset:         12
        .size:           4
        .value_kind:     by_value
      - .offset:         16
        .size:           4
        .value_kind:     by_value
      - .offset:         20
        .size:           4
        .value_kind:     by_value
      - .offset:         24
        .size:           4
        .value_kind:     by_value
      - .offset:         28
        .size:           4
        .value_kind:     by_value
      - .actual_access:  read_only
        .address_space:  global
        .offset:         32
        .size:           8
        .value_kind:     global_buffer
      - .actual_access:  read_only
        .address_space:  global
        .offset:         40
        .size:           8
        .value_kind:     global_buffer
      - .actual_access:  read_only
        .address_space:  global
        .offset:         48
        .size:           8
        .value_kind:     global_buffer
      - .offset:         56
        .size:           4
        .value_kind:     by_value
      - .actual_access:  write_only
        .address_space:  global
        .offset:         64
        .size:           8
        .value_kind:     global_buffer
      - .actual_access:  read_only
        .address_space:  global
        .offset:         72
        .size:           8
        .value_kind:     global_buffer
      - .actual_access:  write_only
        .address_space:  global
        .offset:         80
        .size:           8
        .value_kind:     global_buffer
    .group_segment_fixed_size: 4100
    .kernarg_segment_align: 8
    .kernarg_segment_size: 88
    .language:       OpenCL C
    .language_version:
      - 2
      - 0
    .max_flat_workgroup_size: 256
    .name:           _ZN9rocsparseL40csr2gebsr_block_per_row_multipass_kernelILj256ELj32ELj16E21rocsparse_complex_numIfEEEv20rocsparse_direction_iiiiii21rocsparse_index_base_PKT2_PKiS9_S4_PS5_PiSB_
    .private_segment_fixed_size: 0
    .sgpr_count:     54
    .sgpr_spill_count: 0
    .symbol:         _ZN9rocsparseL40csr2gebsr_block_per_row_multipass_kernelILj256ELj32ELj16E21rocsparse_complex_numIfEEEv20rocsparse_direction_iiiiii21rocsparse_index_base_PKT2_PKiS9_S4_PS5_PiSB_.kd
    .uniform_work_group_size: 1
    .uses_dynamic_stack: false
    .vgpr_count:     31
    .vgpr_spill_count: 0
    .wavefront_size: 64
  - .agpr_count:     0
    .args:
      - .offset:         0
        .size:           4
        .value_kind:     by_value
      - .offset:         4
        .size:           4
        .value_kind:     by_value
      - .offset:         8
        .size:           4
        .value_kind:     by_value
      - .offset:         12
        .size:           4
        .value_kind:     by_value
      - .offset:         16
        .size:           4
        .value_kind:     by_value
      - .offset:         20
        .size:           4
        .value_kind:     by_value
      - .offset:         24
        .size:           4
        .value_kind:     by_value
      - .offset:         28
        .size:           4
        .value_kind:     by_value
      - .actual_access:  read_only
        .address_space:  global
        .offset:         32
        .size:           8
        .value_kind:     global_buffer
      - .actual_access:  read_only
        .address_space:  global
        .offset:         40
        .size:           8
        .value_kind:     global_buffer
      - .actual_access:  read_only
        .address_space:  global
        .offset:         48
        .size:           8
        .value_kind:     global_buffer
      - .offset:         56
        .size:           4
        .value_kind:     by_value
      - .actual_access:  write_only
        .address_space:  global
        .offset:         64
        .size:           8
        .value_kind:     global_buffer
      - .actual_access:  read_only
        .address_space:  global
        .offset:         72
        .size:           8
        .value_kind:     global_buffer
      - .actual_access:  write_only
        .address_space:  global
        .offset:         80
        .size:           8
        .value_kind:     global_buffer
    .group_segment_fixed_size: 8196
    .kernarg_segment_align: 8
    .kernarg_segment_size: 88
    .language:       OpenCL C
    .language_version:
      - 2
      - 0
    .max_flat_workgroup_size: 256
    .name:           _ZN9rocsparseL40csr2gebsr_block_per_row_multipass_kernelILj256ELj32ELj32E21rocsparse_complex_numIfEEEv20rocsparse_direction_iiiiii21rocsparse_index_base_PKT2_PKiS9_S4_PS5_PiSB_
    .private_segment_fixed_size: 0
    .sgpr_count:     62
    .sgpr_spill_count: 0
    .symbol:         _ZN9rocsparseL40csr2gebsr_block_per_row_multipass_kernelILj256ELj32ELj32E21rocsparse_complex_numIfEEEv20rocsparse_direction_iiiiii21rocsparse_index_base_PKT2_PKiS9_S4_PS5_PiSB_.kd
    .uniform_work_group_size: 1
    .uses_dynamic_stack: false
    .vgpr_count:     36
    .vgpr_spill_count: 0
    .wavefront_size: 64
  - .agpr_count:     0
    .args:
      - .offset:         0
        .size:           4
        .value_kind:     by_value
      - .offset:         4
        .size:           4
        .value_kind:     by_value
      - .offset:         8
        .size:           4
        .value_kind:     by_value
      - .offset:         12
        .size:           4
        .value_kind:     by_value
      - .offset:         16
        .size:           4
        .value_kind:     by_value
      - .offset:         20
        .size:           4
        .value_kind:     by_value
      - .offset:         24
        .size:           4
        .value_kind:     by_value
      - .offset:         28
        .size:           4
        .value_kind:     by_value
      - .actual_access:  read_only
        .address_space:  global
        .offset:         32
        .size:           8
        .value_kind:     global_buffer
      - .actual_access:  read_only
        .address_space:  global
        .offset:         40
        .size:           8
        .value_kind:     global_buffer
      - .actual_access:  read_only
        .address_space:  global
        .offset:         48
        .size:           8
        .value_kind:     global_buffer
      - .offset:         56
        .size:           4
        .value_kind:     by_value
      - .actual_access:  write_only
        .address_space:  global
        .offset:         64
        .size:           8
        .value_kind:     global_buffer
      - .actual_access:  read_only
        .address_space:  global
        .offset:         72
        .size:           8
        .value_kind:     global_buffer
      - .actual_access:  write_only
        .address_space:  global
        .offset:         80
        .size:           8
        .value_kind:     global_buffer
    .group_segment_fixed_size: 16388
    .kernarg_segment_align: 8
    .kernarg_segment_size: 88
    .language:       OpenCL C
    .language_version:
      - 2
      - 0
    .max_flat_workgroup_size: 256
    .name:           _ZN9rocsparseL40csr2gebsr_block_per_row_multipass_kernelILj256ELj32ELj64E21rocsparse_complex_numIfEEEv20rocsparse_direction_iiiiii21rocsparse_index_base_PKT2_PKiS9_S4_PS5_PiSB_
    .private_segment_fixed_size: 0
    .sgpr_count:     78
    .sgpr_spill_count: 0
    .symbol:         _ZN9rocsparseL40csr2gebsr_block_per_row_multipass_kernelILj256ELj32ELj64E21rocsparse_complex_numIfEEEv20rocsparse_direction_iiiiii21rocsparse_index_base_PKT2_PKiS9_S4_PS5_PiSB_.kd
    .uniform_work_group_size: 1
    .uses_dynamic_stack: false
    .vgpr_count:     44
    .vgpr_spill_count: 0
    .wavefront_size: 64
  - .agpr_count:     0
    .args:
      - .offset:         0
        .size:           4
        .value_kind:     by_value
      - .offset:         4
        .size:           4
        .value_kind:     by_value
      - .offset:         8
        .size:           4
        .value_kind:     by_value
      - .offset:         12
        .size:           4
        .value_kind:     by_value
      - .offset:         16
        .size:           4
        .value_kind:     by_value
      - .offset:         20
        .size:           4
        .value_kind:     by_value
      - .offset:         24
        .size:           4
        .value_kind:     by_value
      - .offset:         28
        .size:           4
        .value_kind:     by_value
      - .actual_access:  read_only
        .address_space:  global
        .offset:         32
        .size:           8
        .value_kind:     global_buffer
      - .actual_access:  read_only
        .address_space:  global
        .offset:         40
        .size:           8
        .value_kind:     global_buffer
      - .actual_access:  read_only
        .address_space:  global
        .offset:         48
        .size:           8
        .value_kind:     global_buffer
      - .offset:         56
        .size:           4
        .value_kind:     by_value
      - .actual_access:  write_only
        .address_space:  global
        .offset:         64
        .size:           8
        .value_kind:     global_buffer
      - .actual_access:  read_only
        .address_space:  global
        .offset:         72
        .size:           8
        .value_kind:     global_buffer
      - .actual_access:  write_only
        .address_space:  global
        .offset:         80
        .size:           8
        .value_kind:     global_buffer
    .group_segment_fixed_size: 1028
    .kernarg_segment_align: 8
    .kernarg_segment_size: 88
    .language:       OpenCL C
    .language_version:
      - 2
      - 0
    .max_flat_workgroup_size: 128
    .name:           _ZN9rocsparseL40csr2gebsr_block_per_row_multipass_kernelILj128ELj64ELj2E21rocsparse_complex_numIfEEEv20rocsparse_direction_iiiiii21rocsparse_index_base_PKT2_PKiS9_S4_PS5_PiSB_
    .private_segment_fixed_size: 0
    .sgpr_count:     48
    .sgpr_spill_count: 0
    .symbol:         _ZN9rocsparseL40csr2gebsr_block_per_row_multipass_kernelILj128ELj64ELj2E21rocsparse_complex_numIfEEEv20rocsparse_direction_iiiiii21rocsparse_index_base_PKT2_PKiS9_S4_PS5_PiSB_.kd
    .uniform_work_group_size: 1
    .uses_dynamic_stack: false
    .vgpr_count:     24
    .vgpr_spill_count: 0
    .wavefront_size: 64
  - .agpr_count:     0
    .args:
      - .offset:         0
        .size:           4
        .value_kind:     by_value
      - .offset:         4
        .size:           4
        .value_kind:     by_value
      - .offset:         8
        .size:           4
        .value_kind:     by_value
      - .offset:         12
        .size:           4
        .value_kind:     by_value
      - .offset:         16
        .size:           4
        .value_kind:     by_value
      - .offset:         20
        .size:           4
        .value_kind:     by_value
      - .offset:         24
        .size:           4
        .value_kind:     by_value
      - .offset:         28
        .size:           4
        .value_kind:     by_value
      - .actual_access:  read_only
        .address_space:  global
        .offset:         32
        .size:           8
        .value_kind:     global_buffer
      - .actual_access:  read_only
        .address_space:  global
        .offset:         40
        .size:           8
        .value_kind:     global_buffer
      - .actual_access:  read_only
        .address_space:  global
        .offset:         48
        .size:           8
        .value_kind:     global_buffer
      - .offset:         56
        .size:           4
        .value_kind:     by_value
      - .actual_access:  write_only
        .address_space:  global
        .offset:         64
        .size:           8
        .value_kind:     global_buffer
      - .actual_access:  read_only
        .address_space:  global
        .offset:         72
        .size:           8
        .value_kind:     global_buffer
      - .actual_access:  write_only
        .address_space:  global
        .offset:         80
        .size:           8
        .value_kind:     global_buffer
    .group_segment_fixed_size: 2052
    .kernarg_segment_align: 8
    .kernarg_segment_size: 88
    .language:       OpenCL C
    .language_version:
      - 2
      - 0
    .max_flat_workgroup_size: 256
    .name:           _ZN9rocsparseL40csr2gebsr_block_per_row_multipass_kernelILj256ELj64ELj4E21rocsparse_complex_numIfEEEv20rocsparse_direction_iiiiii21rocsparse_index_base_PKT2_PKiS9_S4_PS5_PiSB_
    .private_segment_fixed_size: 0
    .sgpr_count:     50
    .sgpr_spill_count: 0
    .symbol:         _ZN9rocsparseL40csr2gebsr_block_per_row_multipass_kernelILj256ELj64ELj4E21rocsparse_complex_numIfEEEv20rocsparse_direction_iiiiii21rocsparse_index_base_PKT2_PKiS9_S4_PS5_PiSB_.kd
    .uniform_work_group_size: 1
    .uses_dynamic_stack: false
    .vgpr_count:     24
    .vgpr_spill_count: 0
    .wavefront_size: 64
  - .agpr_count:     0
    .args:
      - .offset:         0
        .size:           4
        .value_kind:     by_value
      - .offset:         4
        .size:           4
        .value_kind:     by_value
      - .offset:         8
        .size:           4
        .value_kind:     by_value
      - .offset:         12
        .size:           4
        .value_kind:     by_value
      - .offset:         16
        .size:           4
        .value_kind:     by_value
      - .offset:         20
        .size:           4
        .value_kind:     by_value
      - .offset:         24
        .size:           4
        .value_kind:     by_value
      - .offset:         28
        .size:           4
        .value_kind:     by_value
      - .actual_access:  read_only
        .address_space:  global
        .offset:         32
        .size:           8
        .value_kind:     global_buffer
      - .actual_access:  read_only
        .address_space:  global
        .offset:         40
        .size:           8
        .value_kind:     global_buffer
      - .actual_access:  read_only
        .address_space:  global
        .offset:         48
        .size:           8
        .value_kind:     global_buffer
      - .offset:         56
        .size:           4
        .value_kind:     by_value
      - .actual_access:  write_only
        .address_space:  global
        .offset:         64
        .size:           8
        .value_kind:     global_buffer
      - .actual_access:  read_only
        .address_space:  global
        .offset:         72
        .size:           8
        .value_kind:     global_buffer
      - .actual_access:  write_only
        .address_space:  global
        .offset:         80
        .size:           8
        .value_kind:     global_buffer
    .group_segment_fixed_size: 4100
    .kernarg_segment_align: 8
    .kernarg_segment_size: 88
    .language:       OpenCL C
    .language_version:
      - 2
      - 0
    .max_flat_workgroup_size: 256
    .name:           _ZN9rocsparseL40csr2gebsr_block_per_row_multipass_kernelILj256ELj64ELj8E21rocsparse_complex_numIfEEEv20rocsparse_direction_iiiiii21rocsparse_index_base_PKT2_PKiS9_S4_PS5_PiSB_
    .private_segment_fixed_size: 0
    .sgpr_count:     54
    .sgpr_spill_count: 0
    .symbol:         _ZN9rocsparseL40csr2gebsr_block_per_row_multipass_kernelILj256ELj64ELj8E21rocsparse_complex_numIfEEEv20rocsparse_direction_iiiiii21rocsparse_index_base_PKT2_PKiS9_S4_PS5_PiSB_.kd
    .uniform_work_group_size: 1
    .uses_dynamic_stack: false
    .vgpr_count:     31
    .vgpr_spill_count: 0
    .wavefront_size: 64
  - .agpr_count:     0
    .args:
      - .offset:         0
        .size:           4
        .value_kind:     by_value
      - .offset:         4
        .size:           4
        .value_kind:     by_value
      - .offset:         8
        .size:           4
        .value_kind:     by_value
      - .offset:         12
        .size:           4
        .value_kind:     by_value
      - .offset:         16
        .size:           4
        .value_kind:     by_value
      - .offset:         20
        .size:           4
        .value_kind:     by_value
      - .offset:         24
        .size:           4
        .value_kind:     by_value
      - .offset:         28
        .size:           4
        .value_kind:     by_value
      - .actual_access:  read_only
        .address_space:  global
        .offset:         32
        .size:           8
        .value_kind:     global_buffer
      - .actual_access:  read_only
        .address_space:  global
        .offset:         40
        .size:           8
        .value_kind:     global_buffer
      - .actual_access:  read_only
        .address_space:  global
        .offset:         48
        .size:           8
        .value_kind:     global_buffer
      - .offset:         56
        .size:           4
        .value_kind:     by_value
      - .actual_access:  write_only
        .address_space:  global
        .offset:         64
        .size:           8
        .value_kind:     global_buffer
      - .actual_access:  read_only
        .address_space:  global
        .offset:         72
        .size:           8
        .value_kind:     global_buffer
      - .actual_access:  write_only
        .address_space:  global
        .offset:         80
        .size:           8
        .value_kind:     global_buffer
    .group_segment_fixed_size: 8196
    .kernarg_segment_align: 8
    .kernarg_segment_size: 88
    .language:       OpenCL C
    .language_version:
      - 2
      - 0
    .max_flat_workgroup_size: 256
    .name:           _ZN9rocsparseL40csr2gebsr_block_per_row_multipass_kernelILj256ELj64ELj16E21rocsparse_complex_numIfEEEv20rocsparse_direction_iiiiii21rocsparse_index_base_PKT2_PKiS9_S4_PS5_PiSB_
    .private_segment_fixed_size: 0
    .sgpr_count:     60
    .sgpr_spill_count: 0
    .symbol:         _ZN9rocsparseL40csr2gebsr_block_per_row_multipass_kernelILj256ELj64ELj16E21rocsparse_complex_numIfEEEv20rocsparse_direction_iiiiii21rocsparse_index_base_PKT2_PKiS9_S4_PS5_PiSB_.kd
    .uniform_work_group_size: 1
    .uses_dynamic_stack: false
    .vgpr_count:     36
    .vgpr_spill_count: 0
    .wavefront_size: 64
  - .agpr_count:     0
    .args:
      - .offset:         0
        .size:           4
        .value_kind:     by_value
      - .offset:         4
        .size:           4
        .value_kind:     by_value
      - .offset:         8
        .size:           4
        .value_kind:     by_value
      - .offset:         12
        .size:           4
        .value_kind:     by_value
      - .offset:         16
        .size:           4
        .value_kind:     by_value
      - .offset:         20
        .size:           4
        .value_kind:     by_value
      - .offset:         24
        .size:           4
        .value_kind:     by_value
      - .offset:         28
        .size:           4
        .value_kind:     by_value
      - .actual_access:  read_only
        .address_space:  global
        .offset:         32
        .size:           8
        .value_kind:     global_buffer
      - .actual_access:  read_only
        .address_space:  global
        .offset:         40
        .size:           8
        .value_kind:     global_buffer
      - .actual_access:  read_only
        .address_space:  global
        .offset:         48
        .size:           8
        .value_kind:     global_buffer
      - .offset:         56
        .size:           4
        .value_kind:     by_value
      - .actual_access:  write_only
        .address_space:  global
        .offset:         64
        .size:           8
        .value_kind:     global_buffer
      - .actual_access:  read_only
        .address_space:  global
        .offset:         72
        .size:           8
        .value_kind:     global_buffer
      - .actual_access:  write_only
        .address_space:  global
        .offset:         80
        .size:           8
        .value_kind:     global_buffer
    .group_segment_fixed_size: 16388
    .kernarg_segment_align: 8
    .kernarg_segment_size: 88
    .language:       OpenCL C
    .language_version:
      - 2
      - 0
    .max_flat_workgroup_size: 256
    .name:           _ZN9rocsparseL40csr2gebsr_block_per_row_multipass_kernelILj256ELj64ELj32E21rocsparse_complex_numIfEEEv20rocsparse_direction_iiiiii21rocsparse_index_base_PKT2_PKiS9_S4_PS5_PiSB_
    .private_segment_fixed_size: 0
    .sgpr_count:     76
    .sgpr_spill_count: 0
    .symbol:         _ZN9rocsparseL40csr2gebsr_block_per_row_multipass_kernelILj256ELj64ELj32E21rocsparse_complex_numIfEEEv20rocsparse_direction_iiiiii21rocsparse_index_base_PKT2_PKiS9_S4_PS5_PiSB_.kd
    .uniform_work_group_size: 1
    .uses_dynamic_stack: false
    .vgpr_count:     44
    .vgpr_spill_count: 0
    .wavefront_size: 64
  - .agpr_count:     0
    .args:
      - .offset:         0
        .size:           4
        .value_kind:     by_value
      - .offset:         4
        .size:           4
        .value_kind:     by_value
      - .offset:         8
        .size:           4
        .value_kind:     by_value
      - .offset:         12
        .size:           4
        .value_kind:     by_value
      - .offset:         16
        .size:           4
        .value_kind:     by_value
      - .offset:         20
        .size:           4
        .value_kind:     by_value
      - .offset:         24
        .size:           4
        .value_kind:     by_value
      - .offset:         28
        .size:           4
        .value_kind:     by_value
      - .actual_access:  read_only
        .address_space:  global
        .offset:         32
        .size:           8
        .value_kind:     global_buffer
      - .actual_access:  read_only
        .address_space:  global
        .offset:         40
        .size:           8
        .value_kind:     global_buffer
      - .actual_access:  read_only
        .address_space:  global
        .offset:         48
        .size:           8
        .value_kind:     global_buffer
      - .offset:         56
        .size:           4
        .value_kind:     by_value
      - .actual_access:  write_only
        .address_space:  global
        .offset:         64
        .size:           8
        .value_kind:     global_buffer
      - .actual_access:  read_only
        .address_space:  global
        .offset:         72
        .size:           8
        .value_kind:     global_buffer
      - .actual_access:  write_only
        .address_space:  global
        .offset:         80
        .size:           8
        .value_kind:     global_buffer
    .group_segment_fixed_size: 32772
    .kernarg_segment_align: 8
    .kernarg_segment_size: 88
    .language:       OpenCL C
    .language_version:
      - 2
      - 0
    .max_flat_workgroup_size: 256
    .name:           _ZN9rocsparseL40csr2gebsr_block_per_row_multipass_kernelILj256ELj64ELj64E21rocsparse_complex_numIfEEEv20rocsparse_direction_iiiiii21rocsparse_index_base_PKT2_PKiS9_S4_PS5_PiSB_
    .private_segment_fixed_size: 0
    .sgpr_count:     105
    .sgpr_spill_count: 0
    .symbol:         _ZN9rocsparseL40csr2gebsr_block_per_row_multipass_kernelILj256ELj64ELj64E21rocsparse_complex_numIfEEEv20rocsparse_direction_iiiiii21rocsparse_index_base_PKT2_PKiS9_S4_PS5_PiSB_.kd
    .uniform_work_group_size: 1
    .uses_dynamic_stack: false
    .vgpr_count:     60
    .vgpr_spill_count: 0
    .wavefront_size: 64
  - .agpr_count:     0
    .args:
      - .offset:         0
        .size:           4
        .value_kind:     by_value
      - .offset:         4
        .size:           4
        .value_kind:     by_value
      - .offset:         8
        .size:           4
        .value_kind:     by_value
      - .offset:         12
        .size:           4
        .value_kind:     by_value
      - .offset:         16
        .size:           4
        .value_kind:     by_value
      - .offset:         20
        .size:           4
        .value_kind:     by_value
      - .offset:         24
        .size:           4
        .value_kind:     by_value
      - .offset:         28
        .size:           4
        .value_kind:     by_value
      - .offset:         32
        .size:           4
        .value_kind:     by_value
      - .actual_access:  read_only
        .address_space:  global
        .offset:         40
        .size:           8
        .value_kind:     global_buffer
      - .actual_access:  read_only
        .address_space:  global
        .offset:         48
        .size:           8
        .value_kind:     global_buffer
      - .actual_access:  read_only
        .address_space:  global
        .offset:         56
        .size:           8
        .value_kind:     global_buffer
      - .offset:         64
        .size:           4
        .value_kind:     by_value
      - .actual_access:  write_only
        .address_space:  global
        .offset:         72
        .size:           8
        .value_kind:     global_buffer
      - .actual_access:  read_only
        .address_space:  global
        .offset:         80
        .size:           8
        .value_kind:     global_buffer
      - .actual_access:  write_only
        .address_space:  global
        .offset:         88
        .size:           8
        .value_kind:     global_buffer
      - .address_space:  global
        .offset:         96
        .size:           8
        .value_kind:     global_buffer
      - .address_space:  global
        .offset:         104
        .size:           8
        .value_kind:     global_buffer
    .group_segment_fixed_size: 0
    .kernarg_segment_align: 8
    .kernarg_segment_size: 112
    .language:       OpenCL C
    .language_version:
      - 2
      - 0
    .max_flat_workgroup_size: 32
    .name:           _ZN9rocsparseL23csr2gebsr_65_inf_kernelILi32E21rocsparse_complex_numIfEEEv20rocsparse_direction_iiiiiii21rocsparse_index_base_PKT0_PKiS9_S4_PS5_PiSB_SB_SA_
    .private_segment_fixed_size: 0
    .sgpr_count:     52
    .sgpr_spill_count: 0
    .symbol:         _ZN9rocsparseL23csr2gebsr_65_inf_kernelILi32E21rocsparse_complex_numIfEEEv20rocsparse_direction_iiiiiii21rocsparse_index_base_PKT0_PKiS9_S4_PS5_PiSB_SB_SA_.kd
    .uniform_work_group_size: 1
    .uses_dynamic_stack: false
    .vgpr_count:     34
    .vgpr_spill_count: 0
    .wavefront_size: 64
  - .agpr_count:     0
    .args:
      - .offset:         0
        .size:           4
        .value_kind:     by_value
      - .offset:         4
        .size:           4
        .value_kind:     by_value
      - .offset:         8
        .size:           4
        .value_kind:     by_value
      - .offset:         12
        .size:           4
        .value_kind:     by_value
      - .offset:         16
        .size:           4
        .value_kind:     by_value
      - .address_space:  global
        .offset:         24
        .size:           8
        .value_kind:     global_buffer
      - .address_space:  global
        .offset:         32
        .size:           8
        .value_kind:     global_buffer
      - .address_space:  global
        .offset:         40
        .size:           8
        .value_kind:     global_buffer
      - .offset:         48
        .size:           4
        .value_kind:     by_value
      - .offset:         52
        .size:           4
        .value_kind:     by_value
      - .address_space:  global
        .offset:         56
        .size:           8
        .value_kind:     global_buffer
      - .address_space:  global
        .offset:         64
        .size:           8
        .value_kind:     global_buffer
      - .address_space:  global
        .offset:         72
        .size:           8
        .value_kind:     global_buffer
      - .offset:         80
        .size:           4
        .value_kind:     by_value
      - .offset:         84
        .size:           4
        .value_kind:     by_value
    .group_segment_fixed_size: 0
    .kernarg_segment_align: 8
    .kernarg_segment_size: 88
    .language:       OpenCL C
    .language_version:
      - 2
      - 0
    .max_flat_workgroup_size: 256
    .name:           _ZN9rocsparseL20csr2gebsr_kernel_bm1ILi256E21rocsparse_complex_numIdEEEviiii21rocsparse_index_base_PKT0_PKiS8_20rocsparse_direction_S3_PS4_S8_Piii
    .private_segment_fixed_size: 0
    .sgpr_count:     26
    .sgpr_spill_count: 0
    .symbol:         _ZN9rocsparseL20csr2gebsr_kernel_bm1ILi256E21rocsparse_complex_numIdEEEviiii21rocsparse_index_base_PKT0_PKiS8_20rocsparse_direction_S3_PS4_S8_Piii.kd
    .uniform_work_group_size: 1
    .uses_dynamic_stack: false
    .vgpr_count:     21
    .vgpr_spill_count: 0
    .wavefront_size: 64
  - .agpr_count:     0
    .args:
      - .offset:         0
        .size:           4
        .value_kind:     by_value
      - .offset:         4
        .size:           4
        .value_kind:     by_value
      - .offset:         8
        .size:           4
        .value_kind:     by_value
      - .offset:         12
        .size:           4
        .value_kind:     by_value
      - .offset:         16
        .size:           4
        .value_kind:     by_value
      - .offset:         20
        .size:           4
        .value_kind:     by_value
      - .offset:         24
        .size:           4
        .value_kind:     by_value
      - .offset:         28
        .size:           4
        .value_kind:     by_value
      - .actual_access:  read_only
        .address_space:  global
        .offset:         32
        .size:           8
        .value_kind:     global_buffer
      - .actual_access:  read_only
        .address_space:  global
        .offset:         40
        .size:           8
        .value_kind:     global_buffer
      - .actual_access:  read_only
        .address_space:  global
        .offset:         48
        .size:           8
        .value_kind:     global_buffer
      - .offset:         56
        .size:           4
        .value_kind:     by_value
      - .actual_access:  write_only
        .address_space:  global
        .offset:         64
        .size:           8
        .value_kind:     global_buffer
      - .actual_access:  read_only
        .address_space:  global
        .offset:         72
        .size:           8
        .value_kind:     global_buffer
      - .actual_access:  write_only
        .address_space:  global
        .offset:         80
        .size:           8
        .value_kind:     global_buffer
    .group_segment_fixed_size: 4160
    .kernarg_segment_align: 8
    .kernarg_segment_size: 88
    .language:       OpenCL C
    .language_version:
      - 2
      - 0
    .max_flat_workgroup_size: 256
    .name:           _ZN9rocsparseL44csr2gebsr_wavefront_per_row_multipass_kernelILi256ELi2ELi2ELi4E21rocsparse_complex_numIdEEEv20rocsparse_direction_iiiiii21rocsparse_index_base_PKT3_PKiS9_S4_PS5_PiSB_
    .private_segment_fixed_size: 0
    .sgpr_count:     32
    .sgpr_spill_count: 0
    .symbol:         _ZN9rocsparseL44csr2gebsr_wavefront_per_row_multipass_kernelILi256ELi2ELi2ELi4E21rocsparse_complex_numIdEEEv20rocsparse_direction_iiiiii21rocsparse_index_base_PKT3_PKiS9_S4_PS5_PiSB_.kd
    .uniform_work_group_size: 1
    .uses_dynamic_stack: false
    .vgpr_count:     32
    .vgpr_spill_count: 0
    .wavefront_size: 64
  - .agpr_count:     0
    .args:
      - .offset:         0
        .size:           4
        .value_kind:     by_value
      - .offset:         4
        .size:           4
        .value_kind:     by_value
      - .offset:         8
        .size:           4
        .value_kind:     by_value
      - .offset:         12
        .size:           4
        .value_kind:     by_value
      - .offset:         16
        .size:           4
        .value_kind:     by_value
      - .offset:         20
        .size:           4
        .value_kind:     by_value
      - .offset:         24
        .size:           4
        .value_kind:     by_value
      - .offset:         28
        .size:           4
        .value_kind:     by_value
      - .actual_access:  read_only
        .address_space:  global
        .offset:         32
        .size:           8
        .value_kind:     global_buffer
      - .actual_access:  read_only
        .address_space:  global
        .offset:         40
        .size:           8
        .value_kind:     global_buffer
      - .actual_access:  read_only
        .address_space:  global
        .offset:         48
        .size:           8
        .value_kind:     global_buffer
      - .offset:         56
        .size:           4
        .value_kind:     by_value
      - .actual_access:  write_only
        .address_space:  global
        .offset:         64
        .size:           8
        .value_kind:     global_buffer
      - .actual_access:  read_only
        .address_space:  global
        .offset:         72
        .size:           8
        .value_kind:     global_buffer
      - .actual_access:  write_only
        .address_space:  global
        .offset:         80
        .size:           8
        .value_kind:     global_buffer
    .group_segment_fixed_size: 4128
    .kernarg_segment_align: 8
    .kernarg_segment_size: 88
    .language:       OpenCL C
    .language_version:
      - 2
      - 0
    .max_flat_workgroup_size: 256
    .name:           _ZN9rocsparseL44csr2gebsr_wavefront_per_row_multipass_kernelILi256ELi2ELi4ELi8E21rocsparse_complex_numIdEEEv20rocsparse_direction_iiiiii21rocsparse_index_base_PKT3_PKiS9_S4_PS5_PiSB_
    .private_segment_fixed_size: 0
    .sgpr_count:     32
    .sgpr_spill_count: 0
    .symbol:         _ZN9rocsparseL44csr2gebsr_wavefront_per_row_multipass_kernelILi256ELi2ELi4ELi8E21rocsparse_complex_numIdEEEv20rocsparse_direction_iiiiii21rocsparse_index_base_PKT3_PKiS9_S4_PS5_PiSB_.kd
    .uniform_work_group_size: 1
    .uses_dynamic_stack: false
    .vgpr_count:     32
    .vgpr_spill_count: 0
    .wavefront_size: 64
  - .agpr_count:     0
    .args:
      - .offset:         0
        .size:           4
        .value_kind:     by_value
      - .offset:         4
        .size:           4
        .value_kind:     by_value
      - .offset:         8
        .size:           4
        .value_kind:     by_value
      - .offset:         12
        .size:           4
        .value_kind:     by_value
      - .offset:         16
        .size:           4
        .value_kind:     by_value
      - .offset:         20
        .size:           4
        .value_kind:     by_value
      - .offset:         24
        .size:           4
        .value_kind:     by_value
      - .offset:         28
        .size:           4
        .value_kind:     by_value
      - .actual_access:  read_only
        .address_space:  global
        .offset:         32
        .size:           8
        .value_kind:     global_buffer
      - .actual_access:  read_only
        .address_space:  global
        .offset:         40
        .size:           8
        .value_kind:     global_buffer
      - .actual_access:  read_only
        .address_space:  global
        .offset:         48
        .size:           8
        .value_kind:     global_buffer
      - .offset:         56
        .size:           4
        .value_kind:     by_value
      - .actual_access:  write_only
        .address_space:  global
        .offset:         64
        .size:           8
        .value_kind:     global_buffer
      - .actual_access:  read_only
        .address_space:  global
        .offset:         72
        .size:           8
        .value_kind:     global_buffer
      - .actual_access:  write_only
        .address_space:  global
        .offset:         80
        .size:           8
        .value_kind:     global_buffer
    .group_segment_fixed_size: 4112
    .kernarg_segment_align: 8
    .kernarg_segment_size: 88
    .language:       OpenCL C
    .language_version:
      - 2
      - 0
    .max_flat_workgroup_size: 256
    .name:           _ZN9rocsparseL44csr2gebsr_wavefront_per_row_multipass_kernelILi256ELi2ELi8ELi16E21rocsparse_complex_numIdEEEv20rocsparse_direction_iiiiii21rocsparse_index_base_PKT3_PKiS9_S4_PS5_PiSB_
    .private_segment_fixed_size: 0
    .sgpr_count:     34
    .sgpr_spill_count: 0
    .symbol:         _ZN9rocsparseL44csr2gebsr_wavefront_per_row_multipass_kernelILi256ELi2ELi8ELi16E21rocsparse_complex_numIdEEEv20rocsparse_direction_iiiiii21rocsparse_index_base_PKT3_PKiS9_S4_PS5_PiSB_.kd
    .uniform_work_group_size: 1
    .uses_dynamic_stack: false
    .vgpr_count:     32
    .vgpr_spill_count: 0
    .wavefront_size: 64
  - .agpr_count:     0
    .args:
      - .offset:         0
        .size:           4
        .value_kind:     by_value
      - .offset:         4
        .size:           4
        .value_kind:     by_value
      - .offset:         8
        .size:           4
        .value_kind:     by_value
      - .offset:         12
        .size:           4
        .value_kind:     by_value
      - .offset:         16
        .size:           4
        .value_kind:     by_value
      - .offset:         20
        .size:           4
        .value_kind:     by_value
      - .offset:         24
        .size:           4
        .value_kind:     by_value
      - .offset:         28
        .size:           4
        .value_kind:     by_value
      - .actual_access:  read_only
        .address_space:  global
        .offset:         32
        .size:           8
        .value_kind:     global_buffer
      - .actual_access:  read_only
        .address_space:  global
        .offset:         40
        .size:           8
        .value_kind:     global_buffer
      - .actual_access:  read_only
        .address_space:  global
        .offset:         48
        .size:           8
        .value_kind:     global_buffer
      - .offset:         56
        .size:           4
        .value_kind:     by_value
      - .actual_access:  write_only
        .address_space:  global
        .offset:         64
        .size:           8
        .value_kind:     global_buffer
      - .actual_access:  read_only
        .address_space:  global
        .offset:         72
        .size:           8
        .value_kind:     global_buffer
      - .actual_access:  write_only
        .address_space:  global
        .offset:         80
        .size:           8
        .value_kind:     global_buffer
    .group_segment_fixed_size: 4104
    .kernarg_segment_align: 8
    .kernarg_segment_size: 88
    .language:       OpenCL C
    .language_version:
      - 2
      - 0
    .max_flat_workgroup_size: 256
    .name:           _ZN9rocsparseL44csr2gebsr_wavefront_per_row_multipass_kernelILi256ELi2ELi16ELi32E21rocsparse_complex_numIdEEEv20rocsparse_direction_iiiiii21rocsparse_index_base_PKT3_PKiS9_S4_PS5_PiSB_
    .private_segment_fixed_size: 0
    .sgpr_count:     34
    .sgpr_spill_count: 0
    .symbol:         _ZN9rocsparseL44csr2gebsr_wavefront_per_row_multipass_kernelILi256ELi2ELi16ELi32E21rocsparse_complex_numIdEEEv20rocsparse_direction_iiiiii21rocsparse_index_base_PKT3_PKiS9_S4_PS5_PiSB_.kd
    .uniform_work_group_size: 1
    .uses_dynamic_stack: false
    .vgpr_count:     32
    .vgpr_spill_count: 0
    .wavefront_size: 64
  - .agpr_count:     0
    .args:
      - .offset:         0
        .size:           4
        .value_kind:     by_value
      - .offset:         4
        .size:           4
        .value_kind:     by_value
      - .offset:         8
        .size:           4
        .value_kind:     by_value
      - .offset:         12
        .size:           4
        .value_kind:     by_value
      - .offset:         16
        .size:           4
        .value_kind:     by_value
      - .offset:         20
        .size:           4
        .value_kind:     by_value
      - .offset:         24
        .size:           4
        .value_kind:     by_value
      - .offset:         28
        .size:           4
        .value_kind:     by_value
      - .actual_access:  read_only
        .address_space:  global
        .offset:         32
        .size:           8
        .value_kind:     global_buffer
      - .actual_access:  read_only
        .address_space:  global
        .offset:         40
        .size:           8
        .value_kind:     global_buffer
      - .actual_access:  read_only
        .address_space:  global
        .offset:         48
        .size:           8
        .value_kind:     global_buffer
      - .offset:         56
        .size:           4
        .value_kind:     by_value
      - .actual_access:  write_only
        .address_space:  global
        .offset:         64
        .size:           8
        .value_kind:     global_buffer
      - .actual_access:  read_only
        .address_space:  global
        .offset:         72
        .size:           8
        .value_kind:     global_buffer
      - .actual_access:  write_only
        .address_space:  global
        .offset:         80
        .size:           8
        .value_kind:     global_buffer
    .group_segment_fixed_size: 4104
    .kernarg_segment_align: 8
    .kernarg_segment_size: 88
    .language:       OpenCL C
    .language_version:
      - 2
      - 0
    .max_flat_workgroup_size: 256
    .name:           _ZN9rocsparseL44csr2gebsr_wavefront_per_row_multipass_kernelILi256ELi2ELi32ELi64E21rocsparse_complex_numIdEEEv20rocsparse_direction_iiiiii21rocsparse_index_base_PKT3_PKiS9_S4_PS5_PiSB_
    .private_segment_fixed_size: 0
    .sgpr_count:     36
    .sgpr_spill_count: 0
    .symbol:         _ZN9rocsparseL44csr2gebsr_wavefront_per_row_multipass_kernelILi256ELi2ELi32ELi64E21rocsparse_complex_numIdEEEv20rocsparse_direction_iiiiii21rocsparse_index_base_PKT3_PKiS9_S4_PS5_PiSB_.kd
    .uniform_work_group_size: 1
    .uses_dynamic_stack: false
    .vgpr_count:     32
    .vgpr_spill_count: 0
    .wavefront_size: 64
  - .agpr_count:     0
    .args:
      - .offset:         0
        .size:           4
        .value_kind:     by_value
      - .offset:         4
        .size:           4
        .value_kind:     by_value
      - .offset:         8
        .size:           4
        .value_kind:     by_value
      - .offset:         12
        .size:           4
        .value_kind:     by_value
      - .offset:         16
        .size:           4
        .value_kind:     by_value
      - .offset:         20
        .size:           4
        .value_kind:     by_value
      - .offset:         24
        .size:           4
        .value_kind:     by_value
      - .offset:         28
        .size:           4
        .value_kind:     by_value
      - .actual_access:  read_only
        .address_space:  global
        .offset:         32
        .size:           8
        .value_kind:     global_buffer
      - .actual_access:  read_only
        .address_space:  global
        .offset:         40
        .size:           8
        .value_kind:     global_buffer
      - .actual_access:  read_only
        .address_space:  global
        .offset:         48
        .size:           8
        .value_kind:     global_buffer
      - .offset:         56
        .size:           4
        .value_kind:     by_value
      - .actual_access:  write_only
        .address_space:  global
        .offset:         64
        .size:           8
        .value_kind:     global_buffer
      - .actual_access:  read_only
        .address_space:  global
        .offset:         72
        .size:           8
        .value_kind:     global_buffer
      - .actual_access:  write_only
        .address_space:  global
        .offset:         80
        .size:           8
        .value_kind:     global_buffer
    .group_segment_fixed_size: 8200
    .kernarg_segment_align: 8
    .kernarg_segment_size: 88
    .language:       OpenCL C
    .language_version:
      - 2
      - 0
    .max_flat_workgroup_size: 256
    .name:           _ZN9rocsparseL44csr2gebsr_wavefront_per_row_multipass_kernelILi256ELi2ELi32ELi32E21rocsparse_complex_numIdEEEv20rocsparse_direction_iiiiii21rocsparse_index_base_PKT3_PKiS9_S4_PS5_PiSB_
    .private_segment_fixed_size: 0
    .sgpr_count:     42
    .sgpr_spill_count: 0
    .symbol:         _ZN9rocsparseL44csr2gebsr_wavefront_per_row_multipass_kernelILi256ELi2ELi32ELi32E21rocsparse_complex_numIdEEEv20rocsparse_direction_iiiiii21rocsparse_index_base_PKT3_PKiS9_S4_PS5_PiSB_.kd
    .uniform_work_group_size: 1
    .uses_dynamic_stack: false
    .vgpr_count:     40
    .vgpr_spill_count: 0
    .wavefront_size: 64
  - .agpr_count:     0
    .args:
      - .offset:         0
        .size:           4
        .value_kind:     by_value
      - .offset:         4
        .size:           4
        .value_kind:     by_value
      - .offset:         8
        .size:           4
        .value_kind:     by_value
      - .offset:         12
        .size:           4
        .value_kind:     by_value
      - .offset:         16
        .size:           4
        .value_kind:     by_value
      - .offset:         20
        .size:           4
        .value_kind:     by_value
      - .offset:         24
        .size:           4
        .value_kind:     by_value
      - .offset:         28
        .size:           4
        .value_kind:     by_value
      - .actual_access:  read_only
        .address_space:  global
        .offset:         32
        .size:           8
        .value_kind:     global_buffer
      - .actual_access:  read_only
        .address_space:  global
        .offset:         40
        .size:           8
        .value_kind:     global_buffer
      - .actual_access:  read_only
        .address_space:  global
        .offset:         48
        .size:           8
        .value_kind:     global_buffer
      - .offset:         56
        .size:           4
        .value_kind:     by_value
      - .actual_access:  write_only
        .address_space:  global
        .offset:         64
        .size:           8
        .value_kind:     global_buffer
      - .actual_access:  read_only
        .address_space:  global
        .offset:         72
        .size:           8
        .value_kind:     global_buffer
      - .actual_access:  write_only
        .address_space:  global
        .offset:         80
        .size:           8
        .value_kind:     global_buffer
    .group_segment_fixed_size: 8200
    .kernarg_segment_align: 8
    .kernarg_segment_size: 88
    .language:       OpenCL C
    .language_version:
      - 2
      - 0
    .max_flat_workgroup_size: 256
    .name:           _ZN9rocsparseL44csr2gebsr_wavefront_per_row_multipass_kernelILi256ELi2ELi64ELi64E21rocsparse_complex_numIdEEEv20rocsparse_direction_iiiiii21rocsparse_index_base_PKT3_PKiS9_S4_PS5_PiSB_
    .private_segment_fixed_size: 0
    .sgpr_count:     42
    .sgpr_spill_count: 0
    .symbol:         _ZN9rocsparseL44csr2gebsr_wavefront_per_row_multipass_kernelILi256ELi2ELi64ELi64E21rocsparse_complex_numIdEEEv20rocsparse_direction_iiiiii21rocsparse_index_base_PKT3_PKiS9_S4_PS5_PiSB_.kd
    .uniform_work_group_size: 1
    .uses_dynamic_stack: false
    .vgpr_count:     40
    .vgpr_spill_count: 0
    .wavefront_size: 64
  - .agpr_count:     0
    .args:
      - .offset:         0
        .size:           4
        .value_kind:     by_value
      - .offset:         4
        .size:           4
        .value_kind:     by_value
      - .offset:         8
        .size:           4
        .value_kind:     by_value
      - .offset:         12
        .size:           4
        .value_kind:     by_value
      - .offset:         16
        .size:           4
        .value_kind:     by_value
      - .offset:         20
        .size:           4
        .value_kind:     by_value
      - .offset:         24
        .size:           4
        .value_kind:     by_value
      - .offset:         28
        .size:           4
        .value_kind:     by_value
      - .actual_access:  read_only
        .address_space:  global
        .offset:         32
        .size:           8
        .value_kind:     global_buffer
      - .actual_access:  read_only
        .address_space:  global
        .offset:         40
        .size:           8
        .value_kind:     global_buffer
      - .actual_access:  read_only
        .address_space:  global
        .offset:         48
        .size:           8
        .value_kind:     global_buffer
      - .offset:         56
        .size:           4
        .value_kind:     by_value
      - .actual_access:  write_only
        .address_space:  global
        .offset:         64
        .size:           8
        .value_kind:     global_buffer
      - .actual_access:  read_only
        .address_space:  global
        .offset:         72
        .size:           8
        .value_kind:     global_buffer
      - .actual_access:  write_only
        .address_space:  global
        .offset:         80
        .size:           8
        .value_kind:     global_buffer
    .group_segment_fixed_size: 16392
    .kernarg_segment_align: 8
    .kernarg_segment_size: 88
    .language:       OpenCL C
    .language_version:
      - 2
      - 0
    .max_flat_workgroup_size: 256
    .name:           _ZN9rocsparseL44csr2gebsr_wavefront_per_row_multipass_kernelILi256ELi2ELi64ELi32E21rocsparse_complex_numIdEEEv20rocsparse_direction_iiiiii21rocsparse_index_base_PKT3_PKiS9_S4_PS5_PiSB_
    .private_segment_fixed_size: 0
    .sgpr_count:     46
    .sgpr_spill_count: 0
    .symbol:         _ZN9rocsparseL44csr2gebsr_wavefront_per_row_multipass_kernelILi256ELi2ELi64ELi32E21rocsparse_complex_numIdEEEv20rocsparse_direction_iiiiii21rocsparse_index_base_PKT3_PKiS9_S4_PS5_PiSB_.kd
    .uniform_work_group_size: 1
    .uses_dynamic_stack: false
    .vgpr_count:     46
    .vgpr_spill_count: 0
    .wavefront_size: 64
  - .agpr_count:     0
    .args:
      - .offset:         0
        .size:           4
        .value_kind:     by_value
      - .offset:         4
        .size:           4
        .value_kind:     by_value
      - .offset:         8
        .size:           4
        .value_kind:     by_value
      - .offset:         12
        .size:           4
        .value_kind:     by_value
      - .offset:         16
        .size:           4
        .value_kind:     by_value
      - .offset:         20
        .size:           4
        .value_kind:     by_value
      - .offset:         24
        .size:           4
        .value_kind:     by_value
      - .offset:         28
        .size:           4
        .value_kind:     by_value
      - .actual_access:  read_only
        .address_space:  global
        .offset:         32
        .size:           8
        .value_kind:     global_buffer
      - .actual_access:  read_only
        .address_space:  global
        .offset:         40
        .size:           8
        .value_kind:     global_buffer
      - .actual_access:  read_only
        .address_space:  global
        .offset:         48
        .size:           8
        .value_kind:     global_buffer
      - .offset:         56
        .size:           4
        .value_kind:     by_value
      - .actual_access:  write_only
        .address_space:  global
        .offset:         64
        .size:           8
        .value_kind:     global_buffer
      - .actual_access:  read_only
        .address_space:  global
        .offset:         72
        .size:           8
        .value_kind:     global_buffer
      - .actual_access:  write_only
        .address_space:  global
        .offset:         80
        .size:           8
        .value_kind:     global_buffer
    .group_segment_fixed_size: 4128
    .kernarg_segment_align: 8
    .kernarg_segment_size: 88
    .language:       OpenCL C
    .language_version:
      - 2
      - 0
    .max_flat_workgroup_size: 256
    .name:           _ZN9rocsparseL44csr2gebsr_wavefront_per_row_multipass_kernelILi256ELi4ELi2ELi8E21rocsparse_complex_numIdEEEv20rocsparse_direction_iiiiii21rocsparse_index_base_PKT3_PKiS9_S4_PS5_PiSB_
    .private_segment_fixed_size: 0
    .sgpr_count:     32
    .sgpr_spill_count: 0
    .symbol:         _ZN9rocsparseL44csr2gebsr_wavefront_per_row_multipass_kernelILi256ELi4ELi2ELi8E21rocsparse_complex_numIdEEEv20rocsparse_direction_iiiiii21rocsparse_index_base_PKT3_PKiS9_S4_PS5_PiSB_.kd
    .uniform_work_group_size: 1
    .uses_dynamic_stack: false
    .vgpr_count:     32
    .vgpr_spill_count: 0
    .wavefront_size: 64
  - .agpr_count:     0
    .args:
      - .offset:         0
        .size:           4
        .value_kind:     by_value
      - .offset:         4
        .size:           4
        .value_kind:     by_value
      - .offset:         8
        .size:           4
        .value_kind:     by_value
      - .offset:         12
        .size:           4
        .value_kind:     by_value
      - .offset:         16
        .size:           4
        .value_kind:     by_value
      - .offset:         20
        .size:           4
        .value_kind:     by_value
      - .offset:         24
        .size:           4
        .value_kind:     by_value
      - .offset:         28
        .size:           4
        .value_kind:     by_value
      - .actual_access:  read_only
        .address_space:  global
        .offset:         32
        .size:           8
        .value_kind:     global_buffer
      - .actual_access:  read_only
        .address_space:  global
        .offset:         40
        .size:           8
        .value_kind:     global_buffer
      - .actual_access:  read_only
        .address_space:  global
        .offset:         48
        .size:           8
        .value_kind:     global_buffer
      - .offset:         56
        .size:           4
        .value_kind:     by_value
      - .actual_access:  write_only
        .address_space:  global
        .offset:         64
        .size:           8
        .value_kind:     global_buffer
      - .actual_access:  read_only
        .address_space:  global
        .offset:         72
        .size:           8
        .value_kind:     global_buffer
      - .actual_access:  write_only
        .address_space:  global
        .offset:         80
        .size:           8
        .value_kind:     global_buffer
    .group_segment_fixed_size: 4112
    .kernarg_segment_align: 8
    .kernarg_segment_size: 88
    .language:       OpenCL C
    .language_version:
      - 2
      - 0
    .max_flat_workgroup_size: 256
    .name:           _ZN9rocsparseL44csr2gebsr_wavefront_per_row_multipass_kernelILi256ELi4ELi4ELi16E21rocsparse_complex_numIdEEEv20rocsparse_direction_iiiiii21rocsparse_index_base_PKT3_PKiS9_S4_PS5_PiSB_
    .private_segment_fixed_size: 0
    .sgpr_count:     32
    .sgpr_spill_count: 0
    .symbol:         _ZN9rocsparseL44csr2gebsr_wavefront_per_row_multipass_kernelILi256ELi4ELi4ELi16E21rocsparse_complex_numIdEEEv20rocsparse_direction_iiiiii21rocsparse_index_base_PKT3_PKiS9_S4_PS5_PiSB_.kd
    .uniform_work_group_size: 1
    .uses_dynamic_stack: false
    .vgpr_count:     32
    .vgpr_spill_count: 0
    .wavefront_size: 64
  - .agpr_count:     0
    .args:
      - .offset:         0
        .size:           4
        .value_kind:     by_value
      - .offset:         4
        .size:           4
        .value_kind:     by_value
      - .offset:         8
        .size:           4
        .value_kind:     by_value
      - .offset:         12
        .size:           4
        .value_kind:     by_value
      - .offset:         16
        .size:           4
        .value_kind:     by_value
      - .offset:         20
        .size:           4
        .value_kind:     by_value
      - .offset:         24
        .size:           4
        .value_kind:     by_value
      - .offset:         28
        .size:           4
        .value_kind:     by_value
      - .actual_access:  read_only
        .address_space:  global
        .offset:         32
        .size:           8
        .value_kind:     global_buffer
      - .actual_access:  read_only
        .address_space:  global
        .offset:         40
        .size:           8
        .value_kind:     global_buffer
      - .actual_access:  read_only
        .address_space:  global
        .offset:         48
        .size:           8
        .value_kind:     global_buffer
      - .offset:         56
        .size:           4
        .value_kind:     by_value
      - .actual_access:  write_only
        .address_space:  global
        .offset:         64
        .size:           8
        .value_kind:     global_buffer
      - .actual_access:  read_only
        .address_space:  global
        .offset:         72
        .size:           8
        .value_kind:     global_buffer
      - .actual_access:  write_only
        .address_space:  global
        .offset:         80
        .size:           8
        .value_kind:     global_buffer
    .group_segment_fixed_size: 4104
    .kernarg_segment_align: 8
    .kernarg_segment_size: 88
    .language:       OpenCL C
    .language_version:
      - 2
      - 0
    .max_flat_workgroup_size: 256
    .name:           _ZN9rocsparseL44csr2gebsr_wavefront_per_row_multipass_kernelILi256ELi4ELi8ELi32E21rocsparse_complex_numIdEEEv20rocsparse_direction_iiiiii21rocsparse_index_base_PKT3_PKiS9_S4_PS5_PiSB_
    .private_segment_fixed_size: 0
    .sgpr_count:     34
    .sgpr_spill_count: 0
    .symbol:         _ZN9rocsparseL44csr2gebsr_wavefront_per_row_multipass_kernelILi256ELi4ELi8ELi32E21rocsparse_complex_numIdEEEv20rocsparse_direction_iiiiii21rocsparse_index_base_PKT3_PKiS9_S4_PS5_PiSB_.kd
    .uniform_work_group_size: 1
    .uses_dynamic_stack: false
    .vgpr_count:     32
    .vgpr_spill_count: 0
    .wavefront_size: 64
  - .agpr_count:     0
    .args:
      - .offset:         0
        .size:           4
        .value_kind:     by_value
      - .offset:         4
        .size:           4
        .value_kind:     by_value
      - .offset:         8
        .size:           4
        .value_kind:     by_value
      - .offset:         12
        .size:           4
        .value_kind:     by_value
      - .offset:         16
        .size:           4
        .value_kind:     by_value
      - .offset:         20
        .size:           4
        .value_kind:     by_value
      - .offset:         24
        .size:           4
        .value_kind:     by_value
      - .offset:         28
        .size:           4
        .value_kind:     by_value
      - .actual_access:  read_only
        .address_space:  global
        .offset:         32
        .size:           8
        .value_kind:     global_buffer
      - .actual_access:  read_only
        .address_space:  global
        .offset:         40
        .size:           8
        .value_kind:     global_buffer
      - .actual_access:  read_only
        .address_space:  global
        .offset:         48
        .size:           8
        .value_kind:     global_buffer
      - .offset:         56
        .size:           4
        .value_kind:     by_value
      - .actual_access:  write_only
        .address_space:  global
        .offset:         64
        .size:           8
        .value_kind:     global_buffer
      - .actual_access:  read_only
        .address_space:  global
        .offset:         72
        .size:           8
        .value_kind:     global_buffer
      - .actual_access:  write_only
        .address_space:  global
        .offset:         80
        .size:           8
        .value_kind:     global_buffer
    .group_segment_fixed_size: 4104
    .kernarg_segment_align: 8
    .kernarg_segment_size: 88
    .language:       OpenCL C
    .language_version:
      - 2
      - 0
    .max_flat_workgroup_size: 256
    .name:           _ZN9rocsparseL44csr2gebsr_wavefront_per_row_multipass_kernelILi256ELi4ELi16ELi64E21rocsparse_complex_numIdEEEv20rocsparse_direction_iiiiii21rocsparse_index_base_PKT3_PKiS9_S4_PS5_PiSB_
    .private_segment_fixed_size: 0
    .sgpr_count:     34
    .sgpr_spill_count: 0
    .symbol:         _ZN9rocsparseL44csr2gebsr_wavefront_per_row_multipass_kernelILi256ELi4ELi16ELi64E21rocsparse_complex_numIdEEEv20rocsparse_direction_iiiiii21rocsparse_index_base_PKT3_PKiS9_S4_PS5_PiSB_.kd
    .uniform_work_group_size: 1
    .uses_dynamic_stack: false
    .vgpr_count:     32
    .vgpr_spill_count: 0
    .wavefront_size: 64
  - .agpr_count:     0
    .args:
      - .offset:         0
        .size:           4
        .value_kind:     by_value
      - .offset:         4
        .size:           4
        .value_kind:     by_value
      - .offset:         8
        .size:           4
        .value_kind:     by_value
      - .offset:         12
        .size:           4
        .value_kind:     by_value
      - .offset:         16
        .size:           4
        .value_kind:     by_value
      - .offset:         20
        .size:           4
        .value_kind:     by_value
      - .offset:         24
        .size:           4
        .value_kind:     by_value
      - .offset:         28
        .size:           4
        .value_kind:     by_value
      - .actual_access:  read_only
        .address_space:  global
        .offset:         32
        .size:           8
        .value_kind:     global_buffer
      - .actual_access:  read_only
        .address_space:  global
        .offset:         40
        .size:           8
        .value_kind:     global_buffer
      - .actual_access:  read_only
        .address_space:  global
        .offset:         48
        .size:           8
        .value_kind:     global_buffer
      - .offset:         56
        .size:           4
        .value_kind:     by_value
      - .actual_access:  write_only
        .address_space:  global
        .offset:         64
        .size:           8
        .value_kind:     global_buffer
      - .actual_access:  read_only
        .address_space:  global
        .offset:         72
        .size:           8
        .value_kind:     global_buffer
      - .actual_access:  write_only
        .address_space:  global
        .offset:         80
        .size:           8
        .value_kind:     global_buffer
    .group_segment_fixed_size: 8200
    .kernarg_segment_align: 8
    .kernarg_segment_size: 88
    .language:       OpenCL C
    .language_version:
      - 2
      - 0
    .max_flat_workgroup_size: 256
    .name:           _ZN9rocsparseL44csr2gebsr_wavefront_per_row_multipass_kernelILi256ELi4ELi16ELi32E21rocsparse_complex_numIdEEEv20rocsparse_direction_iiiiii21rocsparse_index_base_PKT3_PKiS9_S4_PS5_PiSB_
    .private_segment_fixed_size: 0
    .sgpr_count:     42
    .sgpr_spill_count: 0
    .symbol:         _ZN9rocsparseL44csr2gebsr_wavefront_per_row_multipass_kernelILi256ELi4ELi16ELi32E21rocsparse_complex_numIdEEEv20rocsparse_direction_iiiiii21rocsparse_index_base_PKT3_PKiS9_S4_PS5_PiSB_.kd
    .uniform_work_group_size: 1
    .uses_dynamic_stack: false
    .vgpr_count:     40
    .vgpr_spill_count: 0
    .wavefront_size: 64
  - .agpr_count:     0
    .args:
      - .offset:         0
        .size:           4
        .value_kind:     by_value
      - .offset:         4
        .size:           4
        .value_kind:     by_value
      - .offset:         8
        .size:           4
        .value_kind:     by_value
      - .offset:         12
        .size:           4
        .value_kind:     by_value
      - .offset:         16
        .size:           4
        .value_kind:     by_value
      - .offset:         20
        .size:           4
        .value_kind:     by_value
      - .offset:         24
        .size:           4
        .value_kind:     by_value
      - .offset:         28
        .size:           4
        .value_kind:     by_value
      - .actual_access:  read_only
        .address_space:  global
        .offset:         32
        .size:           8
        .value_kind:     global_buffer
      - .actual_access:  read_only
        .address_space:  global
        .offset:         40
        .size:           8
        .value_kind:     global_buffer
      - .actual_access:  read_only
        .address_space:  global
        .offset:         48
        .size:           8
        .value_kind:     global_buffer
      - .offset:         56
        .size:           4
        .value_kind:     by_value
      - .actual_access:  write_only
        .address_space:  global
        .offset:         64
        .size:           8
        .value_kind:     global_buffer
      - .actual_access:  read_only
        .address_space:  global
        .offset:         72
        .size:           8
        .value_kind:     global_buffer
      - .actual_access:  write_only
        .address_space:  global
        .offset:         80
        .size:           8
        .value_kind:     global_buffer
    .group_segment_fixed_size: 8200
    .kernarg_segment_align: 8
    .kernarg_segment_size: 88
    .language:       OpenCL C
    .language_version:
      - 2
      - 0
    .max_flat_workgroup_size: 256
    .name:           _ZN9rocsparseL44csr2gebsr_wavefront_per_row_multipass_kernelILi256ELi4ELi32ELi64E21rocsparse_complex_numIdEEEv20rocsparse_direction_iiiiii21rocsparse_index_base_PKT3_PKiS9_S4_PS5_PiSB_
    .private_segment_fixed_size: 0
    .sgpr_count:     42
    .sgpr_spill_count: 0
    .symbol:         _ZN9rocsparseL44csr2gebsr_wavefront_per_row_multipass_kernelILi256ELi4ELi32ELi64E21rocsparse_complex_numIdEEEv20rocsparse_direction_iiiiii21rocsparse_index_base_PKT3_PKiS9_S4_PS5_PiSB_.kd
    .uniform_work_group_size: 1
    .uses_dynamic_stack: false
    .vgpr_count:     40
    .vgpr_spill_count: 0
    .wavefront_size: 64
  - .agpr_count:     0
    .args:
      - .offset:         0
        .size:           4
        .value_kind:     by_value
      - .offset:         4
        .size:           4
        .value_kind:     by_value
      - .offset:         8
        .size:           4
        .value_kind:     by_value
      - .offset:         12
        .size:           4
        .value_kind:     by_value
      - .offset:         16
        .size:           4
        .value_kind:     by_value
      - .offset:         20
        .size:           4
        .value_kind:     by_value
      - .offset:         24
        .size:           4
        .value_kind:     by_value
      - .offset:         28
        .size:           4
        .value_kind:     by_value
      - .actual_access:  read_only
        .address_space:  global
        .offset:         32
        .size:           8
        .value_kind:     global_buffer
      - .actual_access:  read_only
        .address_space:  global
        .offset:         40
        .size:           8
        .value_kind:     global_buffer
      - .actual_access:  read_only
        .address_space:  global
        .offset:         48
        .size:           8
        .value_kind:     global_buffer
      - .offset:         56
        .size:           4
        .value_kind:     by_value
      - .actual_access:  write_only
        .address_space:  global
        .offset:         64
        .size:           8
        .value_kind:     global_buffer
      - .actual_access:  read_only
        .address_space:  global
        .offset:         72
        .size:           8
        .value_kind:     global_buffer
      - .actual_access:  write_only
        .address_space:  global
        .offset:         80
        .size:           8
        .value_kind:     global_buffer
    .group_segment_fixed_size: 16392
    .kernarg_segment_align: 8
    .kernarg_segment_size: 88
    .language:       OpenCL C
    .language_version:
      - 2
      - 0
    .max_flat_workgroup_size: 256
    .name:           _ZN9rocsparseL44csr2gebsr_wavefront_per_row_multipass_kernelILi256ELi4ELi32ELi32E21rocsparse_complex_numIdEEEv20rocsparse_direction_iiiiii21rocsparse_index_base_PKT3_PKiS9_S4_PS5_PiSB_
    .private_segment_fixed_size: 0
    .sgpr_count:     46
    .sgpr_spill_count: 0
    .symbol:         _ZN9rocsparseL44csr2gebsr_wavefront_per_row_multipass_kernelILi256ELi4ELi32ELi32E21rocsparse_complex_numIdEEEv20rocsparse_direction_iiiiii21rocsparse_index_base_PKT3_PKiS9_S4_PS5_PiSB_.kd
    .uniform_work_group_size: 1
    .uses_dynamic_stack: false
    .vgpr_count:     46
    .vgpr_spill_count: 0
    .wavefront_size: 64
  - .agpr_count:     0
    .args:
      - .offset:         0
        .size:           4
        .value_kind:     by_value
      - .offset:         4
        .size:           4
        .value_kind:     by_value
      - .offset:         8
        .size:           4
        .value_kind:     by_value
      - .offset:         12
        .size:           4
        .value_kind:     by_value
      - .offset:         16
        .size:           4
        .value_kind:     by_value
      - .offset:         20
        .size:           4
        .value_kind:     by_value
      - .offset:         24
        .size:           4
        .value_kind:     by_value
      - .offset:         28
        .size:           4
        .value_kind:     by_value
      - .actual_access:  read_only
        .address_space:  global
        .offset:         32
        .size:           8
        .value_kind:     global_buffer
      - .actual_access:  read_only
        .address_space:  global
        .offset:         40
        .size:           8
        .value_kind:     global_buffer
      - .actual_access:  read_only
        .address_space:  global
        .offset:         48
        .size:           8
        .value_kind:     global_buffer
      - .offset:         56
        .size:           4
        .value_kind:     by_value
      - .actual_access:  write_only
        .address_space:  global
        .offset:         64
        .size:           8
        .value_kind:     global_buffer
      - .actual_access:  read_only
        .address_space:  global
        .offset:         72
        .size:           8
        .value_kind:     global_buffer
      - .actual_access:  write_only
        .address_space:  global
        .offset:         80
        .size:           8
        .value_kind:     global_buffer
    .group_segment_fixed_size: 16392
    .kernarg_segment_align: 8
    .kernarg_segment_size: 88
    .language:       OpenCL C
    .language_version:
      - 2
      - 0
    .max_flat_workgroup_size: 256
    .name:           _ZN9rocsparseL44csr2gebsr_wavefront_per_row_multipass_kernelILi256ELi4ELi64ELi64E21rocsparse_complex_numIdEEEv20rocsparse_direction_iiiiii21rocsparse_index_base_PKT3_PKiS9_S4_PS5_PiSB_
    .private_segment_fixed_size: 0
    .sgpr_count:     46
    .sgpr_spill_count: 0
    .symbol:         _ZN9rocsparseL44csr2gebsr_wavefront_per_row_multipass_kernelILi256ELi4ELi64ELi64E21rocsparse_complex_numIdEEEv20rocsparse_direction_iiiiii21rocsparse_index_base_PKT3_PKiS9_S4_PS5_PiSB_.kd
    .uniform_work_group_size: 1
    .uses_dynamic_stack: false
    .vgpr_count:     46
    .vgpr_spill_count: 0
    .wavefront_size: 64
  - .agpr_count:     0
    .args:
      - .offset:         0
        .size:           4
        .value_kind:     by_value
      - .offset:         4
        .size:           4
        .value_kind:     by_value
      - .offset:         8
        .size:           4
        .value_kind:     by_value
      - .offset:         12
        .size:           4
        .value_kind:     by_value
      - .offset:         16
        .size:           4
        .value_kind:     by_value
      - .offset:         20
        .size:           4
        .value_kind:     by_value
      - .offset:         24
        .size:           4
        .value_kind:     by_value
      - .offset:         28
        .size:           4
        .value_kind:     by_value
      - .actual_access:  read_only
        .address_space:  global
        .offset:         32
        .size:           8
        .value_kind:     global_buffer
      - .actual_access:  read_only
        .address_space:  global
        .offset:         40
        .size:           8
        .value_kind:     global_buffer
      - .actual_access:  read_only
        .address_space:  global
        .offset:         48
        .size:           8
        .value_kind:     global_buffer
      - .offset:         56
        .size:           4
        .value_kind:     by_value
      - .actual_access:  write_only
        .address_space:  global
        .offset:         64
        .size:           8
        .value_kind:     global_buffer
      - .actual_access:  read_only
        .address_space:  global
        .offset:         72
        .size:           8
        .value_kind:     global_buffer
      - .actual_access:  write_only
        .address_space:  global
        .offset:         80
        .size:           8
        .value_kind:     global_buffer
    .group_segment_fixed_size: 32776
    .kernarg_segment_align: 8
    .kernarg_segment_size: 88
    .language:       OpenCL C
    .language_version:
      - 2
      - 0
    .max_flat_workgroup_size: 256
    .name:           _ZN9rocsparseL44csr2gebsr_wavefront_per_row_multipass_kernelILi256ELi4ELi64ELi32E21rocsparse_complex_numIdEEEv20rocsparse_direction_iiiiii21rocsparse_index_base_PKT3_PKiS9_S4_PS5_PiSB_
    .private_segment_fixed_size: 0
    .sgpr_count:     54
    .sgpr_spill_count: 0
    .symbol:         _ZN9rocsparseL44csr2gebsr_wavefront_per_row_multipass_kernelILi256ELi4ELi64ELi32E21rocsparse_complex_numIdEEEv20rocsparse_direction_iiiiii21rocsparse_index_base_PKT3_PKiS9_S4_PS5_PiSB_.kd
    .uniform_work_group_size: 1
    .uses_dynamic_stack: false
    .vgpr_count:     58
    .vgpr_spill_count: 0
    .wavefront_size: 64
  - .agpr_count:     0
    .args:
      - .offset:         0
        .size:           4
        .value_kind:     by_value
      - .offset:         4
        .size:           4
        .value_kind:     by_value
      - .offset:         8
        .size:           4
        .value_kind:     by_value
      - .offset:         12
        .size:           4
        .value_kind:     by_value
      - .offset:         16
        .size:           4
        .value_kind:     by_value
      - .offset:         20
        .size:           4
        .value_kind:     by_value
      - .offset:         24
        .size:           4
        .value_kind:     by_value
      - .offset:         28
        .size:           4
        .value_kind:     by_value
      - .actual_access:  read_only
        .address_space:  global
        .offset:         32
        .size:           8
        .value_kind:     global_buffer
      - .actual_access:  read_only
        .address_space:  global
        .offset:         40
        .size:           8
        .value_kind:     global_buffer
      - .actual_access:  read_only
        .address_space:  global
        .offset:         48
        .size:           8
        .value_kind:     global_buffer
      - .offset:         56
        .size:           4
        .value_kind:     by_value
      - .actual_access:  write_only
        .address_space:  global
        .offset:         64
        .size:           8
        .value_kind:     global_buffer
      - .actual_access:  read_only
        .address_space:  global
        .offset:         72
        .size:           8
        .value_kind:     global_buffer
      - .actual_access:  write_only
        .address_space:  global
        .offset:         80
        .size:           8
        .value_kind:     global_buffer
    .group_segment_fixed_size: 4112
    .kernarg_segment_align: 8
    .kernarg_segment_size: 88
    .language:       OpenCL C
    .language_version:
      - 2
      - 0
    .max_flat_workgroup_size: 256
    .name:           _ZN9rocsparseL44csr2gebsr_wavefront_per_row_multipass_kernelILi256ELi8ELi2ELi16E21rocsparse_complex_numIdEEEv20rocsparse_direction_iiiiii21rocsparse_index_base_PKT3_PKiS9_S4_PS5_PiSB_
    .private_segment_fixed_size: 0
    .sgpr_count:     32
    .sgpr_spill_count: 0
    .symbol:         _ZN9rocsparseL44csr2gebsr_wavefront_per_row_multipass_kernelILi256ELi8ELi2ELi16E21rocsparse_complex_numIdEEEv20rocsparse_direction_iiiiii21rocsparse_index_base_PKT3_PKiS9_S4_PS5_PiSB_.kd
    .uniform_work_group_size: 1
    .uses_dynamic_stack: false
    .vgpr_count:     32
    .vgpr_spill_count: 0
    .wavefront_size: 64
  - .agpr_count:     0
    .args:
      - .offset:         0
        .size:           4
        .value_kind:     by_value
      - .offset:         4
        .size:           4
        .value_kind:     by_value
      - .offset:         8
        .size:           4
        .value_kind:     by_value
      - .offset:         12
        .size:           4
        .value_kind:     by_value
      - .offset:         16
        .size:           4
        .value_kind:     by_value
      - .offset:         20
        .size:           4
        .value_kind:     by_value
      - .offset:         24
        .size:           4
        .value_kind:     by_value
      - .offset:         28
        .size:           4
        .value_kind:     by_value
      - .actual_access:  read_only
        .address_space:  global
        .offset:         32
        .size:           8
        .value_kind:     global_buffer
      - .actual_access:  read_only
        .address_space:  global
        .offset:         40
        .size:           8
        .value_kind:     global_buffer
      - .actual_access:  read_only
        .address_space:  global
        .offset:         48
        .size:           8
        .value_kind:     global_buffer
      - .offset:         56
        .size:           4
        .value_kind:     by_value
      - .actual_access:  write_only
        .address_space:  global
        .offset:         64
        .size:           8
        .value_kind:     global_buffer
      - .actual_access:  read_only
        .address_space:  global
        .offset:         72
        .size:           8
        .value_kind:     global_buffer
      - .actual_access:  write_only
        .address_space:  global
        .offset:         80
        .size:           8
        .value_kind:     global_buffer
    .group_segment_fixed_size: 4104
    .kernarg_segment_align: 8
    .kernarg_segment_size: 88
    .language:       OpenCL C
    .language_version:
      - 2
      - 0
    .max_flat_workgroup_size: 256
    .name:           _ZN9rocsparseL44csr2gebsr_wavefront_per_row_multipass_kernelILi256ELi8ELi4ELi32E21rocsparse_complex_numIdEEEv20rocsparse_direction_iiiiii21rocsparse_index_base_PKT3_PKiS9_S4_PS5_PiSB_
    .private_segment_fixed_size: 0
    .sgpr_count:     32
    .sgpr_spill_count: 0
    .symbol:         _ZN9rocsparseL44csr2gebsr_wavefront_per_row_multipass_kernelILi256ELi8ELi4ELi32E21rocsparse_complex_numIdEEEv20rocsparse_direction_iiiiii21rocsparse_index_base_PKT3_PKiS9_S4_PS5_PiSB_.kd
    .uniform_work_group_size: 1
    .uses_dynamic_stack: false
    .vgpr_count:     32
    .vgpr_spill_count: 0
    .wavefront_size: 64
  - .agpr_count:     0
    .args:
      - .offset:         0
        .size:           4
        .value_kind:     by_value
      - .offset:         4
        .size:           4
        .value_kind:     by_value
      - .offset:         8
        .size:           4
        .value_kind:     by_value
      - .offset:         12
        .size:           4
        .value_kind:     by_value
      - .offset:         16
        .size:           4
        .value_kind:     by_value
      - .offset:         20
        .size:           4
        .value_kind:     by_value
      - .offset:         24
        .size:           4
        .value_kind:     by_value
      - .offset:         28
        .size:           4
        .value_kind:     by_value
      - .actual_access:  read_only
        .address_space:  global
        .offset:         32
        .size:           8
        .value_kind:     global_buffer
      - .actual_access:  read_only
        .address_space:  global
        .offset:         40
        .size:           8
        .value_kind:     global_buffer
      - .actual_access:  read_only
        .address_space:  global
        .offset:         48
        .size:           8
        .value_kind:     global_buffer
      - .offset:         56
        .size:           4
        .value_kind:     by_value
      - .actual_access:  write_only
        .address_space:  global
        .offset:         64
        .size:           8
        .value_kind:     global_buffer
      - .actual_access:  read_only
        .address_space:  global
        .offset:         72
        .size:           8
        .value_kind:     global_buffer
      - .actual_access:  write_only
        .address_space:  global
        .offset:         80
        .size:           8
        .value_kind:     global_buffer
    .group_segment_fixed_size: 4104
    .kernarg_segment_align: 8
    .kernarg_segment_size: 88
    .language:       OpenCL C
    .language_version:
      - 2
      - 0
    .max_flat_workgroup_size: 256
    .name:           _ZN9rocsparseL44csr2gebsr_wavefront_per_row_multipass_kernelILi256ELi8ELi8ELi64E21rocsparse_complex_numIdEEEv20rocsparse_direction_iiiiii21rocsparse_index_base_PKT3_PKiS9_S4_PS5_PiSB_
    .private_segment_fixed_size: 0
    .sgpr_count:     34
    .sgpr_spill_count: 0
    .symbol:         _ZN9rocsparseL44csr2gebsr_wavefront_per_row_multipass_kernelILi256ELi8ELi8ELi64E21rocsparse_complex_numIdEEEv20rocsparse_direction_iiiiii21rocsparse_index_base_PKT3_PKiS9_S4_PS5_PiSB_.kd
    .uniform_work_group_size: 1
    .uses_dynamic_stack: false
    .vgpr_count:     32
    .vgpr_spill_count: 0
    .wavefront_size: 64
  - .agpr_count:     0
    .args:
      - .offset:         0
        .size:           4
        .value_kind:     by_value
      - .offset:         4
        .size:           4
        .value_kind:     by_value
      - .offset:         8
        .size:           4
        .value_kind:     by_value
      - .offset:         12
        .size:           4
        .value_kind:     by_value
      - .offset:         16
        .size:           4
        .value_kind:     by_value
      - .offset:         20
        .size:           4
        .value_kind:     by_value
      - .offset:         24
        .size:           4
        .value_kind:     by_value
      - .offset:         28
        .size:           4
        .value_kind:     by_value
      - .actual_access:  read_only
        .address_space:  global
        .offset:         32
        .size:           8
        .value_kind:     global_buffer
      - .actual_access:  read_only
        .address_space:  global
        .offset:         40
        .size:           8
        .value_kind:     global_buffer
      - .actual_access:  read_only
        .address_space:  global
        .offset:         48
        .size:           8
        .value_kind:     global_buffer
      - .offset:         56
        .size:           4
        .value_kind:     by_value
      - .actual_access:  write_only
        .address_space:  global
        .offset:         64
        .size:           8
        .value_kind:     global_buffer
      - .actual_access:  read_only
        .address_space:  global
        .offset:         72
        .size:           8
        .value_kind:     global_buffer
      - .actual_access:  write_only
        .address_space:  global
        .offset:         80
        .size:           8
        .value_kind:     global_buffer
    .group_segment_fixed_size: 8200
    .kernarg_segment_align: 8
    .kernarg_segment_size: 88
    .language:       OpenCL C
    .language_version:
      - 2
      - 0
    .max_flat_workgroup_size: 256
    .name:           _ZN9rocsparseL44csr2gebsr_wavefront_per_row_multipass_kernelILi256ELi8ELi8ELi32E21rocsparse_complex_numIdEEEv20rocsparse_direction_iiiiii21rocsparse_index_base_PKT3_PKiS9_S4_PS5_PiSB_
    .private_segment_fixed_size: 0
    .sgpr_count:     38
    .sgpr_spill_count: 0
    .symbol:         _ZN9rocsparseL44csr2gebsr_wavefront_per_row_multipass_kernelILi256ELi8ELi8ELi32E21rocsparse_complex_numIdEEEv20rocsparse_direction_iiiiii21rocsparse_index_base_PKT3_PKiS9_S4_PS5_PiSB_.kd
    .uniform_work_group_size: 1
    .uses_dynamic_stack: false
    .vgpr_count:     40
    .vgpr_spill_count: 0
    .wavefront_size: 64
  - .agpr_count:     0
    .args:
      - .offset:         0
        .size:           4
        .value_kind:     by_value
      - .offset:         4
        .size:           4
        .value_kind:     by_value
      - .offset:         8
        .size:           4
        .value_kind:     by_value
      - .offset:         12
        .size:           4
        .value_kind:     by_value
      - .offset:         16
        .size:           4
        .value_kind:     by_value
      - .offset:         20
        .size:           4
        .value_kind:     by_value
      - .offset:         24
        .size:           4
        .value_kind:     by_value
      - .offset:         28
        .size:           4
        .value_kind:     by_value
      - .actual_access:  read_only
        .address_space:  global
        .offset:         32
        .size:           8
        .value_kind:     global_buffer
      - .actual_access:  read_only
        .address_space:  global
        .offset:         40
        .size:           8
        .value_kind:     global_buffer
      - .actual_access:  read_only
        .address_space:  global
        .offset:         48
        .size:           8
        .value_kind:     global_buffer
      - .offset:         56
        .size:           4
        .value_kind:     by_value
      - .actual_access:  write_only
        .address_space:  global
        .offset:         64
        .size:           8
        .value_kind:     global_buffer
      - .actual_access:  read_only
        .address_space:  global
        .offset:         72
        .size:           8
        .value_kind:     global_buffer
      - .actual_access:  write_only
        .address_space:  global
        .offset:         80
        .size:           8
        .value_kind:     global_buffer
    .group_segment_fixed_size: 8200
    .kernarg_segment_align: 8
    .kernarg_segment_size: 88
    .language:       OpenCL C
    .language_version:
      - 2
      - 0
    .max_flat_workgroup_size: 256
    .name:           _ZN9rocsparseL44csr2gebsr_wavefront_per_row_multipass_kernelILi256ELi8ELi16ELi64E21rocsparse_complex_numIdEEEv20rocsparse_direction_iiiiii21rocsparse_index_base_PKT3_PKiS9_S4_PS5_PiSB_
    .private_segment_fixed_size: 0
    .sgpr_count:     42
    .sgpr_spill_count: 0
    .symbol:         _ZN9rocsparseL44csr2gebsr_wavefront_per_row_multipass_kernelILi256ELi8ELi16ELi64E21rocsparse_complex_numIdEEEv20rocsparse_direction_iiiiii21rocsparse_index_base_PKT3_PKiS9_S4_PS5_PiSB_.kd
    .uniform_work_group_size: 1
    .uses_dynamic_stack: false
    .vgpr_count:     40
    .vgpr_spill_count: 0
    .wavefront_size: 64
  - .agpr_count:     0
    .args:
      - .offset:         0
        .size:           4
        .value_kind:     by_value
      - .offset:         4
        .size:           4
        .value_kind:     by_value
      - .offset:         8
        .size:           4
        .value_kind:     by_value
      - .offset:         12
        .size:           4
        .value_kind:     by_value
      - .offset:         16
        .size:           4
        .value_kind:     by_value
      - .offset:         20
        .size:           4
        .value_kind:     by_value
      - .offset:         24
        .size:           4
        .value_kind:     by_value
      - .offset:         28
        .size:           4
        .value_kind:     by_value
      - .actual_access:  read_only
        .address_space:  global
        .offset:         32
        .size:           8
        .value_kind:     global_buffer
      - .actual_access:  read_only
        .address_space:  global
        .offset:         40
        .size:           8
        .value_kind:     global_buffer
      - .actual_access:  read_only
        .address_space:  global
        .offset:         48
        .size:           8
        .value_kind:     global_buffer
      - .offset:         56
        .size:           4
        .value_kind:     by_value
      - .actual_access:  write_only
        .address_space:  global
        .offset:         64
        .size:           8
        .value_kind:     global_buffer
      - .actual_access:  read_only
        .address_space:  global
        .offset:         72
        .size:           8
        .value_kind:     global_buffer
      - .actual_access:  write_only
        .address_space:  global
        .offset:         80
        .size:           8
        .value_kind:     global_buffer
    .group_segment_fixed_size: 16392
    .kernarg_segment_align: 8
    .kernarg_segment_size: 88
    .language:       OpenCL C
    .language_version:
      - 2
      - 0
    .max_flat_workgroup_size: 256
    .name:           _ZN9rocsparseL44csr2gebsr_wavefront_per_row_multipass_kernelILi256ELi8ELi16ELi32E21rocsparse_complex_numIdEEEv20rocsparse_direction_iiiiii21rocsparse_index_base_PKT3_PKiS9_S4_PS5_PiSB_
    .private_segment_fixed_size: 0
    .sgpr_count:     44
    .sgpr_spill_count: 0
    .symbol:         _ZN9rocsparseL44csr2gebsr_wavefront_per_row_multipass_kernelILi256ELi8ELi16ELi32E21rocsparse_complex_numIdEEEv20rocsparse_direction_iiiiii21rocsparse_index_base_PKT3_PKiS9_S4_PS5_PiSB_.kd
    .uniform_work_group_size: 1
    .uses_dynamic_stack: false
    .vgpr_count:     46
    .vgpr_spill_count: 0
    .wavefront_size: 64
  - .agpr_count:     0
    .args:
      - .offset:         0
        .size:           4
        .value_kind:     by_value
      - .offset:         4
        .size:           4
        .value_kind:     by_value
      - .offset:         8
        .size:           4
        .value_kind:     by_value
      - .offset:         12
        .size:           4
        .value_kind:     by_value
      - .offset:         16
        .size:           4
        .value_kind:     by_value
      - .offset:         20
        .size:           4
        .value_kind:     by_value
      - .offset:         24
        .size:           4
        .value_kind:     by_value
      - .offset:         28
        .size:           4
        .value_kind:     by_value
      - .actual_access:  read_only
        .address_space:  global
        .offset:         32
        .size:           8
        .value_kind:     global_buffer
      - .actual_access:  read_only
        .address_space:  global
        .offset:         40
        .size:           8
        .value_kind:     global_buffer
      - .actual_access:  read_only
        .address_space:  global
        .offset:         48
        .size:           8
        .value_kind:     global_buffer
      - .offset:         56
        .size:           4
        .value_kind:     by_value
      - .actual_access:  write_only
        .address_space:  global
        .offset:         64
        .size:           8
        .value_kind:     global_buffer
      - .actual_access:  read_only
        .address_space:  global
        .offset:         72
        .size:           8
        .value_kind:     global_buffer
      - .actual_access:  write_only
        .address_space:  global
        .offset:         80
        .size:           8
        .value_kind:     global_buffer
    .group_segment_fixed_size: 16392
    .kernarg_segment_align: 8
    .kernarg_segment_size: 88
    .language:       OpenCL C
    .language_version:
      - 2
      - 0
    .max_flat_workgroup_size: 256
    .name:           _ZN9rocsparseL44csr2gebsr_wavefront_per_row_multipass_kernelILi256ELi8ELi32ELi64E21rocsparse_complex_numIdEEEv20rocsparse_direction_iiiiii21rocsparse_index_base_PKT3_PKiS9_S4_PS5_PiSB_
    .private_segment_fixed_size: 0
    .sgpr_count:     46
    .sgpr_spill_count: 0
    .symbol:         _ZN9rocsparseL44csr2gebsr_wavefront_per_row_multipass_kernelILi256ELi8ELi32ELi64E21rocsparse_complex_numIdEEEv20rocsparse_direction_iiiiii21rocsparse_index_base_PKT3_PKiS9_S4_PS5_PiSB_.kd
    .uniform_work_group_size: 1
    .uses_dynamic_stack: false
    .vgpr_count:     46
    .vgpr_spill_count: 0
    .wavefront_size: 64
  - .agpr_count:     0
    .args:
      - .offset:         0
        .size:           4
        .value_kind:     by_value
      - .offset:         4
        .size:           4
        .value_kind:     by_value
      - .offset:         8
        .size:           4
        .value_kind:     by_value
      - .offset:         12
        .size:           4
        .value_kind:     by_value
      - .offset:         16
        .size:           4
        .value_kind:     by_value
      - .offset:         20
        .size:           4
        .value_kind:     by_value
      - .offset:         24
        .size:           4
        .value_kind:     by_value
      - .offset:         28
        .size:           4
        .value_kind:     by_value
      - .actual_access:  read_only
        .address_space:  global
        .offset:         32
        .size:           8
        .value_kind:     global_buffer
      - .actual_access:  read_only
        .address_space:  global
        .offset:         40
        .size:           8
        .value_kind:     global_buffer
      - .actual_access:  read_only
        .address_space:  global
        .offset:         48
        .size:           8
        .value_kind:     global_buffer
      - .offset:         56
        .size:           4
        .value_kind:     by_value
      - .actual_access:  write_only
        .address_space:  global
        .offset:         64
        .size:           8
        .value_kind:     global_buffer
      - .actual_access:  read_only
        .address_space:  global
        .offset:         72
        .size:           8
        .value_kind:     global_buffer
      - .actual_access:  write_only
        .address_space:  global
        .offset:         80
        .size:           8
        .value_kind:     global_buffer
    .group_segment_fixed_size: 32776
    .kernarg_segment_align: 8
    .kernarg_segment_size: 88
    .language:       OpenCL C
    .language_version:
      - 2
      - 0
    .max_flat_workgroup_size: 256
    .name:           _ZN9rocsparseL44csr2gebsr_wavefront_per_row_multipass_kernelILi256ELi8ELi32ELi32E21rocsparse_complex_numIdEEEv20rocsparse_direction_iiiiii21rocsparse_index_base_PKT3_PKiS9_S4_PS5_PiSB_
    .private_segment_fixed_size: 0
    .sgpr_count:     52
    .sgpr_spill_count: 0
    .symbol:         _ZN9rocsparseL44csr2gebsr_wavefront_per_row_multipass_kernelILi256ELi8ELi32ELi32E21rocsparse_complex_numIdEEEv20rocsparse_direction_iiiiii21rocsparse_index_base_PKT3_PKiS9_S4_PS5_PiSB_.kd
    .uniform_work_group_size: 1
    .uses_dynamic_stack: false
    .vgpr_count:     58
    .vgpr_spill_count: 0
    .wavefront_size: 64
  - .agpr_count:     0
    .args:
      - .offset:         0
        .size:           4
        .value_kind:     by_value
      - .offset:         4
        .size:           4
        .value_kind:     by_value
      - .offset:         8
        .size:           4
        .value_kind:     by_value
      - .offset:         12
        .size:           4
        .value_kind:     by_value
      - .offset:         16
        .size:           4
        .value_kind:     by_value
      - .offset:         20
        .size:           4
        .value_kind:     by_value
      - .offset:         24
        .size:           4
        .value_kind:     by_value
      - .offset:         28
        .size:           4
        .value_kind:     by_value
      - .actual_access:  read_only
        .address_space:  global
        .offset:         32
        .size:           8
        .value_kind:     global_buffer
      - .actual_access:  read_only
        .address_space:  global
        .offset:         40
        .size:           8
        .value_kind:     global_buffer
      - .actual_access:  read_only
        .address_space:  global
        .offset:         48
        .size:           8
        .value_kind:     global_buffer
      - .offset:         56
        .size:           4
        .value_kind:     by_value
      - .actual_access:  write_only
        .address_space:  global
        .offset:         64
        .size:           8
        .value_kind:     global_buffer
      - .actual_access:  read_only
        .address_space:  global
        .offset:         72
        .size:           8
        .value_kind:     global_buffer
      - .actual_access:  write_only
        .address_space:  global
        .offset:         80
        .size:           8
        .value_kind:     global_buffer
    .group_segment_fixed_size: 32776
    .kernarg_segment_align: 8
    .kernarg_segment_size: 88
    .language:       OpenCL C
    .language_version:
      - 2
      - 0
    .max_flat_workgroup_size: 256
    .name:           _ZN9rocsparseL44csr2gebsr_wavefront_per_row_multipass_kernelILi256ELi8ELi64ELi64E21rocsparse_complex_numIdEEEv20rocsparse_direction_iiiiii21rocsparse_index_base_PKT3_PKiS9_S4_PS5_PiSB_
    .private_segment_fixed_size: 0
    .sgpr_count:     54
    .sgpr_spill_count: 0
    .symbol:         _ZN9rocsparseL44csr2gebsr_wavefront_per_row_multipass_kernelILi256ELi8ELi64ELi64E21rocsparse_complex_numIdEEEv20rocsparse_direction_iiiiii21rocsparse_index_base_PKT3_PKiS9_S4_PS5_PiSB_.kd
    .uniform_work_group_size: 1
    .uses_dynamic_stack: false
    .vgpr_count:     58
    .vgpr_spill_count: 0
    .wavefront_size: 64
  - .agpr_count:     0
    .args:
      - .offset:         0
        .size:           4
        .value_kind:     by_value
      - .offset:         4
        .size:           4
        .value_kind:     by_value
      - .offset:         8
        .size:           4
        .value_kind:     by_value
      - .offset:         12
        .size:           4
        .value_kind:     by_value
      - .offset:         16
        .size:           4
        .value_kind:     by_value
      - .offset:         20
        .size:           4
        .value_kind:     by_value
      - .offset:         24
        .size:           4
        .value_kind:     by_value
      - .offset:         28
        .size:           4
        .value_kind:     by_value
      - .actual_access:  read_only
        .address_space:  global
        .offset:         32
        .size:           8
        .value_kind:     global_buffer
      - .actual_access:  read_only
        .address_space:  global
        .offset:         40
        .size:           8
        .value_kind:     global_buffer
      - .actual_access:  read_only
        .address_space:  global
        .offset:         48
        .size:           8
        .value_kind:     global_buffer
      - .offset:         56
        .size:           4
        .value_kind:     by_value
      - .actual_access:  write_only
        .address_space:  global
        .offset:         64
        .size:           8
        .value_kind:     global_buffer
      - .actual_access:  read_only
        .address_space:  global
        .offset:         72
        .size:           8
        .value_kind:     global_buffer
      - .actual_access:  write_only
        .address_space:  global
        .offset:         80
        .size:           8
        .value_kind:     global_buffer
    .group_segment_fixed_size: 32776
    .kernarg_segment_align: 8
    .kernarg_segment_size: 88
    .language:       OpenCL C
    .language_version:
      - 2
      - 0
    .max_flat_workgroup_size: 128
    .name:           _ZN9rocsparseL44csr2gebsr_wavefront_per_row_multipass_kernelILi128ELi8ELi64ELi32E21rocsparse_complex_numIdEEEv20rocsparse_direction_iiiiii21rocsparse_index_base_PKT3_PKiS9_S4_PS5_PiSB_
    .private_segment_fixed_size: 0
    .sgpr_count:     68
    .sgpr_spill_count: 0
    .symbol:         _ZN9rocsparseL44csr2gebsr_wavefront_per_row_multipass_kernelILi128ELi8ELi64ELi32E21rocsparse_complex_numIdEEEv20rocsparse_direction_iiiiii21rocsparse_index_base_PKT3_PKiS9_S4_PS5_PiSB_.kd
    .uniform_work_group_size: 1
    .uses_dynamic_stack: false
    .vgpr_count:     82
    .vgpr_spill_count: 0
    .wavefront_size: 64
  - .agpr_count:     0
    .args:
      - .offset:         0
        .size:           4
        .value_kind:     by_value
      - .offset:         4
        .size:           4
        .value_kind:     by_value
      - .offset:         8
        .size:           4
        .value_kind:     by_value
      - .offset:         12
        .size:           4
        .value_kind:     by_value
      - .offset:         16
        .size:           4
        .value_kind:     by_value
      - .offset:         20
        .size:           4
        .value_kind:     by_value
      - .offset:         24
        .size:           4
        .value_kind:     by_value
      - .offset:         28
        .size:           4
        .value_kind:     by_value
      - .actual_access:  read_only
        .address_space:  global
        .offset:         32
        .size:           8
        .value_kind:     global_buffer
      - .actual_access:  read_only
        .address_space:  global
        .offset:         40
        .size:           8
        .value_kind:     global_buffer
      - .actual_access:  read_only
        .address_space:  global
        .offset:         48
        .size:           8
        .value_kind:     global_buffer
      - .offset:         56
        .size:           4
        .value_kind:     by_value
      - .actual_access:  write_only
        .address_space:  global
        .offset:         64
        .size:           8
        .value_kind:     global_buffer
      - .actual_access:  read_only
        .address_space:  global
        .offset:         72
        .size:           8
        .value_kind:     global_buffer
      - .actual_access:  write_only
        .address_space:  global
        .offset:         80
        .size:           8
        .value_kind:     global_buffer
    .group_segment_fixed_size: 4104
    .kernarg_segment_align: 8
    .kernarg_segment_size: 88
    .language:       OpenCL C
    .language_version:
      - 2
      - 0
    .max_flat_workgroup_size: 256
    .name:           _ZN9rocsparseL44csr2gebsr_wavefront_per_row_multipass_kernelILi256ELi16ELi2ELi32E21rocsparse_complex_numIdEEEv20rocsparse_direction_iiiiii21rocsparse_index_base_PKT3_PKiS9_S4_PS5_PiSB_
    .private_segment_fixed_size: 0
    .sgpr_count:     32
    .sgpr_spill_count: 0
    .symbol:         _ZN9rocsparseL44csr2gebsr_wavefront_per_row_multipass_kernelILi256ELi16ELi2ELi32E21rocsparse_complex_numIdEEEv20rocsparse_direction_iiiiii21rocsparse_index_base_PKT3_PKiS9_S4_PS5_PiSB_.kd
    .uniform_work_group_size: 1
    .uses_dynamic_stack: false
    .vgpr_count:     32
    .vgpr_spill_count: 0
    .wavefront_size: 64
  - .agpr_count:     0
    .args:
      - .offset:         0
        .size:           4
        .value_kind:     by_value
      - .offset:         4
        .size:           4
        .value_kind:     by_value
      - .offset:         8
        .size:           4
        .value_kind:     by_value
      - .offset:         12
        .size:           4
        .value_kind:     by_value
      - .offset:         16
        .size:           4
        .value_kind:     by_value
      - .offset:         20
        .size:           4
        .value_kind:     by_value
      - .offset:         24
        .size:           4
        .value_kind:     by_value
      - .offset:         28
        .size:           4
        .value_kind:     by_value
      - .actual_access:  read_only
        .address_space:  global
        .offset:         32
        .size:           8
        .value_kind:     global_buffer
      - .actual_access:  read_only
        .address_space:  global
        .offset:         40
        .size:           8
        .value_kind:     global_buffer
      - .actual_access:  read_only
        .address_space:  global
        .offset:         48
        .size:           8
        .value_kind:     global_buffer
      - .offset:         56
        .size:           4
        .value_kind:     by_value
      - .actual_access:  write_only
        .address_space:  global
        .offset:         64
        .size:           8
        .value_kind:     global_buffer
      - .actual_access:  read_only
        .address_space:  global
        .offset:         72
        .size:           8
        .value_kind:     global_buffer
      - .actual_access:  write_only
        .address_space:  global
        .offset:         80
        .size:           8
        .value_kind:     global_buffer
    .group_segment_fixed_size: 4104
    .kernarg_segment_align: 8
    .kernarg_segment_size: 88
    .language:       OpenCL C
    .language_version:
      - 2
      - 0
    .max_flat_workgroup_size: 256
    .name:           _ZN9rocsparseL44csr2gebsr_wavefront_per_row_multipass_kernelILi256ELi16ELi4ELi64E21rocsparse_complex_numIdEEEv20rocsparse_direction_iiiiii21rocsparse_index_base_PKT3_PKiS9_S4_PS5_PiSB_
    .private_segment_fixed_size: 0
    .sgpr_count:     32
    .sgpr_spill_count: 0
    .symbol:         _ZN9rocsparseL44csr2gebsr_wavefront_per_row_multipass_kernelILi256ELi16ELi4ELi64E21rocsparse_complex_numIdEEEv20rocsparse_direction_iiiiii21rocsparse_index_base_PKT3_PKiS9_S4_PS5_PiSB_.kd
    .uniform_work_group_size: 1
    .uses_dynamic_stack: false
    .vgpr_count:     32
    .vgpr_spill_count: 0
    .wavefront_size: 64
  - .agpr_count:     0
    .args:
      - .offset:         0
        .size:           4
        .value_kind:     by_value
      - .offset:         4
        .size:           4
        .value_kind:     by_value
      - .offset:         8
        .size:           4
        .value_kind:     by_value
      - .offset:         12
        .size:           4
        .value_kind:     by_value
      - .offset:         16
        .size:           4
        .value_kind:     by_value
      - .offset:         20
        .size:           4
        .value_kind:     by_value
      - .offset:         24
        .size:           4
        .value_kind:     by_value
      - .offset:         28
        .size:           4
        .value_kind:     by_value
      - .actual_access:  read_only
        .address_space:  global
        .offset:         32
        .size:           8
        .value_kind:     global_buffer
      - .actual_access:  read_only
        .address_space:  global
        .offset:         40
        .size:           8
        .value_kind:     global_buffer
      - .actual_access:  read_only
        .address_space:  global
        .offset:         48
        .size:           8
        .value_kind:     global_buffer
      - .offset:         56
        .size:           4
        .value_kind:     by_value
      - .actual_access:  write_only
        .address_space:  global
        .offset:         64
        .size:           8
        .value_kind:     global_buffer
      - .actual_access:  read_only
        .address_space:  global
        .offset:         72
        .size:           8
        .value_kind:     global_buffer
      - .actual_access:  write_only
        .address_space:  global
        .offset:         80
        .size:           8
        .value_kind:     global_buffer
    .group_segment_fixed_size: 8200
    .kernarg_segment_align: 8
    .kernarg_segment_size: 88
    .language:       OpenCL C
    .language_version:
      - 2
      - 0
    .max_flat_workgroup_size: 256
    .name:           _ZN9rocsparseL44csr2gebsr_wavefront_per_row_multipass_kernelILi256ELi16ELi4ELi32E21rocsparse_complex_numIdEEEv20rocsparse_direction_iiiiii21rocsparse_index_base_PKT3_PKiS9_S4_PS5_PiSB_
    .private_segment_fixed_size: 0
    .sgpr_count:     38
    .sgpr_spill_count: 0
    .symbol:         _ZN9rocsparseL44csr2gebsr_wavefront_per_row_multipass_kernelILi256ELi16ELi4ELi32E21rocsparse_complex_numIdEEEv20rocsparse_direction_iiiiii21rocsparse_index_base_PKT3_PKiS9_S4_PS5_PiSB_.kd
    .uniform_work_group_size: 1
    .uses_dynamic_stack: false
    .vgpr_count:     40
    .vgpr_spill_count: 0
    .wavefront_size: 64
  - .agpr_count:     0
    .args:
      - .offset:         0
        .size:           4
        .value_kind:     by_value
      - .offset:         4
        .size:           4
        .value_kind:     by_value
      - .offset:         8
        .size:           4
        .value_kind:     by_value
      - .offset:         12
        .size:           4
        .value_kind:     by_value
      - .offset:         16
        .size:           4
        .value_kind:     by_value
      - .offset:         20
        .size:           4
        .value_kind:     by_value
      - .offset:         24
        .size:           4
        .value_kind:     by_value
      - .offset:         28
        .size:           4
        .value_kind:     by_value
      - .actual_access:  read_only
        .address_space:  global
        .offset:         32
        .size:           8
        .value_kind:     global_buffer
      - .actual_access:  read_only
        .address_space:  global
        .offset:         40
        .size:           8
        .value_kind:     global_buffer
      - .actual_access:  read_only
        .address_space:  global
        .offset:         48
        .size:           8
        .value_kind:     global_buffer
      - .offset:         56
        .size:           4
        .value_kind:     by_value
      - .actual_access:  write_only
        .address_space:  global
        .offset:         64
        .size:           8
        .value_kind:     global_buffer
      - .actual_access:  read_only
        .address_space:  global
        .offset:         72
        .size:           8
        .value_kind:     global_buffer
      - .actual_access:  write_only
        .address_space:  global
        .offset:         80
        .size:           8
        .value_kind:     global_buffer
    .group_segment_fixed_size: 8200
    .kernarg_segment_align: 8
    .kernarg_segment_size: 88
    .language:       OpenCL C
    .language_version:
      - 2
      - 0
    .max_flat_workgroup_size: 256
    .name:           _ZN9rocsparseL44csr2gebsr_wavefront_per_row_multipass_kernelILi256ELi16ELi8ELi64E21rocsparse_complex_numIdEEEv20rocsparse_direction_iiiiii21rocsparse_index_base_PKT3_PKiS9_S4_PS5_PiSB_
    .private_segment_fixed_size: 0
    .sgpr_count:     38
    .sgpr_spill_count: 0
    .symbol:         _ZN9rocsparseL44csr2gebsr_wavefront_per_row_multipass_kernelILi256ELi16ELi8ELi64E21rocsparse_complex_numIdEEEv20rocsparse_direction_iiiiii21rocsparse_index_base_PKT3_PKiS9_S4_PS5_PiSB_.kd
    .uniform_work_group_size: 1
    .uses_dynamic_stack: false
    .vgpr_count:     40
    .vgpr_spill_count: 0
    .wavefront_size: 64
  - .agpr_count:     0
    .args:
      - .offset:         0
        .size:           4
        .value_kind:     by_value
      - .offset:         4
        .size:           4
        .value_kind:     by_value
      - .offset:         8
        .size:           4
        .value_kind:     by_value
      - .offset:         12
        .size:           4
        .value_kind:     by_value
      - .offset:         16
        .size:           4
        .value_kind:     by_value
      - .offset:         20
        .size:           4
        .value_kind:     by_value
      - .offset:         24
        .size:           4
        .value_kind:     by_value
      - .offset:         28
        .size:           4
        .value_kind:     by_value
      - .actual_access:  read_only
        .address_space:  global
        .offset:         32
        .size:           8
        .value_kind:     global_buffer
      - .actual_access:  read_only
        .address_space:  global
        .offset:         40
        .size:           8
        .value_kind:     global_buffer
      - .actual_access:  read_only
        .address_space:  global
        .offset:         48
        .size:           8
        .value_kind:     global_buffer
      - .offset:         56
        .size:           4
        .value_kind:     by_value
      - .actual_access:  write_only
        .address_space:  global
        .offset:         64
        .size:           8
        .value_kind:     global_buffer
      - .actual_access:  read_only
        .address_space:  global
        .offset:         72
        .size:           8
        .value_kind:     global_buffer
      - .actual_access:  write_only
        .address_space:  global
        .offset:         80
        .size:           8
        .value_kind:     global_buffer
    .group_segment_fixed_size: 16392
    .kernarg_segment_align: 8
    .kernarg_segment_size: 88
    .language:       OpenCL C
    .language_version:
      - 2
      - 0
    .max_flat_workgroup_size: 256
    .name:           _ZN9rocsparseL44csr2gebsr_wavefront_per_row_multipass_kernelILi256ELi16ELi8ELi32E21rocsparse_complex_numIdEEEv20rocsparse_direction_iiiiii21rocsparse_index_base_PKT3_PKiS9_S4_PS5_PiSB_
    .private_segment_fixed_size: 0
    .sgpr_count:     44
    .sgpr_spill_count: 0
    .symbol:         _ZN9rocsparseL44csr2gebsr_wavefront_per_row_multipass_kernelILi256ELi16ELi8ELi32E21rocsparse_complex_numIdEEEv20rocsparse_direction_iiiiii21rocsparse_index_base_PKT3_PKiS9_S4_PS5_PiSB_.kd
    .uniform_work_group_size: 1
    .uses_dynamic_stack: false
    .vgpr_count:     46
    .vgpr_spill_count: 0
    .wavefront_size: 64
  - .agpr_count:     0
    .args:
      - .offset:         0
        .size:           4
        .value_kind:     by_value
      - .offset:         4
        .size:           4
        .value_kind:     by_value
      - .offset:         8
        .size:           4
        .value_kind:     by_value
      - .offset:         12
        .size:           4
        .value_kind:     by_value
      - .offset:         16
        .size:           4
        .value_kind:     by_value
      - .offset:         20
        .size:           4
        .value_kind:     by_value
      - .offset:         24
        .size:           4
        .value_kind:     by_value
      - .offset:         28
        .size:           4
        .value_kind:     by_value
      - .actual_access:  read_only
        .address_space:  global
        .offset:         32
        .size:           8
        .value_kind:     global_buffer
      - .actual_access:  read_only
        .address_space:  global
        .offset:         40
        .size:           8
        .value_kind:     global_buffer
      - .actual_access:  read_only
        .address_space:  global
        .offset:         48
        .size:           8
        .value_kind:     global_buffer
      - .offset:         56
        .size:           4
        .value_kind:     by_value
      - .actual_access:  write_only
        .address_space:  global
        .offset:         64
        .size:           8
        .value_kind:     global_buffer
      - .actual_access:  read_only
        .address_space:  global
        .offset:         72
        .size:           8
        .value_kind:     global_buffer
      - .actual_access:  write_only
        .address_space:  global
        .offset:         80
        .size:           8
        .value_kind:     global_buffer
    .group_segment_fixed_size: 16392
    .kernarg_segment_align: 8
    .kernarg_segment_size: 88
    .language:       OpenCL C
    .language_version:
      - 2
      - 0
    .max_flat_workgroup_size: 256
    .name:           _ZN9rocsparseL44csr2gebsr_wavefront_per_row_multipass_kernelILi256ELi16ELi16ELi64E21rocsparse_complex_numIdEEEv20rocsparse_direction_iiiiii21rocsparse_index_base_PKT3_PKiS9_S4_PS5_PiSB_
    .private_segment_fixed_size: 0
    .sgpr_count:     44
    .sgpr_spill_count: 0
    .symbol:         _ZN9rocsparseL44csr2gebsr_wavefront_per_row_multipass_kernelILi256ELi16ELi16ELi64E21rocsparse_complex_numIdEEEv20rocsparse_direction_iiiiii21rocsparse_index_base_PKT3_PKiS9_S4_PS5_PiSB_.kd
    .uniform_work_group_size: 1
    .uses_dynamic_stack: false
    .vgpr_count:     46
    .vgpr_spill_count: 0
    .wavefront_size: 64
  - .agpr_count:     0
    .args:
      - .offset:         0
        .size:           4
        .value_kind:     by_value
      - .offset:         4
        .size:           4
        .value_kind:     by_value
      - .offset:         8
        .size:           4
        .value_kind:     by_value
      - .offset:         12
        .size:           4
        .value_kind:     by_value
      - .offset:         16
        .size:           4
        .value_kind:     by_value
      - .offset:         20
        .size:           4
        .value_kind:     by_value
      - .offset:         24
        .size:           4
        .value_kind:     by_value
      - .offset:         28
        .size:           4
        .value_kind:     by_value
      - .actual_access:  read_only
        .address_space:  global
        .offset:         32
        .size:           8
        .value_kind:     global_buffer
      - .actual_access:  read_only
        .address_space:  global
        .offset:         40
        .size:           8
        .value_kind:     global_buffer
      - .actual_access:  read_only
        .address_space:  global
        .offset:         48
        .size:           8
        .value_kind:     global_buffer
      - .offset:         56
        .size:           4
        .value_kind:     by_value
      - .actual_access:  write_only
        .address_space:  global
        .offset:         64
        .size:           8
        .value_kind:     global_buffer
      - .actual_access:  read_only
        .address_space:  global
        .offset:         72
        .size:           8
        .value_kind:     global_buffer
      - .actual_access:  write_only
        .address_space:  global
        .offset:         80
        .size:           8
        .value_kind:     global_buffer
    .group_segment_fixed_size: 32776
    .kernarg_segment_align: 8
    .kernarg_segment_size: 88
    .language:       OpenCL C
    .language_version:
      - 2
      - 0
    .max_flat_workgroup_size: 256
    .name:           _ZN9rocsparseL44csr2gebsr_wavefront_per_row_multipass_kernelILi256ELi16ELi16ELi32E21rocsparse_complex_numIdEEEv20rocsparse_direction_iiiiii21rocsparse_index_base_PKT3_PKiS9_S4_PS5_PiSB_
    .private_segment_fixed_size: 0
    .sgpr_count:     52
    .sgpr_spill_count: 0
    .symbol:         _ZN9rocsparseL44csr2gebsr_wavefront_per_row_multipass_kernelILi256ELi16ELi16ELi32E21rocsparse_complex_numIdEEEv20rocsparse_direction_iiiiii21rocsparse_index_base_PKT3_PKiS9_S4_PS5_PiSB_.kd
    .uniform_work_group_size: 1
    .uses_dynamic_stack: false
    .vgpr_count:     58
    .vgpr_spill_count: 0
    .wavefront_size: 64
  - .agpr_count:     0
    .args:
      - .offset:         0
        .size:           4
        .value_kind:     by_value
      - .offset:         4
        .size:           4
        .value_kind:     by_value
      - .offset:         8
        .size:           4
        .value_kind:     by_value
      - .offset:         12
        .size:           4
        .value_kind:     by_value
      - .offset:         16
        .size:           4
        .value_kind:     by_value
      - .offset:         20
        .size:           4
        .value_kind:     by_value
      - .offset:         24
        .size:           4
        .value_kind:     by_value
      - .offset:         28
        .size:           4
        .value_kind:     by_value
      - .actual_access:  read_only
        .address_space:  global
        .offset:         32
        .size:           8
        .value_kind:     global_buffer
      - .actual_access:  read_only
        .address_space:  global
        .offset:         40
        .size:           8
        .value_kind:     global_buffer
      - .actual_access:  read_only
        .address_space:  global
        .offset:         48
        .size:           8
        .value_kind:     global_buffer
      - .offset:         56
        .size:           4
        .value_kind:     by_value
      - .actual_access:  write_only
        .address_space:  global
        .offset:         64
        .size:           8
        .value_kind:     global_buffer
      - .actual_access:  read_only
        .address_space:  global
        .offset:         72
        .size:           8
        .value_kind:     global_buffer
      - .actual_access:  write_only
        .address_space:  global
        .offset:         80
        .size:           8
        .value_kind:     global_buffer
    .group_segment_fixed_size: 8200
    .kernarg_segment_align: 8
    .kernarg_segment_size: 88
    .language:       OpenCL C
    .language_version:
      - 2
      - 0
    .max_flat_workgroup_size: 128
    .name:           _ZN9rocsparseL40csr2gebsr_block_per_row_multipass_kernelILj128ELj16ELj32E21rocsparse_complex_numIdEEEv20rocsparse_direction_iiiiii21rocsparse_index_base_PKT2_PKiS9_S4_PS5_PiSB_
    .private_segment_fixed_size: 0
    .sgpr_count:     62
    .sgpr_spill_count: 0
    .symbol:         _ZN9rocsparseL40csr2gebsr_block_per_row_multipass_kernelILj128ELj16ELj32E21rocsparse_complex_numIdEEEv20rocsparse_direction_iiiiii21rocsparse_index_base_PKT2_PKiS9_S4_PS5_PiSB_.kd
    .uniform_work_group_size: 1
    .uses_dynamic_stack: false
    .vgpr_count:     42
    .vgpr_spill_count: 0
    .wavefront_size: 64
  - .agpr_count:     0
    .args:
      - .offset:         0
        .size:           4
        .value_kind:     by_value
      - .offset:         4
        .size:           4
        .value_kind:     by_value
      - .offset:         8
        .size:           4
        .value_kind:     by_value
      - .offset:         12
        .size:           4
        .value_kind:     by_value
      - .offset:         16
        .size:           4
        .value_kind:     by_value
      - .offset:         20
        .size:           4
        .value_kind:     by_value
      - .offset:         24
        .size:           4
        .value_kind:     by_value
      - .offset:         28
        .size:           4
        .value_kind:     by_value
      - .actual_access:  read_only
        .address_space:  global
        .offset:         32
        .size:           8
        .value_kind:     global_buffer
      - .actual_access:  read_only
        .address_space:  global
        .offset:         40
        .size:           8
        .value_kind:     global_buffer
      - .actual_access:  read_only
        .address_space:  global
        .offset:         48
        .size:           8
        .value_kind:     global_buffer
      - .offset:         56
        .size:           4
        .value_kind:     by_value
      - .actual_access:  write_only
        .address_space:  global
        .offset:         64
        .size:           8
        .value_kind:     global_buffer
      - .actual_access:  read_only
        .address_space:  global
        .offset:         72
        .size:           8
        .value_kind:     global_buffer
      - .actual_access:  write_only
        .address_space:  global
        .offset:         80
        .size:           8
        .value_kind:     global_buffer
    .group_segment_fixed_size: 16392
    .kernarg_segment_align: 8
    .kernarg_segment_size: 88
    .language:       OpenCL C
    .language_version:
      - 2
      - 0
    .max_flat_workgroup_size: 128
    .name:           _ZN9rocsparseL40csr2gebsr_block_per_row_multipass_kernelILj128ELj16ELj64E21rocsparse_complex_numIdEEEv20rocsparse_direction_iiiiii21rocsparse_index_base_PKT2_PKiS9_S4_PS5_PiSB_
    .private_segment_fixed_size: 0
    .sgpr_count:     78
    .sgpr_spill_count: 0
    .symbol:         _ZN9rocsparseL40csr2gebsr_block_per_row_multipass_kernelILj128ELj16ELj64E21rocsparse_complex_numIdEEEv20rocsparse_direction_iiiiii21rocsparse_index_base_PKT2_PKiS9_S4_PS5_PiSB_.kd
    .uniform_work_group_size: 1
    .uses_dynamic_stack: false
    .vgpr_count:     54
    .vgpr_spill_count: 0
    .wavefront_size: 64
  - .agpr_count:     0
    .args:
      - .offset:         0
        .size:           4
        .value_kind:     by_value
      - .offset:         4
        .size:           4
        .value_kind:     by_value
      - .offset:         8
        .size:           4
        .value_kind:     by_value
      - .offset:         12
        .size:           4
        .value_kind:     by_value
      - .offset:         16
        .size:           4
        .value_kind:     by_value
      - .offset:         20
        .size:           4
        .value_kind:     by_value
      - .offset:         24
        .size:           4
        .value_kind:     by_value
      - .offset:         28
        .size:           4
        .value_kind:     by_value
      - .actual_access:  read_only
        .address_space:  global
        .offset:         32
        .size:           8
        .value_kind:     global_buffer
      - .actual_access:  read_only
        .address_space:  global
        .offset:         40
        .size:           8
        .value_kind:     global_buffer
      - .actual_access:  read_only
        .address_space:  global
        .offset:         48
        .size:           8
        .value_kind:     global_buffer
      - .offset:         56
        .size:           4
        .value_kind:     by_value
      - .actual_access:  write_only
        .address_space:  global
        .offset:         64
        .size:           8
        .value_kind:     global_buffer
      - .actual_access:  read_only
        .address_space:  global
        .offset:         72
        .size:           8
        .value_kind:     global_buffer
      - .actual_access:  write_only
        .address_space:  global
        .offset:         80
        .size:           8
        .value_kind:     global_buffer
    .group_segment_fixed_size: 4104
    .kernarg_segment_align: 8
    .kernarg_segment_size: 88
    .language:       OpenCL C
    .language_version:
      - 2
      - 0
    .max_flat_workgroup_size: 256
    .name:           _ZN9rocsparseL44csr2gebsr_wavefront_per_row_multipass_kernelILi256ELi32ELi2ELi64E21rocsparse_complex_numIdEEEv20rocsparse_direction_iiiiii21rocsparse_index_base_PKT3_PKiS9_S4_PS5_PiSB_
    .private_segment_fixed_size: 0
    .sgpr_count:     32
    .sgpr_spill_count: 0
    .symbol:         _ZN9rocsparseL44csr2gebsr_wavefront_per_row_multipass_kernelILi256ELi32ELi2ELi64E21rocsparse_complex_numIdEEEv20rocsparse_direction_iiiiii21rocsparse_index_base_PKT3_PKiS9_S4_PS5_PiSB_.kd
    .uniform_work_group_size: 1
    .uses_dynamic_stack: false
    .vgpr_count:     32
    .vgpr_spill_count: 0
    .wavefront_size: 64
  - .agpr_count:     0
    .args:
      - .offset:         0
        .size:           4
        .value_kind:     by_value
      - .offset:         4
        .size:           4
        .value_kind:     by_value
      - .offset:         8
        .size:           4
        .value_kind:     by_value
      - .offset:         12
        .size:           4
        .value_kind:     by_value
      - .offset:         16
        .size:           4
        .value_kind:     by_value
      - .offset:         20
        .size:           4
        .value_kind:     by_value
      - .offset:         24
        .size:           4
        .value_kind:     by_value
      - .offset:         28
        .size:           4
        .value_kind:     by_value
      - .actual_access:  read_only
        .address_space:  global
        .offset:         32
        .size:           8
        .value_kind:     global_buffer
      - .actual_access:  read_only
        .address_space:  global
        .offset:         40
        .size:           8
        .value_kind:     global_buffer
      - .actual_access:  read_only
        .address_space:  global
        .offset:         48
        .size:           8
        .value_kind:     global_buffer
      - .offset:         56
        .size:           4
        .value_kind:     by_value
      - .actual_access:  write_only
        .address_space:  global
        .offset:         64
        .size:           8
        .value_kind:     global_buffer
      - .actual_access:  read_only
        .address_space:  global
        .offset:         72
        .size:           8
        .value_kind:     global_buffer
      - .actual_access:  write_only
        .address_space:  global
        .offset:         80
        .size:           8
        .value_kind:     global_buffer
    .group_segment_fixed_size: 8200
    .kernarg_segment_align: 8
    .kernarg_segment_size: 88
    .language:       OpenCL C
    .language_version:
      - 2
      - 0
    .max_flat_workgroup_size: 256
    .name:           _ZN9rocsparseL44csr2gebsr_wavefront_per_row_multipass_kernelILi256ELi32ELi2ELi32E21rocsparse_complex_numIdEEEv20rocsparse_direction_iiiiii21rocsparse_index_base_PKT3_PKiS9_S4_PS5_PiSB_
    .private_segment_fixed_size: 0
    .sgpr_count:     38
    .sgpr_spill_count: 0
    .symbol:         _ZN9rocsparseL44csr2gebsr_wavefront_per_row_multipass_kernelILi256ELi32ELi2ELi32E21rocsparse_complex_numIdEEEv20rocsparse_direction_iiiiii21rocsparse_index_base_PKT3_PKiS9_S4_PS5_PiSB_.kd
    .uniform_work_group_size: 1
    .uses_dynamic_stack: false
    .vgpr_count:     34
    .vgpr_spill_count: 0
    .wavefront_size: 64
  - .agpr_count:     0
    .args:
      - .offset:         0
        .size:           4
        .value_kind:     by_value
      - .offset:         4
        .size:           4
        .value_kind:     by_value
      - .offset:         8
        .size:           4
        .value_kind:     by_value
      - .offset:         12
        .size:           4
        .value_kind:     by_value
      - .offset:         16
        .size:           4
        .value_kind:     by_value
      - .offset:         20
        .size:           4
        .value_kind:     by_value
      - .offset:         24
        .size:           4
        .value_kind:     by_value
      - .offset:         28
        .size:           4
        .value_kind:     by_value
      - .actual_access:  read_only
        .address_space:  global
        .offset:         32
        .size:           8
        .value_kind:     global_buffer
      - .actual_access:  read_only
        .address_space:  global
        .offset:         40
        .size:           8
        .value_kind:     global_buffer
      - .actual_access:  read_only
        .address_space:  global
        .offset:         48
        .size:           8
        .value_kind:     global_buffer
      - .offset:         56
        .size:           4
        .value_kind:     by_value
      - .actual_access:  write_only
        .address_space:  global
        .offset:         64
        .size:           8
        .value_kind:     global_buffer
      - .actual_access:  read_only
        .address_space:  global
        .offset:         72
        .size:           8
        .value_kind:     global_buffer
      - .actual_access:  write_only
        .address_space:  global
        .offset:         80
        .size:           8
        .value_kind:     global_buffer
    .group_segment_fixed_size: 8200
    .kernarg_segment_align: 8
    .kernarg_segment_size: 88
    .language:       OpenCL C
    .language_version:
      - 2
      - 0
    .max_flat_workgroup_size: 256
    .name:           _ZN9rocsparseL44csr2gebsr_wavefront_per_row_multipass_kernelILi256ELi32ELi4ELi64E21rocsparse_complex_numIdEEEv20rocsparse_direction_iiiiii21rocsparse_index_base_PKT3_PKiS9_S4_PS5_PiSB_
    .private_segment_fixed_size: 0
    .sgpr_count:     38
    .sgpr_spill_count: 0
    .symbol:         _ZN9rocsparseL44csr2gebsr_wavefront_per_row_multipass_kernelILi256ELi32ELi4ELi64E21rocsparse_complex_numIdEEEv20rocsparse_direction_iiiiii21rocsparse_index_base_PKT3_PKiS9_S4_PS5_PiSB_.kd
    .uniform_work_group_size: 1
    .uses_dynamic_stack: false
    .vgpr_count:     40
    .vgpr_spill_count: 0
    .wavefront_size: 64
  - .agpr_count:     0
    .args:
      - .offset:         0
        .size:           4
        .value_kind:     by_value
      - .offset:         4
        .size:           4
        .value_kind:     by_value
      - .offset:         8
        .size:           4
        .value_kind:     by_value
      - .offset:         12
        .size:           4
        .value_kind:     by_value
      - .offset:         16
        .size:           4
        .value_kind:     by_value
      - .offset:         20
        .size:           4
        .value_kind:     by_value
      - .offset:         24
        .size:           4
        .value_kind:     by_value
      - .offset:         28
        .size:           4
        .value_kind:     by_value
      - .actual_access:  read_only
        .address_space:  global
        .offset:         32
        .size:           8
        .value_kind:     global_buffer
      - .actual_access:  read_only
        .address_space:  global
        .offset:         40
        .size:           8
        .value_kind:     global_buffer
      - .actual_access:  read_only
        .address_space:  global
        .offset:         48
        .size:           8
        .value_kind:     global_buffer
      - .offset:         56
        .size:           4
        .value_kind:     by_value
      - .actual_access:  write_only
        .address_space:  global
        .offset:         64
        .size:           8
        .value_kind:     global_buffer
      - .actual_access:  read_only
        .address_space:  global
        .offset:         72
        .size:           8
        .value_kind:     global_buffer
      - .actual_access:  write_only
        .address_space:  global
        .offset:         80
        .size:           8
        .value_kind:     global_buffer
    .group_segment_fixed_size: 16392
    .kernarg_segment_align: 8
    .kernarg_segment_size: 88
    .language:       OpenCL C
    .language_version:
      - 2
      - 0
    .max_flat_workgroup_size: 256
    .name:           _ZN9rocsparseL44csr2gebsr_wavefront_per_row_multipass_kernelILi256ELi32ELi4ELi32E21rocsparse_complex_numIdEEEv20rocsparse_direction_iiiiii21rocsparse_index_base_PKT3_PKiS9_S4_PS5_PiSB_
    .private_segment_fixed_size: 0
    .sgpr_count:     48
    .sgpr_spill_count: 0
    .symbol:         _ZN9rocsparseL44csr2gebsr_wavefront_per_row_multipass_kernelILi256ELi32ELi4ELi32E21rocsparse_complex_numIdEEEv20rocsparse_direction_iiiiii21rocsparse_index_base_PKT3_PKiS9_S4_PS5_PiSB_.kd
    .uniform_work_group_size: 1
    .uses_dynamic_stack: false
    .vgpr_count:     36
    .vgpr_spill_count: 0
    .wavefront_size: 64
  - .agpr_count:     0
    .args:
      - .offset:         0
        .size:           4
        .value_kind:     by_value
      - .offset:         4
        .size:           4
        .value_kind:     by_value
      - .offset:         8
        .size:           4
        .value_kind:     by_value
      - .offset:         12
        .size:           4
        .value_kind:     by_value
      - .offset:         16
        .size:           4
        .value_kind:     by_value
      - .offset:         20
        .size:           4
        .value_kind:     by_value
      - .offset:         24
        .size:           4
        .value_kind:     by_value
      - .offset:         28
        .size:           4
        .value_kind:     by_value
      - .actual_access:  read_only
        .address_space:  global
        .offset:         32
        .size:           8
        .value_kind:     global_buffer
      - .actual_access:  read_only
        .address_space:  global
        .offset:         40
        .size:           8
        .value_kind:     global_buffer
      - .actual_access:  read_only
        .address_space:  global
        .offset:         48
        .size:           8
        .value_kind:     global_buffer
      - .offset:         56
        .size:           4
        .value_kind:     by_value
      - .actual_access:  write_only
        .address_space:  global
        .offset:         64
        .size:           8
        .value_kind:     global_buffer
      - .actual_access:  read_only
        .address_space:  global
        .offset:         72
        .size:           8
        .value_kind:     global_buffer
      - .actual_access:  write_only
        .address_space:  global
        .offset:         80
        .size:           8
        .value_kind:     global_buffer
    .group_segment_fixed_size: 16392
    .kernarg_segment_align: 8
    .kernarg_segment_size: 88
    .language:       OpenCL C
    .language_version:
      - 2
      - 0
    .max_flat_workgroup_size: 256
    .name:           _ZN9rocsparseL44csr2gebsr_wavefront_per_row_multipass_kernelILi256ELi32ELi8ELi64E21rocsparse_complex_numIdEEEv20rocsparse_direction_iiiiii21rocsparse_index_base_PKT3_PKiS9_S4_PS5_PiSB_
    .private_segment_fixed_size: 0
    .sgpr_count:     44
    .sgpr_spill_count: 0
    .symbol:         _ZN9rocsparseL44csr2gebsr_wavefront_per_row_multipass_kernelILi256ELi32ELi8ELi64E21rocsparse_complex_numIdEEEv20rocsparse_direction_iiiiii21rocsparse_index_base_PKT3_PKiS9_S4_PS5_PiSB_.kd
    .uniform_work_group_size: 1
    .uses_dynamic_stack: false
    .vgpr_count:     46
    .vgpr_spill_count: 0
    .wavefront_size: 64
  - .agpr_count:     0
    .args:
      - .offset:         0
        .size:           4
        .value_kind:     by_value
      - .offset:         4
        .size:           4
        .value_kind:     by_value
      - .offset:         8
        .size:           4
        .value_kind:     by_value
      - .offset:         12
        .size:           4
        .value_kind:     by_value
      - .offset:         16
        .size:           4
        .value_kind:     by_value
      - .offset:         20
        .size:           4
        .value_kind:     by_value
      - .offset:         24
        .size:           4
        .value_kind:     by_value
      - .offset:         28
        .size:           4
        .value_kind:     by_value
      - .actual_access:  read_only
        .address_space:  global
        .offset:         32
        .size:           8
        .value_kind:     global_buffer
      - .actual_access:  read_only
        .address_space:  global
        .offset:         40
        .size:           8
        .value_kind:     global_buffer
      - .actual_access:  read_only
        .address_space:  global
        .offset:         48
        .size:           8
        .value_kind:     global_buffer
      - .offset:         56
        .size:           4
        .value_kind:     by_value
      - .actual_access:  write_only
        .address_space:  global
        .offset:         64
        .size:           8
        .value_kind:     global_buffer
      - .actual_access:  read_only
        .address_space:  global
        .offset:         72
        .size:           8
        .value_kind:     global_buffer
      - .actual_access:  write_only
        .address_space:  global
        .offset:         80
        .size:           8
        .value_kind:     global_buffer
    .group_segment_fixed_size: 32776
    .kernarg_segment_align: 8
    .kernarg_segment_size: 88
    .language:       OpenCL C
    .language_version:
      - 2
      - 0
    .max_flat_workgroup_size: 256
    .name:           _ZN9rocsparseL44csr2gebsr_wavefront_per_row_multipass_kernelILi256ELi32ELi8ELi32E21rocsparse_complex_numIdEEEv20rocsparse_direction_iiiiii21rocsparse_index_base_PKT3_PKiS9_S4_PS5_PiSB_
    .private_segment_fixed_size: 0
    .sgpr_count:     70
    .sgpr_spill_count: 0
    .symbol:         _ZN9rocsparseL44csr2gebsr_wavefront_per_row_multipass_kernelILi256ELi32ELi8ELi32E21rocsparse_complex_numIdEEEv20rocsparse_direction_iiiiii21rocsparse_index_base_PKT3_PKiS9_S4_PS5_PiSB_.kd
    .uniform_work_group_size: 1
    .uses_dynamic_stack: false
    .vgpr_count:     40
    .vgpr_spill_count: 0
    .wavefront_size: 64
  - .agpr_count:     0
    .args:
      - .offset:         0
        .size:           4
        .value_kind:     by_value
      - .offset:         4
        .size:           4
        .value_kind:     by_value
      - .offset:         8
        .size:           4
        .value_kind:     by_value
      - .offset:         12
        .size:           4
        .value_kind:     by_value
      - .offset:         16
        .size:           4
        .value_kind:     by_value
      - .offset:         20
        .size:           4
        .value_kind:     by_value
      - .offset:         24
        .size:           4
        .value_kind:     by_value
      - .offset:         28
        .size:           4
        .value_kind:     by_value
      - .actual_access:  read_only
        .address_space:  global
        .offset:         32
        .size:           8
        .value_kind:     global_buffer
      - .actual_access:  read_only
        .address_space:  global
        .offset:         40
        .size:           8
        .value_kind:     global_buffer
      - .actual_access:  read_only
        .address_space:  global
        .offset:         48
        .size:           8
        .value_kind:     global_buffer
      - .offset:         56
        .size:           4
        .value_kind:     by_value
      - .actual_access:  write_only
        .address_space:  global
        .offset:         64
        .size:           8
        .value_kind:     global_buffer
      - .actual_access:  read_only
        .address_space:  global
        .offset:         72
        .size:           8
        .value_kind:     global_buffer
      - .actual_access:  write_only
        .address_space:  global
        .offset:         80
        .size:           8
        .value_kind:     global_buffer
    .group_segment_fixed_size: 8200
    .kernarg_segment_align: 8
    .kernarg_segment_size: 88
    .language:       OpenCL C
    .language_version:
      - 2
      - 0
    .max_flat_workgroup_size: 256
    .name:           _ZN9rocsparseL40csr2gebsr_block_per_row_multipass_kernelILj256ELj32ELj16E21rocsparse_complex_numIdEEEv20rocsparse_direction_iiiiii21rocsparse_index_base_PKT2_PKiS9_S4_PS5_PiSB_
    .private_segment_fixed_size: 0
    .sgpr_count:     56
    .sgpr_spill_count: 0
    .symbol:         _ZN9rocsparseL40csr2gebsr_block_per_row_multipass_kernelILj256ELj32ELj16E21rocsparse_complex_numIdEEEv20rocsparse_direction_iiiiii21rocsparse_index_base_PKT2_PKiS9_S4_PS5_PiSB_.kd
    .uniform_work_group_size: 1
    .uses_dynamic_stack: false
    .vgpr_count:     34
    .vgpr_spill_count: 0
    .wavefront_size: 64
  - .agpr_count:     0
    .args:
      - .offset:         0
        .size:           4
        .value_kind:     by_value
      - .offset:         4
        .size:           4
        .value_kind:     by_value
      - .offset:         8
        .size:           4
        .value_kind:     by_value
      - .offset:         12
        .size:           4
        .value_kind:     by_value
      - .offset:         16
        .size:           4
        .value_kind:     by_value
      - .offset:         20
        .size:           4
        .value_kind:     by_value
      - .offset:         24
        .size:           4
        .value_kind:     by_value
      - .offset:         28
        .size:           4
        .value_kind:     by_value
      - .actual_access:  read_only
        .address_space:  global
        .offset:         32
        .size:           8
        .value_kind:     global_buffer
      - .actual_access:  read_only
        .address_space:  global
        .offset:         40
        .size:           8
        .value_kind:     global_buffer
      - .actual_access:  read_only
        .address_space:  global
        .offset:         48
        .size:           8
        .value_kind:     global_buffer
      - .offset:         56
        .size:           4
        .value_kind:     by_value
      - .actual_access:  write_only
        .address_space:  global
        .offset:         64
        .size:           8
        .value_kind:     global_buffer
      - .actual_access:  read_only
        .address_space:  global
        .offset:         72
        .size:           8
        .value_kind:     global_buffer
      - .actual_access:  write_only
        .address_space:  global
        .offset:         80
        .size:           8
        .value_kind:     global_buffer
    .group_segment_fixed_size: 16392
    .kernarg_segment_align: 8
    .kernarg_segment_size: 88
    .language:       OpenCL C
    .language_version:
      - 2
      - 0
    .max_flat_workgroup_size: 256
    .name:           _ZN9rocsparseL40csr2gebsr_block_per_row_multipass_kernelILj256ELj32ELj32E21rocsparse_complex_numIdEEEv20rocsparse_direction_iiiiii21rocsparse_index_base_PKT2_PKiS9_S4_PS5_PiSB_
    .private_segment_fixed_size: 0
    .sgpr_count:     64
    .sgpr_spill_count: 0
    .symbol:         _ZN9rocsparseL40csr2gebsr_block_per_row_multipass_kernelILj256ELj32ELj32E21rocsparse_complex_numIdEEEv20rocsparse_direction_iiiiii21rocsparse_index_base_PKT2_PKiS9_S4_PS5_PiSB_.kd
    .uniform_work_group_size: 1
    .uses_dynamic_stack: false
    .vgpr_count:     42
    .vgpr_spill_count: 0
    .wavefront_size: 64
  - .agpr_count:     0
    .args:
      - .offset:         0
        .size:           4
        .value_kind:     by_value
      - .offset:         4
        .size:           4
        .value_kind:     by_value
      - .offset:         8
        .size:           4
        .value_kind:     by_value
      - .offset:         12
        .size:           4
        .value_kind:     by_value
      - .offset:         16
        .size:           4
        .value_kind:     by_value
      - .offset:         20
        .size:           4
        .value_kind:     by_value
      - .offset:         24
        .size:           4
        .value_kind:     by_value
      - .offset:         28
        .size:           4
        .value_kind:     by_value
      - .actual_access:  read_only
        .address_space:  global
        .offset:         32
        .size:           8
        .value_kind:     global_buffer
      - .actual_access:  read_only
        .address_space:  global
        .offset:         40
        .size:           8
        .value_kind:     global_buffer
      - .actual_access:  read_only
        .address_space:  global
        .offset:         48
        .size:           8
        .value_kind:     global_buffer
      - .offset:         56
        .size:           4
        .value_kind:     by_value
      - .actual_access:  write_only
        .address_space:  global
        .offset:         64
        .size:           8
        .value_kind:     global_buffer
      - .actual_access:  read_only
        .address_space:  global
        .offset:         72
        .size:           8
        .value_kind:     global_buffer
      - .actual_access:  write_only
        .address_space:  global
        .offset:         80
        .size:           8
        .value_kind:     global_buffer
    .group_segment_fixed_size: 32776
    .kernarg_segment_align: 8
    .kernarg_segment_size: 88
    .language:       OpenCL C
    .language_version:
      - 2
      - 0
    .max_flat_workgroup_size: 256
    .name:           _ZN9rocsparseL40csr2gebsr_block_per_row_multipass_kernelILj256ELj32ELj64E21rocsparse_complex_numIdEEEv20rocsparse_direction_iiiiii21rocsparse_index_base_PKT2_PKiS9_S4_PS5_PiSB_
    .private_segment_fixed_size: 0
    .sgpr_count:     80
    .sgpr_spill_count: 0
    .symbol:         _ZN9rocsparseL40csr2gebsr_block_per_row_multipass_kernelILj256ELj32ELj64E21rocsparse_complex_numIdEEEv20rocsparse_direction_iiiiii21rocsparse_index_base_PKT2_PKiS9_S4_PS5_PiSB_.kd
    .uniform_work_group_size: 1
    .uses_dynamic_stack: false
    .vgpr_count:     54
    .vgpr_spill_count: 0
    .wavefront_size: 64
  - .agpr_count:     0
    .args:
      - .offset:         0
        .size:           4
        .value_kind:     by_value
      - .offset:         4
        .size:           4
        .value_kind:     by_value
      - .offset:         8
        .size:           4
        .value_kind:     by_value
      - .offset:         12
        .size:           4
        .value_kind:     by_value
      - .offset:         16
        .size:           4
        .value_kind:     by_value
      - .offset:         20
        .size:           4
        .value_kind:     by_value
      - .offset:         24
        .size:           4
        .value_kind:     by_value
      - .offset:         28
        .size:           4
        .value_kind:     by_value
      - .actual_access:  read_only
        .address_space:  global
        .offset:         32
        .size:           8
        .value_kind:     global_buffer
      - .actual_access:  read_only
        .address_space:  global
        .offset:         40
        .size:           8
        .value_kind:     global_buffer
      - .actual_access:  read_only
        .address_space:  global
        .offset:         48
        .size:           8
        .value_kind:     global_buffer
      - .offset:         56
        .size:           4
        .value_kind:     by_value
      - .actual_access:  write_only
        .address_space:  global
        .offset:         64
        .size:           8
        .value_kind:     global_buffer
      - .actual_access:  read_only
        .address_space:  global
        .offset:         72
        .size:           8
        .value_kind:     global_buffer
      - .actual_access:  write_only
        .address_space:  global
        .offset:         80
        .size:           8
        .value_kind:     global_buffer
    .group_segment_fixed_size: 2056
    .kernarg_segment_align: 8
    .kernarg_segment_size: 88
    .language:       OpenCL C
    .language_version:
      - 2
      - 0
    .max_flat_workgroup_size: 128
    .name:           _ZN9rocsparseL40csr2gebsr_block_per_row_multipass_kernelILj128ELj64ELj2E21rocsparse_complex_numIdEEEv20rocsparse_direction_iiiiii21rocsparse_index_base_PKT2_PKiS9_S4_PS5_PiSB_
    .private_segment_fixed_size: 0
    .sgpr_count:     48
    .sgpr_spill_count: 0
    .symbol:         _ZN9rocsparseL40csr2gebsr_block_per_row_multipass_kernelILj128ELj64ELj2E21rocsparse_complex_numIdEEEv20rocsparse_direction_iiiiii21rocsparse_index_base_PKT2_PKiS9_S4_PS5_PiSB_.kd
    .uniform_work_group_size: 1
    .uses_dynamic_stack: false
    .vgpr_count:     26
    .vgpr_spill_count: 0
    .wavefront_size: 64
  - .agpr_count:     0
    .args:
      - .offset:         0
        .size:           4
        .value_kind:     by_value
      - .offset:         4
        .size:           4
        .value_kind:     by_value
      - .offset:         8
        .size:           4
        .value_kind:     by_value
      - .offset:         12
        .size:           4
        .value_kind:     by_value
      - .offset:         16
        .size:           4
        .value_kind:     by_value
      - .offset:         20
        .size:           4
        .value_kind:     by_value
      - .offset:         24
        .size:           4
        .value_kind:     by_value
      - .offset:         28
        .size:           4
        .value_kind:     by_value
      - .actual_access:  read_only
        .address_space:  global
        .offset:         32
        .size:           8
        .value_kind:     global_buffer
      - .actual_access:  read_only
        .address_space:  global
        .offset:         40
        .size:           8
        .value_kind:     global_buffer
      - .actual_access:  read_only
        .address_space:  global
        .offset:         48
        .size:           8
        .value_kind:     global_buffer
      - .offset:         56
        .size:           4
        .value_kind:     by_value
      - .actual_access:  write_only
        .address_space:  global
        .offset:         64
        .size:           8
        .value_kind:     global_buffer
      - .actual_access:  read_only
        .address_space:  global
        .offset:         72
        .size:           8
        .value_kind:     global_buffer
      - .actual_access:  write_only
        .address_space:  global
        .offset:         80
        .size:           8
        .value_kind:     global_buffer
    .group_segment_fixed_size: 4104
    .kernarg_segment_align: 8
    .kernarg_segment_size: 88
    .language:       OpenCL C
    .language_version:
      - 2
      - 0
    .max_flat_workgroup_size: 256
    .name:           _ZN9rocsparseL40csr2gebsr_block_per_row_multipass_kernelILj256ELj64ELj4E21rocsparse_complex_numIdEEEv20rocsparse_direction_iiiiii21rocsparse_index_base_PKT2_PKiS9_S4_PS5_PiSB_
    .private_segment_fixed_size: 0
    .sgpr_count:     50
    .sgpr_spill_count: 0
    .symbol:         _ZN9rocsparseL40csr2gebsr_block_per_row_multipass_kernelILj256ELj64ELj4E21rocsparse_complex_numIdEEEv20rocsparse_direction_iiiiii21rocsparse_index_base_PKT2_PKiS9_S4_PS5_PiSB_.kd
    .uniform_work_group_size: 1
    .uses_dynamic_stack: false
    .vgpr_count:     26
    .vgpr_spill_count: 0
    .wavefront_size: 64
  - .agpr_count:     0
    .args:
      - .offset:         0
        .size:           4
        .value_kind:     by_value
      - .offset:         4
        .size:           4
        .value_kind:     by_value
      - .offset:         8
        .size:           4
        .value_kind:     by_value
      - .offset:         12
        .size:           4
        .value_kind:     by_value
      - .offset:         16
        .size:           4
        .value_kind:     by_value
      - .offset:         20
        .size:           4
        .value_kind:     by_value
      - .offset:         24
        .size:           4
        .value_kind:     by_value
      - .offset:         28
        .size:           4
        .value_kind:     by_value
      - .actual_access:  read_only
        .address_space:  global
        .offset:         32
        .size:           8
        .value_kind:     global_buffer
      - .actual_access:  read_only
        .address_space:  global
        .offset:         40
        .size:           8
        .value_kind:     global_buffer
      - .actual_access:  read_only
        .address_space:  global
        .offset:         48
        .size:           8
        .value_kind:     global_buffer
      - .offset:         56
        .size:           4
        .value_kind:     by_value
      - .actual_access:  write_only
        .address_space:  global
        .offset:         64
        .size:           8
        .value_kind:     global_buffer
      - .actual_access:  read_only
        .address_space:  global
        .offset:         72
        .size:           8
        .value_kind:     global_buffer
      - .actual_access:  write_only
        .address_space:  global
        .offset:         80
        .size:           8
        .value_kind:     global_buffer
    .group_segment_fixed_size: 8200
    .kernarg_segment_align: 8
    .kernarg_segment_size: 88
    .language:       OpenCL C
    .language_version:
      - 2
      - 0
    .max_flat_workgroup_size: 256
    .name:           _ZN9rocsparseL40csr2gebsr_block_per_row_multipass_kernelILj256ELj64ELj8E21rocsparse_complex_numIdEEEv20rocsparse_direction_iiiiii21rocsparse_index_base_PKT2_PKiS9_S4_PS5_PiSB_
    .private_segment_fixed_size: 0
    .sgpr_count:     54
    .sgpr_spill_count: 0
    .symbol:         _ZN9rocsparseL40csr2gebsr_block_per_row_multipass_kernelILj256ELj64ELj8E21rocsparse_complex_numIdEEEv20rocsparse_direction_iiiiii21rocsparse_index_base_PKT2_PKiS9_S4_PS5_PiSB_.kd
    .uniform_work_group_size: 1
    .uses_dynamic_stack: false
    .vgpr_count:     34
    .vgpr_spill_count: 0
    .wavefront_size: 64
  - .agpr_count:     0
    .args:
      - .offset:         0
        .size:           4
        .value_kind:     by_value
      - .offset:         4
        .size:           4
        .value_kind:     by_value
      - .offset:         8
        .size:           4
        .value_kind:     by_value
      - .offset:         12
        .size:           4
        .value_kind:     by_value
      - .offset:         16
        .size:           4
        .value_kind:     by_value
      - .offset:         20
        .size:           4
        .value_kind:     by_value
      - .offset:         24
        .size:           4
        .value_kind:     by_value
      - .offset:         28
        .size:           4
        .value_kind:     by_value
      - .actual_access:  read_only
        .address_space:  global
        .offset:         32
        .size:           8
        .value_kind:     global_buffer
      - .actual_access:  read_only
        .address_space:  global
        .offset:         40
        .size:           8
        .value_kind:     global_buffer
      - .actual_access:  read_only
        .address_space:  global
        .offset:         48
        .size:           8
        .value_kind:     global_buffer
      - .offset:         56
        .size:           4
        .value_kind:     by_value
      - .actual_access:  write_only
        .address_space:  global
        .offset:         64
        .size:           8
        .value_kind:     global_buffer
      - .actual_access:  read_only
        .address_space:  global
        .offset:         72
        .size:           8
        .value_kind:     global_buffer
      - .actual_access:  write_only
        .address_space:  global
        .offset:         80
        .size:           8
        .value_kind:     global_buffer
    .group_segment_fixed_size: 16392
    .kernarg_segment_align: 8
    .kernarg_segment_size: 88
    .language:       OpenCL C
    .language_version:
      - 2
      - 0
    .max_flat_workgroup_size: 256
    .name:           _ZN9rocsparseL40csr2gebsr_block_per_row_multipass_kernelILj256ELj64ELj16E21rocsparse_complex_numIdEEEv20rocsparse_direction_iiiiii21rocsparse_index_base_PKT2_PKiS9_S4_PS5_PiSB_
    .private_segment_fixed_size: 0
    .sgpr_count:     62
    .sgpr_spill_count: 0
    .symbol:         _ZN9rocsparseL40csr2gebsr_block_per_row_multipass_kernelILj256ELj64ELj16E21rocsparse_complex_numIdEEEv20rocsparse_direction_iiiiii21rocsparse_index_base_PKT2_PKiS9_S4_PS5_PiSB_.kd
    .uniform_work_group_size: 1
    .uses_dynamic_stack: false
    .vgpr_count:     42
    .vgpr_spill_count: 0
    .wavefront_size: 64
  - .agpr_count:     0
    .args:
      - .offset:         0
        .size:           4
        .value_kind:     by_value
      - .offset:         4
        .size:           4
        .value_kind:     by_value
      - .offset:         8
        .size:           4
        .value_kind:     by_value
      - .offset:         12
        .size:           4
        .value_kind:     by_value
      - .offset:         16
        .size:           4
        .value_kind:     by_value
      - .offset:         20
        .size:           4
        .value_kind:     by_value
      - .offset:         24
        .size:           4
        .value_kind:     by_value
      - .offset:         28
        .size:           4
        .value_kind:     by_value
      - .actual_access:  read_only
        .address_space:  global
        .offset:         32
        .size:           8
        .value_kind:     global_buffer
      - .actual_access:  read_only
        .address_space:  global
        .offset:         40
        .size:           8
        .value_kind:     global_buffer
      - .actual_access:  read_only
        .address_space:  global
        .offset:         48
        .size:           8
        .value_kind:     global_buffer
      - .offset:         56
        .size:           4
        .value_kind:     by_value
      - .actual_access:  write_only
        .address_space:  global
        .offset:         64
        .size:           8
        .value_kind:     global_buffer
      - .actual_access:  read_only
        .address_space:  global
        .offset:         72
        .size:           8
        .value_kind:     global_buffer
      - .actual_access:  write_only
        .address_space:  global
        .offset:         80
        .size:           8
        .value_kind:     global_buffer
    .group_segment_fixed_size: 32776
    .kernarg_segment_align: 8
    .kernarg_segment_size: 88
    .language:       OpenCL C
    .language_version:
      - 2
      - 0
    .max_flat_workgroup_size: 256
    .name:           _ZN9rocsparseL40csr2gebsr_block_per_row_multipass_kernelILj256ELj64ELj32E21rocsparse_complex_numIdEEEv20rocsparse_direction_iiiiii21rocsparse_index_base_PKT2_PKiS9_S4_PS5_PiSB_
    .private_segment_fixed_size: 0
    .sgpr_count:     78
    .sgpr_spill_count: 0
    .symbol:         _ZN9rocsparseL40csr2gebsr_block_per_row_multipass_kernelILj256ELj64ELj32E21rocsparse_complex_numIdEEEv20rocsparse_direction_iiiiii21rocsparse_index_base_PKT2_PKiS9_S4_PS5_PiSB_.kd
    .uniform_work_group_size: 1
    .uses_dynamic_stack: false
    .vgpr_count:     54
    .vgpr_spill_count: 0
    .wavefront_size: 64
  - .agpr_count:     0
    .args:
      - .offset:         0
        .size:           4
        .value_kind:     by_value
      - .offset:         4
        .size:           4
        .value_kind:     by_value
      - .offset:         8
        .size:           4
        .value_kind:     by_value
      - .offset:         12
        .size:           4
        .value_kind:     by_value
      - .offset:         16
        .size:           4
        .value_kind:     by_value
      - .offset:         20
        .size:           4
        .value_kind:     by_value
      - .offset:         24
        .size:           4
        .value_kind:     by_value
      - .offset:         28
        .size:           4
        .value_kind:     by_value
      - .offset:         32
        .size:           4
        .value_kind:     by_value
      - .actual_access:  read_only
        .address_space:  global
        .offset:         40
        .size:           8
        .value_kind:     global_buffer
      - .actual_access:  read_only
        .address_space:  global
        .offset:         48
        .size:           8
        .value_kind:     global_buffer
      - .actual_access:  read_only
        .address_space:  global
        .offset:         56
        .size:           8
        .value_kind:     global_buffer
      - .offset:         64
        .size:           4
        .value_kind:     by_value
      - .actual_access:  write_only
        .address_space:  global
        .offset:         72
        .size:           8
        .value_kind:     global_buffer
      - .actual_access:  read_only
        .address_space:  global
        .offset:         80
        .size:           8
        .value_kind:     global_buffer
      - .actual_access:  write_only
        .address_space:  global
        .offset:         88
        .size:           8
        .value_kind:     global_buffer
      - .address_space:  global
        .offset:         96
        .size:           8
        .value_kind:     global_buffer
      - .address_space:  global
        .offset:         104
        .size:           8
        .value_kind:     global_buffer
    .group_segment_fixed_size: 0
    .kernarg_segment_align: 8
    .kernarg_segment_size: 112
    .language:       OpenCL C
    .language_version:
      - 2
      - 0
    .max_flat_workgroup_size: 32
    .name:           _ZN9rocsparseL23csr2gebsr_65_inf_kernelILi32E21rocsparse_complex_numIdEEEv20rocsparse_direction_iiiiiii21rocsparse_index_base_PKT0_PKiS9_S4_PS5_PiSB_SB_SA_
    .private_segment_fixed_size: 0
    .sgpr_count:     52
    .sgpr_spill_count: 0
    .symbol:         _ZN9rocsparseL23csr2gebsr_65_inf_kernelILi32E21rocsparse_complex_numIdEEEv20rocsparse_direction_iiiiiii21rocsparse_index_base_PKT0_PKiS9_S4_PS5_PiSB_SB_SA_.kd
    .uniform_work_group_size: 1
    .uses_dynamic_stack: false
    .vgpr_count:     36
    .vgpr_spill_count: 0
    .wavefront_size: 64
amdhsa.target:   amdgcn-amd-amdhsa--gfx942
amdhsa.version:
  - 1
  - 2
...

	.end_amdgpu_metadata
